;; amdgpu-corpus repo=pytorch/pytorch kind=compiled arch=gfx906 opt=O3
	.amdgcn_target "amdgcn-amd-amdhsa--gfx906"
	.amdhsa_code_object_version 6
	.section	.text._ZN2at6native12_GLOBAL__N_130segment_reduce_backward_kernelIdiEEvNS0_13ReductionTypeEPT_PKS4_S7_S7_PKT0_SA_llS4_lllllll,"axG",@progbits,_ZN2at6native12_GLOBAL__N_130segment_reduce_backward_kernelIdiEEvNS0_13ReductionTypeEPT_PKS4_S7_S7_PKT0_SA_llS4_lllllll,comdat
	.globl	_ZN2at6native12_GLOBAL__N_130segment_reduce_backward_kernelIdiEEvNS0_13ReductionTypeEPT_PKS4_S7_S7_PKT0_SA_llS4_lllllll ; -- Begin function _ZN2at6native12_GLOBAL__N_130segment_reduce_backward_kernelIdiEEvNS0_13ReductionTypeEPT_PKS4_S7_S7_PKT0_SA_llS4_lllllll
	.p2align	8
	.type	_ZN2at6native12_GLOBAL__N_130segment_reduce_backward_kernelIdiEEvNS0_13ReductionTypeEPT_PKS4_S7_S7_PKT0_SA_llS4_lllllll,@function
_ZN2at6native12_GLOBAL__N_130segment_reduce_backward_kernelIdiEEvNS0_13ReductionTypeEPT_PKS4_S7_S7_PKT0_SA_llS4_lllllll: ; @_ZN2at6native12_GLOBAL__N_130segment_reduce_backward_kernelIdiEEvNS0_13ReductionTypeEPT_PKS4_S7_S7_PKT0_SA_llS4_lllllll
; %bb.0:
	s_load_dword s0, s[4:5], 0x94
	s_load_dwordx16 s[36:51], s[4:5], 0x8
	s_load_dwordx16 s[8:23], s[4:5], 0x48
	v_mov_b32_e32 v2, 0
	v_mov_b32_e32 v1, v2
	s_waitcnt lgkmcnt(0)
	s_and_b32 s0, s0, 0xffff
	v_mov_b32_e32 v3, s6
	v_mad_u64_u32 v[0:1], s[0:1], s0, v3, v[0:1]
	s_mul_i32 s0, s10, s49
	s_mul_hi_u32 s1, s10, s48
	s_add_i32 s0, s1, s0
	s_mul_i32 s1, s11, s48
	s_mul_i32 s2, s10, s48
	s_add_i32 s0, s0, s1
	s_mul_i32 s1, s2, s13
	s_mul_hi_u32 s3, s2, s12
	s_add_i32 s1, s3, s1
	s_mul_i32 s0, s0, s12
	s_add_i32 s1, s1, s0
	s_mul_i32 s0, s2, s12
	v_cmp_gt_i64_e32 vcc, s[0:1], v[0:1]
	s_and_saveexec_b64 s[0:1], vcc
	s_cbranch_execz .LBB0_54
; %bb.1:
	v_or_b32_e32 v3, s13, v1
	v_cmp_ne_u64_e32 vcc, 0, v[2:3]
                                        ; implicit-def: $vgpr4_vgpr5
	s_and_saveexec_b64 s[0:1], vcc
	s_xor_b64 s[2:3], exec, s[0:1]
	s_cbranch_execz .LBB0_3
; %bb.2:
	s_ashr_i32 s6, s13, 31
	s_add_u32 s0, s12, s6
	s_mov_b32 s7, s6
	s_addc_u32 s1, s13, s6
	s_xor_b64 s[10:11], s[0:1], s[6:7]
	v_cvt_f32_u32_e32 v2, s10
	v_cvt_f32_u32_e32 v3, s11
	s_sub_u32 s7, 0, s10
	s_subb_u32 s24, 0, s11
	v_ashrrev_i32_e32 v6, 31, v1
	v_madmk_f32 v2, v3, 0x4f800000, v2
	v_rcp_f32_e32 v2, v2
	v_mul_f32_e32 v2, 0x5f7ffffc, v2
	v_mul_f32_e32 v3, 0x2f800000, v2
	v_trunc_f32_e32 v3, v3
	v_madmk_f32 v2, v3, 0xcf800000, v2
	v_cvt_u32_f32_e32 v3, v3
	v_cvt_u32_f32_e32 v2, v2
	v_readfirstlane_b32 s25, v3
	v_readfirstlane_b32 s0, v2
	s_mul_i32 s1, s7, s25
	s_mul_hi_u32 s27, s7, s0
	s_mul_i32 s26, s24, s0
	s_add_i32 s1, s27, s1
	s_add_i32 s1, s1, s26
	s_mul_i32 s28, s7, s0
	s_mul_i32 s27, s0, s1
	s_mul_hi_u32 s29, s0, s28
	s_mul_hi_u32 s26, s0, s1
	s_add_u32 s27, s29, s27
	s_addc_u32 s26, 0, s26
	s_mul_hi_u32 s30, s25, s28
	s_mul_i32 s28, s25, s28
	s_add_u32 s27, s27, s28
	s_mul_hi_u32 s29, s25, s1
	s_addc_u32 s26, s26, s30
	s_addc_u32 s27, s29, 0
	s_mul_i32 s1, s25, s1
	s_add_u32 s1, s26, s1
	s_addc_u32 s26, 0, s27
	s_add_u32 s27, s0, s1
	s_cselect_b64 s[0:1], -1, 0
	s_cmp_lg_u64 s[0:1], 0
	s_addc_u32 s25, s25, s26
	s_mul_i32 s0, s7, s25
	s_mul_hi_u32 s1, s7, s27
	s_add_i32 s0, s1, s0
	s_mul_i32 s24, s24, s27
	s_add_i32 s0, s0, s24
	s_mul_i32 s7, s7, s27
	s_mul_hi_u32 s24, s25, s7
	s_mul_i32 s26, s25, s7
	s_mul_i32 s29, s27, s0
	s_mul_hi_u32 s7, s27, s7
	s_mul_hi_u32 s28, s27, s0
	s_add_u32 s7, s7, s29
	s_addc_u32 s28, 0, s28
	s_add_u32 s7, s7, s26
	s_mul_hi_u32 s1, s25, s0
	s_addc_u32 s7, s28, s24
	s_addc_u32 s1, s1, 0
	s_mul_i32 s0, s25, s0
	s_add_u32 s0, s7, s0
	s_addc_u32 s7, 0, s1
	s_add_u32 s24, s27, s0
	s_cselect_b64 s[0:1], -1, 0
	s_cmp_lg_u64 s[0:1], 0
	v_add_co_u32_e32 v2, vcc, v0, v6
	s_addc_u32 s7, s25, s7
	v_xor_b32_e32 v7, v2, v6
	v_mad_u64_u32 v[2:3], s[0:1], v7, s7, 0
	v_mul_hi_u32 v5, v7, s24
	v_addc_co_u32_e32 v4, vcc, v1, v6, vcc
	v_xor_b32_e32 v8, v4, v6
	v_add_co_u32_e32 v9, vcc, v5, v2
	v_addc_co_u32_e32 v10, vcc, 0, v3, vcc
	v_mad_u64_u32 v[2:3], s[0:1], v8, s24, 0
	v_mad_u64_u32 v[4:5], s[0:1], v8, s7, 0
	v_add_co_u32_e32 v2, vcc, v9, v2
	v_addc_co_u32_e32 v2, vcc, v10, v3, vcc
	v_addc_co_u32_e32 v3, vcc, 0, v5, vcc
	v_add_co_u32_e32 v4, vcc, v2, v4
	v_addc_co_u32_e32 v5, vcc, 0, v3, vcc
	v_mul_lo_u32 v9, s11, v4
	v_mul_lo_u32 v10, s10, v5
	v_mad_u64_u32 v[2:3], s[0:1], s10, v4, 0
	v_add3_u32 v3, v3, v10, v9
	v_sub_u32_e32 v9, v8, v3
	v_mov_b32_e32 v10, s11
	v_sub_co_u32_e32 v2, vcc, v7, v2
	v_subb_co_u32_e64 v7, s[0:1], v9, v10, vcc
	v_subrev_co_u32_e64 v9, s[0:1], s10, v2
	v_subbrev_co_u32_e64 v7, s[0:1], 0, v7, s[0:1]
	v_cmp_le_u32_e64 s[0:1], s11, v7
	v_cndmask_b32_e64 v10, 0, -1, s[0:1]
	v_cmp_le_u32_e64 s[0:1], s10, v9
	v_cndmask_b32_e64 v9, 0, -1, s[0:1]
	v_cmp_eq_u32_e64 s[0:1], s11, v7
	v_cndmask_b32_e64 v7, v10, v9, s[0:1]
	v_add_co_u32_e64 v9, s[0:1], 2, v4
	v_subb_co_u32_e32 v3, vcc, v8, v3, vcc
	v_addc_co_u32_e64 v10, s[0:1], 0, v5, s[0:1]
	v_cmp_le_u32_e32 vcc, s11, v3
	v_add_co_u32_e64 v11, s[0:1], 1, v4
	v_cndmask_b32_e64 v8, 0, -1, vcc
	v_cmp_le_u32_e32 vcc, s10, v2
	v_addc_co_u32_e64 v12, s[0:1], 0, v5, s[0:1]
	v_cndmask_b32_e64 v2, 0, -1, vcc
	v_cmp_eq_u32_e32 vcc, s11, v3
	v_cmp_ne_u32_e64 s[0:1], 0, v7
	v_cndmask_b32_e32 v2, v8, v2, vcc
	v_cndmask_b32_e64 v7, v12, v10, s[0:1]
	v_cmp_ne_u32_e32 vcc, 0, v2
	v_cndmask_b32_e64 v3, v11, v9, s[0:1]
	v_cndmask_b32_e32 v2, v5, v7, vcc
	v_cndmask_b32_e32 v3, v4, v3, vcc
	v_xor_b32_e32 v5, s6, v6
	v_xor_b32_e32 v3, v3, v5
	;; [unrolled: 1-line block ×3, first 2 shown]
	v_sub_co_u32_e32 v4, vcc, v3, v5
	v_subb_co_u32_e32 v5, vcc, v2, v5, vcc
.LBB0_3:
	s_andn2_saveexec_b64 s[0:1], s[2:3]
	s_cbranch_execz .LBB0_5
; %bb.4:
	v_cvt_f32_u32_e32 v2, s12
	s_sub_i32 s2, 0, s12
	v_rcp_iflag_f32_e32 v2, v2
	v_mul_f32_e32 v2, 0x4f7ffffe, v2
	v_cvt_u32_f32_e32 v2, v2
	v_mul_lo_u32 v3, s2, v2
	v_mul_hi_u32 v3, v2, v3
	v_add_u32_e32 v2, v2, v3
	v_mul_hi_u32 v2, v0, v2
	v_mul_lo_u32 v3, v2, s12
	v_add_u32_e32 v4, 1, v2
	v_sub_u32_e32 v3, v0, v3
	v_subrev_u32_e32 v5, s12, v3
	v_cmp_le_u32_e32 vcc, s12, v3
	v_cndmask_b32_e32 v3, v3, v5, vcc
	v_cndmask_b32_e32 v2, v2, v4, vcc
	v_add_u32_e32 v4, 1, v2
	v_cmp_le_u32_e32 vcc, s12, v3
	v_cndmask_b32_e32 v4, v2, v4, vcc
	v_mov_b32_e32 v5, 0
.LBB0_5:
	s_or_b64 exec, exec, s[0:1]
	v_or_b32_e32 v3, s49, v5
	v_mov_b32_e32 v2, 0
	v_cmp_ne_u64_e32 vcc, 0, v[2:3]
                                        ; implicit-def: $vgpr2_vgpr3
	s_and_saveexec_b64 s[0:1], vcc
	s_xor_b64 s[2:3], exec, s[0:1]
	s_cbranch_execz .LBB0_7
; %bb.6:
	s_ashr_i32 s6, s49, 31
	s_add_u32 s0, s48, s6
	s_mov_b32 s7, s6
	s_addc_u32 s1, s49, s6
	s_xor_b64 s[10:11], s[0:1], s[6:7]
	v_cvt_f32_u32_e32 v2, s10
	v_cvt_f32_u32_e32 v3, s11
	s_sub_u32 s7, 0, s10
	s_subb_u32 s24, 0, s11
	v_ashrrev_i32_e32 v8, 31, v5
	v_madmk_f32 v2, v3, 0x4f800000, v2
	v_rcp_f32_e32 v2, v2
	v_mul_f32_e32 v2, 0x5f7ffffc, v2
	v_mul_f32_e32 v3, 0x2f800000, v2
	v_trunc_f32_e32 v3, v3
	v_madmk_f32 v2, v3, 0xcf800000, v2
	v_cvt_u32_f32_e32 v3, v3
	v_cvt_u32_f32_e32 v2, v2
	v_readfirstlane_b32 s25, v3
	v_readfirstlane_b32 s0, v2
	s_mul_i32 s1, s7, s25
	s_mul_hi_u32 s27, s7, s0
	s_mul_i32 s26, s24, s0
	s_add_i32 s1, s27, s1
	s_add_i32 s1, s1, s26
	s_mul_i32 s28, s7, s0
	s_mul_i32 s27, s0, s1
	s_mul_hi_u32 s29, s0, s28
	s_mul_hi_u32 s26, s0, s1
	s_add_u32 s27, s29, s27
	s_addc_u32 s26, 0, s26
	s_mul_hi_u32 s30, s25, s28
	s_mul_i32 s28, s25, s28
	s_add_u32 s27, s27, s28
	s_mul_hi_u32 s29, s25, s1
	s_addc_u32 s26, s26, s30
	s_addc_u32 s27, s29, 0
	s_mul_i32 s1, s25, s1
	s_add_u32 s1, s26, s1
	s_addc_u32 s26, 0, s27
	s_add_u32 s27, s0, s1
	s_cselect_b64 s[0:1], -1, 0
	s_cmp_lg_u64 s[0:1], 0
	s_addc_u32 s25, s25, s26
	s_mul_i32 s0, s7, s25
	s_mul_hi_u32 s1, s7, s27
	s_add_i32 s0, s1, s0
	s_mul_i32 s24, s24, s27
	s_add_i32 s0, s0, s24
	s_mul_i32 s7, s7, s27
	s_mul_hi_u32 s24, s25, s7
	s_mul_i32 s26, s25, s7
	s_mul_i32 s29, s27, s0
	s_mul_hi_u32 s7, s27, s7
	s_mul_hi_u32 s28, s27, s0
	s_add_u32 s7, s7, s29
	s_addc_u32 s28, 0, s28
	s_add_u32 s7, s7, s26
	s_mul_hi_u32 s1, s25, s0
	s_addc_u32 s7, s28, s24
	s_addc_u32 s1, s1, 0
	s_mul_i32 s0, s25, s0
	s_add_u32 s0, s7, s0
	s_addc_u32 s7, 0, s1
	s_add_u32 s24, s27, s0
	s_cselect_b64 s[0:1], -1, 0
	s_cmp_lg_u64 s[0:1], 0
	v_add_co_u32_e32 v2, vcc, v4, v8
	s_addc_u32 s7, s25, s7
	v_xor_b32_e32 v9, v2, v8
	v_mad_u64_u32 v[2:3], s[0:1], v9, s7, 0
	v_mul_hi_u32 v7, v9, s24
	v_addc_co_u32_e32 v6, vcc, v5, v8, vcc
	v_xor_b32_e32 v10, v6, v8
	v_add_co_u32_e32 v11, vcc, v7, v2
	v_addc_co_u32_e32 v12, vcc, 0, v3, vcc
	v_mad_u64_u32 v[2:3], s[0:1], v10, s24, 0
	v_mad_u64_u32 v[6:7], s[0:1], v10, s7, 0
	v_add_co_u32_e32 v2, vcc, v11, v2
	v_addc_co_u32_e32 v2, vcc, v12, v3, vcc
	v_addc_co_u32_e32 v3, vcc, 0, v7, vcc
	v_add_co_u32_e32 v6, vcc, v2, v6
	v_addc_co_u32_e32 v7, vcc, 0, v3, vcc
	v_mul_lo_u32 v11, s11, v6
	v_mul_lo_u32 v12, s10, v7
	v_mad_u64_u32 v[2:3], s[0:1], s10, v6, 0
	v_add3_u32 v3, v3, v12, v11
	v_sub_u32_e32 v11, v10, v3
	v_mov_b32_e32 v12, s11
	v_sub_co_u32_e32 v2, vcc, v9, v2
	v_subb_co_u32_e64 v9, s[0:1], v11, v12, vcc
	v_subrev_co_u32_e64 v11, s[0:1], s10, v2
	v_subbrev_co_u32_e64 v9, s[0:1], 0, v9, s[0:1]
	v_cmp_le_u32_e64 s[0:1], s11, v9
	v_cndmask_b32_e64 v12, 0, -1, s[0:1]
	v_cmp_le_u32_e64 s[0:1], s10, v11
	v_cndmask_b32_e64 v11, 0, -1, s[0:1]
	v_cmp_eq_u32_e64 s[0:1], s11, v9
	v_cndmask_b32_e64 v9, v12, v11, s[0:1]
	v_add_co_u32_e64 v11, s[0:1], 2, v6
	v_subb_co_u32_e32 v3, vcc, v10, v3, vcc
	v_addc_co_u32_e64 v12, s[0:1], 0, v7, s[0:1]
	v_cmp_le_u32_e32 vcc, s11, v3
	v_add_co_u32_e64 v13, s[0:1], 1, v6
	v_cndmask_b32_e64 v10, 0, -1, vcc
	v_cmp_le_u32_e32 vcc, s10, v2
	v_addc_co_u32_e64 v14, s[0:1], 0, v7, s[0:1]
	v_cndmask_b32_e64 v2, 0, -1, vcc
	v_cmp_eq_u32_e32 vcc, s11, v3
	v_cmp_ne_u32_e64 s[0:1], 0, v9
	v_cndmask_b32_e32 v2, v10, v2, vcc
	v_cndmask_b32_e64 v9, v14, v12, s[0:1]
	v_cmp_ne_u32_e32 vcc, 0, v2
	v_cndmask_b32_e64 v3, v13, v11, s[0:1]
	v_cndmask_b32_e32 v2, v7, v9, vcc
	v_cndmask_b32_e32 v3, v6, v3, vcc
	v_xor_b32_e32 v6, s6, v8
	v_xor_b32_e32 v7, v2, v6
	;; [unrolled: 1-line block ×3, first 2 shown]
	v_sub_co_u32_e32 v2, vcc, v2, v6
	v_subb_co_u32_e32 v3, vcc, v7, v6, vcc
.LBB0_7:
	s_andn2_saveexec_b64 s[0:1], s[2:3]
	s_cbranch_execz .LBB0_9
; %bb.8:
	v_cvt_f32_u32_e32 v2, s48
	s_sub_i32 s2, 0, s48
	v_rcp_iflag_f32_e32 v2, v2
	v_mul_f32_e32 v2, 0x4f7ffffe, v2
	v_cvt_u32_f32_e32 v2, v2
	v_mul_lo_u32 v3, s2, v2
	v_mul_hi_u32 v3, v2, v3
	v_add_u32_e32 v2, v2, v3
	v_mul_hi_u32 v2, v4, v2
	v_mul_lo_u32 v3, v2, s48
	v_add_u32_e32 v6, 1, v2
	v_sub_u32_e32 v3, v4, v3
	v_subrev_u32_e32 v7, s48, v3
	v_cmp_le_u32_e32 vcc, s48, v3
	v_cndmask_b32_e32 v3, v3, v7, vcc
	v_cndmask_b32_e32 v2, v2, v6, vcc
	v_add_u32_e32 v6, 1, v2
	v_cmp_le_u32_e32 vcc, s48, v3
	v_cndmask_b32_e32 v2, v2, v6, vcc
	v_mov_b32_e32 v3, 0
.LBB0_9:
	s_or_b64 exec, exec, s[0:1]
	v_mul_lo_u32 v8, v3, s48
	v_mul_lo_u32 v9, v2, s49
	v_mad_u64_u32 v[6:7], s[0:1], v2, s48, 0
	v_add3_u32 v7, v7, v9, v8
	v_mul_lo_u32 v12, v7, s50
	v_mul_lo_u32 v13, v6, s51
	v_mad_u64_u32 v[10:11], s[0:1], v6, s50, 0
	v_sub_co_u32_e32 v8, vcc, v4, v6
	v_add3_u32 v11, v11, v13, v12
	v_subb_co_u32_e32 v9, vcc, v5, v7, vcc
	v_lshlrev_b64 v[6:7], 2, v[10:11]
	v_mov_b32_e32 v10, s45
	v_add_co_u32_e32 v11, vcc, s44, v6
	v_addc_co_u32_e32 v12, vcc, v10, v7, vcc
	v_lshlrev_b64 v[6:7], 2, v[8:9]
	v_add_co_u32_e32 v10, vcc, v11, v6
	v_addc_co_u32_e32 v11, vcc, v12, v7, vcc
	global_load_dword v32, v[10:11], off
	s_waitcnt vmcnt(0)
	v_cmp_ne_u32_e32 vcc, 0, v32
	s_and_b64 exec, exec, vcc
	s_cbranch_execz .LBB0_54
; %bb.10:
	s_add_u32 s0, s48, 1
	s_addc_u32 s1, s49, 0
	s_mul_i32 s1, s22, s1
	s_mul_hi_u32 s2, s22, s0
	s_add_i32 s1, s2, s1
	s_mul_i32 s2, s23, s0
	s_add_i32 s1, s1, s2
	s_mul_i32 s0, s22, s0
	v_mul_lo_u32 v12, s1, v2
	v_mul_lo_u32 v13, s0, v3
	v_mad_u64_u32 v[10:11], s[0:1], s0, v2, 0
	v_add3_u32 v11, v11, v13, v12
	v_lshlrev_b64 v[10:11], 2, v[10:11]
	v_mov_b32_e32 v12, s47
	v_add_co_u32_e32 v10, vcc, s46, v10
	v_addc_co_u32_e32 v11, vcc, v12, v11, vcc
	v_add_co_u32_e32 v6, vcc, v10, v6
	v_addc_co_u32_e32 v7, vcc, v11, v7, vcc
	global_load_dwordx2 v[6:7], v[6:7], off
	v_mul_lo_u32 v10, v5, s12
	v_mul_lo_u32 v11, v4, s13
	v_mad_u64_u32 v[4:5], s[0:1], v4, s12, 0
	v_add3_u32 v5, v5, v11, v10
	v_mad_u64_u32 v[10:11], s[0:1], v2, s20, v[8:9]
	v_mul_lo_u32 v8, v2, s21
	v_mul_lo_u32 v9, v3, s20
	v_sub_co_u32_e32 v16, vcc, v0, v4
	s_load_dword s20, s[4:5], 0x0
	v_subb_co_u32_e32 v17, vcc, v1, v5, vcc
	v_add3_u32 v11, v9, v11, v8
	v_mad_u64_u32 v[8:9], s[0:1], v10, s18, v[16:17]
	v_mul_lo_u32 v10, v10, s19
	v_mul_lo_u32 v11, v11, s18
	s_waitcnt lgkmcnt(0)
	s_and_b32 s0, s20, -3
	s_cmp_lg_u32 s0, 0
	v_add3_u32 v9, v11, v9, v10
	s_cbranch_scc0 .LBB0_25
; %bb.11:
	s_cmp_lt_i32 s20, 3
	s_mov_b64 s[0:1], -1
	s_cbranch_scc1 .LBB0_34
; %bb.12:
	s_cmp_lt_i32 s20, 4
	s_cbranch_scc1 .LBB0_28
; %bb.13:
	s_cmp_eq_u32 s20, 4
	s_cbranch_scc0 .LBB0_27
; %bb.14:
	s_waitcnt vmcnt(0)
	v_cmp_lt_i32_e32 vcc, v6, v7
	s_and_saveexec_b64 s[0:1], vcc
	s_cbranch_execz .LBB0_26
; %bb.15:
	v_lshlrev_b64 v[12:13], 3, v[8:9]
	v_mov_b32_e32 v11, s39
	v_add_co_u32_e32 v10, vcc, s38, v12
	v_addc_co_u32_e32 v11, vcc, v11, v13, vcc
	v_mov_b32_e32 v14, s41
	v_add_co_u32_e32 v12, vcc, s40, v12
	v_addc_co_u32_e32 v13, vcc, v14, v13, vcc
	global_load_dwordx2 v[18:19], v[10:11], off
	global_load_dwordx2 v[20:21], v[12:13], off
	v_mul_lo_u32 v14, s17, v2
	v_mul_lo_u32 v30, s16, v3
	v_mad_u64_u32 v[22:23], s[2:3], s16, v2, 0
	v_ashrrev_i32_e32 v13, 31, v6
	v_mov_b32_e32 v12, v6
	v_add3_u32 v23, v23, v30, v14
	v_lshlrev_b64 v[28:29], 3, v[12:13]
	v_lshlrev_b64 v[30:31], 3, v[22:23]
	;; [unrolled: 1-line block ×3, first 2 shown]
	v_add_co_u32_e32 v14, vcc, v30, v28
	v_mul_lo_u32 v33, v22, s15
	v_mad_u64_u32 v[16:17], s[2:3], v22, s14, v[16:17]
	v_addc_co_u32_e32 v22, vcc, v31, v29, vcc
	v_mul_lo_u32 v34, v23, s14
	v_mul_lo_u32 v28, s14, v22
	v_mad_u64_u32 v[22:23], s[2:3], s14, v14, v[24:25]
	v_mul_lo_u32 v24, s15, v14
	v_lshlrev_b64 v[26:27], 3, v[4:5]
	v_mov_b32_e32 v25, s43
	v_sub_co_u32_e32 v22, vcc, v22, v26
	v_add3_u32 v23, v24, v23, v28
	v_subb_co_u32_e32 v23, vcc, v23, v27, vcc
	v_ashrrev_i32_e32 v15, 31, v7
	v_mov_b32_e32 v14, v7
	v_add3_u32 v17, v34, v17, v33
	s_lshl_b64 s[2:3], s[14:15], 3
	s_mov_b64 s[4:5], 0
	s_mov_b64 s[6:7], 0
	s_waitcnt vmcnt(0)
	v_mul_f64 v[18:19], v[18:19], v[20:21]
	v_add_co_u32_e32 v20, vcc, s42, v22
	v_addc_co_u32_e32 v21, vcc, v25, v23, vcc
	v_mov_b32_e32 v23, v13
	v_mov_b32_e32 v22, v12
	s_branch .LBB0_18
.LBB0_16:                               ;   in Loop: Header=BB0_18 Depth=1
	s_or_b64 exec, exec, s[12:13]
	global_load_dwordx2 v[28:29], v[10:11], off
	s_waitcnt vmcnt(0)
	v_mul_f64 v[26:27], v[26:27], v[28:29]
.LBB0_17:                               ;   in Loop: Header=BB0_18 Depth=1
	s_or_b64 exec, exec, s[10:11]
	v_mov_b32_e32 v28, s37
	v_add_co_u32_e32 v24, vcc, s36, v24
	v_addc_co_u32_e32 v25, vcc, v28, v25, vcc
	v_add_co_u32_e32 v22, vcc, 1, v22
	v_addc_co_u32_e32 v23, vcc, 0, v23, vcc
	s_add_u32 s6, s6, 1
	v_cmp_ge_i64_e32 vcc, v[22:23], v[14:15]
	s_addc_u32 s7, s7, 0
	s_or_b64 s[4:5], vcc, s[4:5]
	global_store_dwordx2 v[24:25], v[26:27], off
	s_andn2_b64 exec, exec, s[4:5]
	s_cbranch_execz .LBB0_26
.LBB0_18:                               ; =>This Loop Header: Depth=1
                                        ;     Child Loop BB0_23 Depth 2
	v_mad_u64_u32 v[24:25], s[10:11], v22, s14, v[16:17]
	v_mul_lo_u32 v26, v22, s15
	v_mul_lo_u32 v27, v23, s14
	v_add3_u32 v25, v27, v25, v26
	v_lshlrev_b64 v[24:25], 3, v[24:25]
	v_mov_b32_e32 v27, s43
	v_add_co_u32_e32 v26, vcc, s42, v24
	v_addc_co_u32_e32 v27, vcc, v27, v25, vcc
	global_load_dwordx2 v[28:29], v[26:27], off
                                        ; implicit-def: $vgpr26_vgpr27
	s_waitcnt vmcnt(0)
	v_cmp_lg_f64_e32 vcc, 0, v[28:29]
	s_and_saveexec_b64 s[10:11], vcc
	s_xor_b64 s[10:11], exec, s[10:11]
	s_cbranch_execz .LBB0_20
; %bb.19:                               ;   in Loop: Header=BB0_18 Depth=1
	v_div_scale_f64 v[26:27], s[12:13], v[28:29], v[28:29], v[18:19]
	v_div_scale_f64 v[35:36], vcc, v[18:19], v[28:29], v[18:19]
	v_rcp_f64_e32 v[30:31], v[26:27]
	v_fma_f64 v[33:34], -v[26:27], v[30:31], 1.0
	v_fma_f64 v[30:31], v[30:31], v[33:34], v[30:31]
	v_fma_f64 v[33:34], -v[26:27], v[30:31], 1.0
	v_fma_f64 v[30:31], v[30:31], v[33:34], v[30:31]
	v_mul_f64 v[33:34], v[35:36], v[30:31]
	v_fma_f64 v[26:27], -v[26:27], v[33:34], v[35:36]
	v_div_fmas_f64 v[26:27], v[26:27], v[30:31], v[33:34]
	v_div_fixup_f64 v[26:27], v[26:27], v[28:29], v[18:19]
.LBB0_20:                               ;   in Loop: Header=BB0_18 Depth=1
	s_andn2_saveexec_b64 s[10:11], s[10:11]
	s_cbranch_execz .LBB0_17
; %bb.21:                               ;   in Loop: Header=BB0_18 Depth=1
	v_mov_b32_e32 v27, s9
	v_mov_b32_e32 v29, v21
	;; [unrolled: 1-line block ×3, first 2 shown]
	s_mov_b64 s[12:13], 0
	v_mov_b32_e32 v26, s8
	s_mov_b64 s[18:19], s[6:7]
	v_mov_b32_e32 v28, v20
	v_mov_b32_e32 v30, v12
	s_branch .LBB0_23
.LBB0_22:                               ;   in Loop: Header=BB0_23 Depth=2
	v_add_co_u32_e32 v30, vcc, 1, v30
	v_addc_co_u32_e32 v31, vcc, 0, v31, vcc
	s_add_u32 s18, s18, -1
	v_cmp_ge_i64_e32 vcc, v[30:31], v[14:15]
	s_addc_u32 s19, s19, -1
	v_mov_b32_e32 v33, s3
	s_or_b64 s[12:13], vcc, s[12:13]
	v_add_co_u32_e32 v28, vcc, s2, v28
	v_addc_co_u32_e32 v29, vcc, v29, v33, vcc
	s_andn2_b64 exec, exec, s[12:13]
	s_cbranch_execz .LBB0_16
.LBB0_23:                               ;   Parent Loop BB0_18 Depth=1
                                        ; =>  This Inner Loop Header: Depth=2
	s_cmp_eq_u64 s[18:19], 0
	s_cbranch_scc1 .LBB0_22
; %bb.24:                               ;   in Loop: Header=BB0_23 Depth=2
	global_load_dwordx2 v[33:34], v[28:29], off
	s_waitcnt vmcnt(0)
	v_mul_f64 v[26:27], v[26:27], v[33:34]
	s_branch .LBB0_22
.LBB0_25:
	s_cbranch_execnz .LBB0_41
	s_branch .LBB0_54
.LBB0_26:
	s_or_b64 exec, exec, s[0:1]
.LBB0_27:
	s_mov_b64 s[0:1], 0
.LBB0_28:
	s_andn2_b64 vcc, exec, s[0:1]
	s_cbranch_vccnz .LBB0_33
; %bb.29:
	s_waitcnt vmcnt(0)
	v_cmp_lt_i32_e32 vcc, v6, v7
	s_and_saveexec_b64 s[2:3], vcc
	s_cbranch_execz .LBB0_32
; %bb.30:
	v_lshlrev_b64 v[10:11], 3, v[8:9]
	v_mov_b32_e32 v12, s39
	v_add_co_u32_e32 v10, vcc, s38, v10
	v_addc_co_u32_e32 v11, vcc, v12, v11, vcc
	global_load_dwordx2 v[10:11], v[10:11], off
	v_mul_lo_u32 v16, v3, s16
	v_mul_lo_u32 v17, v2, s17
	v_mad_u64_u32 v[14:15], s[0:1], v2, s16, 0
	v_ashrrev_i32_e32 v13, 31, v6
	v_mov_b32_e32 v12, v6
	v_add3_u32 v15, v15, v17, v16
	v_lshlrev_b64 v[14:15], 3, v[14:15]
	v_lshlrev_b64 v[16:17], 3, v[12:13]
	s_lshl_b64 s[4:5], s[14:15], 3
	v_add_co_u32_e32 v16, vcc, v14, v16
	v_addc_co_u32_e32 v17, vcc, v15, v17, vcc
	v_lshlrev_b64 v[14:15], 3, v[0:1]
	v_mul_lo_u32 v18, s14, v17
	v_mul_lo_u32 v19, s15, v16
	v_mad_u64_u32 v[16:17], s[0:1], s14, v16, v[14:15]
	v_ashrrev_i32_e32 v15, 31, v7
	v_mov_b32_e32 v14, v7
	v_add3_u32 v19, v19, v17, v18
	v_lshlrev_b64 v[17:18], 3, v[4:5]
	s_mov_b64 s[6:7], 0
	v_sub_co_u32_e32 v16, vcc, v16, v17
	v_subb_co_u32_e32 v17, vcc, v19, v18, vcc
	v_mov_b32_e32 v18, s37
	v_add_co_u32_e32 v16, vcc, s36, v16
	v_addc_co_u32_e32 v17, vcc, v18, v17, vcc
	s_waitcnt vmcnt(0)
.LBB0_31:                               ; =>This Inner Loop Header: Depth=1
	v_add_co_u32_e32 v12, vcc, 1, v12
	v_addc_co_u32_e32 v13, vcc, 0, v13, vcc
	v_cmp_ge_i64_e64 s[0:1], v[12:13], v[14:15]
	global_store_dwordx2 v[16:17], v[10:11], off
	v_mov_b32_e32 v18, s5
	v_add_co_u32_e32 v16, vcc, s4, v16
	s_or_b64 s[6:7], s[0:1], s[6:7]
	v_addc_co_u32_e32 v17, vcc, v17, v18, vcc
	s_andn2_b64 exec, exec, s[6:7]
	s_cbranch_execnz .LBB0_31
.LBB0_32:
	s_or_b64 exec, exec, s[2:3]
.LBB0_33:
	s_mov_b64 s[0:1], 0
.LBB0_34:
	s_andn2_b64 vcc, exec, s[0:1]
	s_cbranch_vccnz .LBB0_40
; %bb.35:
	s_cmp_lg_u32 s20, 1
	s_cbranch_scc1 .LBB0_40
; %bb.36:
	s_waitcnt vmcnt(0)
	v_cmp_lt_i32_e32 vcc, v6, v7
	s_and_saveexec_b64 s[2:3], vcc
	s_cbranch_execz .LBB0_39
; %bb.37:
	v_lshlrev_b64 v[10:11], 3, v[8:9]
	v_mov_b32_e32 v12, s39
	v_add_co_u32_e32 v10, vcc, s38, v10
	v_addc_co_u32_e32 v11, vcc, v12, v11, vcc
	global_load_dwordx2 v[14:15], v[10:11], off
	v_cvt_f64_i32_e32 v[16:17], v32
	v_mul_lo_u32 v26, v3, s16
	v_mul_lo_u32 v27, v2, s17
	v_mad_u64_u32 v[22:23], s[0:1], v2, s16, 0
	v_lshlrev_b64 v[24:25], 3, v[0:1]
	s_lshl_b64 s[4:5], s[14:15], 3
	v_add3_u32 v23, v23, v27, v26
	s_mov_b64 s[6:7], 0
	s_waitcnt vmcnt(0)
	v_div_scale_f64 v[10:11], s[0:1], v[16:17], v[16:17], v[14:15]
	v_rcp_f64_e32 v[12:13], v[10:11]
	v_fma_f64 v[18:19], -v[10:11], v[12:13], 1.0
	v_fma_f64 v[12:13], v[12:13], v[18:19], v[12:13]
	v_div_scale_f64 v[18:19], vcc, v[14:15], v[16:17], v[14:15]
	v_fma_f64 v[20:21], -v[10:11], v[12:13], 1.0
	v_fma_f64 v[12:13], v[12:13], v[20:21], v[12:13]
	v_mul_f64 v[20:21], v[18:19], v[12:13]
	v_fma_f64 v[18:19], -v[10:11], v[20:21], v[18:19]
	v_ashrrev_i32_e32 v11, 31, v6
	v_mov_b32_e32 v10, v6
	v_div_fmas_f64 v[18:19], v[18:19], v[12:13], v[20:21]
	v_lshlrev_b64 v[12:13], 3, v[10:11]
	v_lshlrev_b64 v[20:21], 3, v[22:23]
	;; [unrolled: 1-line block ×3, first 2 shown]
	v_add_co_u32_e32 v12, vcc, v20, v12
	v_addc_co_u32_e32 v13, vcc, v21, v13, vcc
	v_mul_lo_u32 v26, s14, v13
	v_mad_u64_u32 v[20:21], s[0:1], s14, v12, v[24:25]
	v_mul_lo_u32 v24, s15, v12
	v_ashrrev_i32_e32 v13, 31, v7
	v_mov_b32_e32 v12, v7
	v_add3_u32 v21, v24, v21, v26
	v_div_fixup_f64 v[14:15], v[18:19], v[16:17], v[14:15]
	v_sub_co_u32_e32 v16, vcc, v20, v22
	v_subb_co_u32_e32 v17, vcc, v21, v23, vcc
	v_mov_b32_e32 v18, s37
	v_add_co_u32_e32 v16, vcc, s36, v16
	v_addc_co_u32_e32 v17, vcc, v18, v17, vcc
.LBB0_38:                               ; =>This Inner Loop Header: Depth=1
	v_add_co_u32_e32 v10, vcc, 1, v10
	v_addc_co_u32_e32 v11, vcc, 0, v11, vcc
	v_cmp_ge_i64_e64 s[0:1], v[10:11], v[12:13]
	global_store_dwordx2 v[16:17], v[14:15], off
	v_mov_b32_e32 v18, s5
	v_add_co_u32_e32 v16, vcc, s4, v16
	s_or_b64 s[6:7], s[0:1], s[6:7]
	v_addc_co_u32_e32 v17, vcc, v17, v18, vcc
	s_andn2_b64 exec, exec, s[6:7]
	s_cbranch_execnz .LBB0_38
.LBB0_39:
	s_or_b64 exec, exec, s[2:3]
.LBB0_40:
	s_branch .LBB0_54
.LBB0_41:
	v_mov_b32_e32 v14, 0
	s_waitcnt vmcnt(0)
	v_ashrrev_i32_e32 v11, 31, v6
	v_mov_b32_e32 v10, v6
	v_ashrrev_i32_e32 v13, 31, v7
	v_mov_b32_e32 v12, v7
	v_cmp_ge_i32_e32 vcc, v6, v7
	v_mov_b32_e32 v15, 0
	v_cmp_lt_i32_e64 s[0:1], v6, v7
	s_and_saveexec_b64 s[2:3], s[0:1]
	s_cbranch_execz .LBB0_49
; %bb.42:
	v_mad_u64_u32 v[14:15], s[0:1], v2, s16, v[10:11]
	v_mul_lo_u32 v16, v2, s17
	v_mul_lo_u32 v17, v3, s16
	v_lshlrev_b64 v[8:9], 3, v[8:9]
	v_mov_b32_e32 v7, s41
	v_add_co_u32_e64 v6, s[0:1], s40, v8
	v_add3_u32 v15, v17, v15, v16
	v_addc_co_u32_e64 v7, s[0:1], v7, v9, s[0:1]
	v_mul_lo_u32 v16, s15, v14
	v_mul_lo_u32 v17, s14, v15
	v_mad_u64_u32 v[14:15], s[0:1], s14, v14, v[0:1]
	v_mov_b32_e32 v18, s39
	v_add_co_u32_e64 v8, s[0:1], s38, v8
	v_addc_co_u32_e64 v9, s[0:1], v18, v9, s[0:1]
	v_add3_u32 v15, v16, v15, v17
	v_sub_co_u32_e64 v14, s[0:1], v14, v4
	v_subb_co_u32_e64 v15, s[0:1], v15, v5, s[0:1]
	v_lshlrev_b64 v[16:17], 3, v[14:15]
	v_mov_b32_e32 v14, 0
	v_mov_b32_e32 v19, v11
	s_lshl_b64 s[6:7], s[14:15], 3
	s_mov_b64 s[4:5], 0
	v_mov_b32_e32 v15, 0
	v_mov_b32_e32 v18, v10
	s_branch .LBB0_44
.LBB0_43:                               ;   in Loop: Header=BB0_44 Depth=1
	s_or_b64 exec, exec, s[8:9]
	v_add_co_u32_e64 v18, s[0:1], 1, v18
	v_addc_co_u32_e64 v19, s[0:1], 0, v19, s[0:1]
	v_cmp_ge_i64_e64 s[0:1], v[18:19], v[12:13]
	v_mov_b32_e32 v20, s7
	s_or_b64 s[4:5], s[0:1], s[4:5]
	v_add_co_u32_e64 v16, s[0:1], s6, v16
	v_addc_co_u32_e64 v17, s[0:1], v17, v20, s[0:1]
	s_andn2_b64 exec, exec, s[4:5]
	s_cbranch_execz .LBB0_48
.LBB0_44:                               ; =>This Inner Loop Header: Depth=1
	v_mov_b32_e32 v21, s43
	v_add_co_u32_e64 v20, s[0:1], s42, v16
	v_addc_co_u32_e64 v21, s[0:1], v21, v17, s[0:1]
	global_load_dwordx2 v[20:21], v[20:21], off
	s_waitcnt vmcnt(0)
	v_cmp_u_f64_e64 s[10:11], v[20:21], v[20:21]
	v_cmp_o_f64_e64 s[0:1], v[20:21], v[20:21]
	s_and_saveexec_b64 s[8:9], s[0:1]
	s_cbranch_execz .LBB0_46
; %bb.45:                               ;   in Loop: Header=BB0_44 Depth=1
	global_load_dwordx2 v[22:23], v[6:7], off
	s_andn2_b64 s[10:11], s[10:11], exec
	s_waitcnt vmcnt(0)
	v_cmp_eq_f64_e64 s[0:1], v[20:21], v[22:23]
	s_and_b64 s[0:1], s[0:1], exec
	s_or_b64 s[10:11], s[10:11], s[0:1]
.LBB0_46:                               ;   in Loop: Header=BB0_44 Depth=1
	s_or_b64 exec, exec, s[8:9]
	s_and_saveexec_b64 s[8:9], s[10:11]
	s_cbranch_execz .LBB0_43
; %bb.47:                               ;   in Loop: Header=BB0_44 Depth=1
	global_load_dwordx2 v[20:21], v[8:9], off
	v_mov_b32_e32 v23, s37
	v_add_co_u32_e64 v22, s[0:1], s36, v16
	v_addc_co_u32_e64 v23, s[0:1], v23, v17, s[0:1]
	v_add_co_u32_e64 v14, s[0:1], 1, v14
	v_addc_co_u32_e64 v15, s[0:1], 0, v15, s[0:1]
	s_waitcnt vmcnt(0)
	global_store_dwordx2 v[22:23], v[20:21], off
	s_branch .LBB0_43
.LBB0_48:
	s_or_b64 exec, exec, s[4:5]
.LBB0_49:
	s_or_b64 exec, exec, s[2:3]
	v_cmp_lt_i64_e64 s[0:1], 1, v[14:15]
	s_xor_b64 s[2:3], vcc, -1
	s_and_b64 s[0:1], s[0:1], s[2:3]
	s_and_b64 exec, exec, s[0:1]
	s_cbranch_execz .LBB0_54
; %bb.50:
	v_cvt_f64_u32_e32 v[6:7], v15
	v_mul_lo_u32 v15, v3, s16
	v_mul_lo_u32 v16, v2, s17
	v_mad_u64_u32 v[2:3], s[0:1], v2, s16, 0
	v_ldexp_f64 v[6:7], v[6:7], 32
	v_cvt_f64_u32_e32 v[8:9], v14
	v_add3_u32 v3, v3, v16, v15
	v_lshlrev_b64 v[2:3], 3, v[2:3]
	v_lshlrev_b64 v[14:15], 3, v[10:11]
	;; [unrolled: 1-line block ×3, first 2 shown]
	v_add_co_u32_e32 v2, vcc, v2, v14
	v_addc_co_u32_e32 v3, vcc, v3, v15, vcc
	v_mul_lo_u32 v14, s14, v3
	v_mul_lo_u32 v15, s15, v2
	v_mad_u64_u32 v[2:3], s[0:1], s14, v2, v[0:1]
	v_add_f64 v[0:1], v[6:7], v[8:9]
	s_lshl_b64 s[0:1], s[14:15], 3
	v_add3_u32 v6, v15, v3, v14
	v_lshlrev_b64 v[3:4], 3, v[4:5]
	s_mov_b64 s[2:3], 0
	v_sub_co_u32_e32 v2, vcc, v2, v3
	v_subb_co_u32_e32 v3, vcc, v6, v4, vcc
	v_mov_b32_e32 v4, s37
	v_add_co_u32_e32 v2, vcc, s36, v2
	v_addc_co_u32_e32 v3, vcc, v4, v3, vcc
	s_branch .LBB0_52
.LBB0_51:                               ;   in Loop: Header=BB0_52 Depth=1
	s_or_b64 exec, exec, s[4:5]
	v_add_co_u32_e32 v10, vcc, 1, v10
	v_addc_co_u32_e32 v11, vcc, 0, v11, vcc
	v_cmp_ge_i64_e32 vcc, v[10:11], v[12:13]
	v_mov_b32_e32 v4, s1
	s_or_b64 s[2:3], vcc, s[2:3]
	v_add_co_u32_e32 v2, vcc, s0, v2
	v_addc_co_u32_e32 v3, vcc, v3, v4, vcc
	s_andn2_b64 exec, exec, s[2:3]
	s_cbranch_execz .LBB0_54
.LBB0_52:                               ; =>This Inner Loop Header: Depth=1
	global_load_dwordx2 v[4:5], v[2:3], off
	s_waitcnt vmcnt(0)
	v_cmp_lt_f64_e32 vcc, 0, v[4:5]
	s_and_saveexec_b64 s[4:5], vcc
	s_cbranch_execz .LBB0_51
; %bb.53:                               ;   in Loop: Header=BB0_52 Depth=1
	v_div_scale_f64 v[6:7], s[6:7], v[0:1], v[0:1], v[4:5]
	v_div_scale_f64 v[16:17], vcc, v[4:5], v[0:1], v[4:5]
	v_rcp_f64_e32 v[8:9], v[6:7]
	v_fma_f64 v[14:15], -v[6:7], v[8:9], 1.0
	v_fma_f64 v[8:9], v[8:9], v[14:15], v[8:9]
	v_fma_f64 v[14:15], -v[6:7], v[8:9], 1.0
	v_fma_f64 v[8:9], v[8:9], v[14:15], v[8:9]
	v_mul_f64 v[14:15], v[16:17], v[8:9]
	v_fma_f64 v[6:7], -v[6:7], v[14:15], v[16:17]
	v_div_fmas_f64 v[6:7], v[6:7], v[8:9], v[14:15]
	v_div_fixup_f64 v[4:5], v[6:7], v[0:1], v[4:5]
	global_store_dwordx2 v[2:3], v[4:5], off
	s_branch .LBB0_51
.LBB0_54:
	s_endpgm
	.section	.rodata,"a",@progbits
	.p2align	6, 0x0
	.amdhsa_kernel _ZN2at6native12_GLOBAL__N_130segment_reduce_backward_kernelIdiEEvNS0_13ReductionTypeEPT_PKS4_S7_S7_PKT0_SA_llS4_lllllll
		.amdhsa_group_segment_fixed_size 0
		.amdhsa_private_segment_fixed_size 0
		.amdhsa_kernarg_size 392
		.amdhsa_user_sgpr_count 6
		.amdhsa_user_sgpr_private_segment_buffer 1
		.amdhsa_user_sgpr_dispatch_ptr 0
		.amdhsa_user_sgpr_queue_ptr 0
		.amdhsa_user_sgpr_kernarg_segment_ptr 1
		.amdhsa_user_sgpr_dispatch_id 0
		.amdhsa_user_sgpr_flat_scratch_init 0
		.amdhsa_user_sgpr_private_segment_size 0
		.amdhsa_uses_dynamic_stack 0
		.amdhsa_system_sgpr_private_segment_wavefront_offset 0
		.amdhsa_system_sgpr_workgroup_id_x 1
		.amdhsa_system_sgpr_workgroup_id_y 0
		.amdhsa_system_sgpr_workgroup_id_z 0
		.amdhsa_system_sgpr_workgroup_info 0
		.amdhsa_system_vgpr_workitem_id 0
		.amdhsa_next_free_vgpr 37
		.amdhsa_next_free_sgpr 52
		.amdhsa_reserve_vcc 1
		.amdhsa_reserve_flat_scratch 0
		.amdhsa_float_round_mode_32 0
		.amdhsa_float_round_mode_16_64 0
		.amdhsa_float_denorm_mode_32 3
		.amdhsa_float_denorm_mode_16_64 3
		.amdhsa_dx10_clamp 1
		.amdhsa_ieee_mode 1
		.amdhsa_fp16_overflow 0
		.amdhsa_exception_fp_ieee_invalid_op 0
		.amdhsa_exception_fp_denorm_src 0
		.amdhsa_exception_fp_ieee_div_zero 0
		.amdhsa_exception_fp_ieee_overflow 0
		.amdhsa_exception_fp_ieee_underflow 0
		.amdhsa_exception_fp_ieee_inexact 0
		.amdhsa_exception_int_div_zero 0
	.end_amdhsa_kernel
	.section	.text._ZN2at6native12_GLOBAL__N_130segment_reduce_backward_kernelIdiEEvNS0_13ReductionTypeEPT_PKS4_S7_S7_PKT0_SA_llS4_lllllll,"axG",@progbits,_ZN2at6native12_GLOBAL__N_130segment_reduce_backward_kernelIdiEEvNS0_13ReductionTypeEPT_PKS4_S7_S7_PKT0_SA_llS4_lllllll,comdat
.Lfunc_end0:
	.size	_ZN2at6native12_GLOBAL__N_130segment_reduce_backward_kernelIdiEEvNS0_13ReductionTypeEPT_PKS4_S7_S7_PKT0_SA_llS4_lllllll, .Lfunc_end0-_ZN2at6native12_GLOBAL__N_130segment_reduce_backward_kernelIdiEEvNS0_13ReductionTypeEPT_PKS4_S7_S7_PKT0_SA_llS4_lllllll
                                        ; -- End function
	.set _ZN2at6native12_GLOBAL__N_130segment_reduce_backward_kernelIdiEEvNS0_13ReductionTypeEPT_PKS4_S7_S7_PKT0_SA_llS4_lllllll.num_vgpr, 37
	.set _ZN2at6native12_GLOBAL__N_130segment_reduce_backward_kernelIdiEEvNS0_13ReductionTypeEPT_PKS4_S7_S7_PKT0_SA_llS4_lllllll.num_agpr, 0
	.set _ZN2at6native12_GLOBAL__N_130segment_reduce_backward_kernelIdiEEvNS0_13ReductionTypeEPT_PKS4_S7_S7_PKT0_SA_llS4_lllllll.numbered_sgpr, 52
	.set _ZN2at6native12_GLOBAL__N_130segment_reduce_backward_kernelIdiEEvNS0_13ReductionTypeEPT_PKS4_S7_S7_PKT0_SA_llS4_lllllll.num_named_barrier, 0
	.set _ZN2at6native12_GLOBAL__N_130segment_reduce_backward_kernelIdiEEvNS0_13ReductionTypeEPT_PKS4_S7_S7_PKT0_SA_llS4_lllllll.private_seg_size, 0
	.set _ZN2at6native12_GLOBAL__N_130segment_reduce_backward_kernelIdiEEvNS0_13ReductionTypeEPT_PKS4_S7_S7_PKT0_SA_llS4_lllllll.uses_vcc, 1
	.set _ZN2at6native12_GLOBAL__N_130segment_reduce_backward_kernelIdiEEvNS0_13ReductionTypeEPT_PKS4_S7_S7_PKT0_SA_llS4_lllllll.uses_flat_scratch, 0
	.set _ZN2at6native12_GLOBAL__N_130segment_reduce_backward_kernelIdiEEvNS0_13ReductionTypeEPT_PKS4_S7_S7_PKT0_SA_llS4_lllllll.has_dyn_sized_stack, 0
	.set _ZN2at6native12_GLOBAL__N_130segment_reduce_backward_kernelIdiEEvNS0_13ReductionTypeEPT_PKS4_S7_S7_PKT0_SA_llS4_lllllll.has_recursion, 0
	.set _ZN2at6native12_GLOBAL__N_130segment_reduce_backward_kernelIdiEEvNS0_13ReductionTypeEPT_PKS4_S7_S7_PKT0_SA_llS4_lllllll.has_indirect_call, 0
	.section	.AMDGPU.csdata,"",@progbits
; Kernel info:
; codeLenInByte = 4052
; TotalNumSgprs: 56
; NumVgprs: 37
; ScratchSize: 0
; MemoryBound: 1
; FloatMode: 240
; IeeeMode: 1
; LDSByteSize: 0 bytes/workgroup (compile time only)
; SGPRBlocks: 6
; VGPRBlocks: 9
; NumSGPRsForWavesPerEU: 56
; NumVGPRsForWavesPerEU: 37
; Occupancy: 6
; WaveLimiterHint : 0
; COMPUTE_PGM_RSRC2:SCRATCH_EN: 0
; COMPUTE_PGM_RSRC2:USER_SGPR: 6
; COMPUTE_PGM_RSRC2:TRAP_HANDLER: 0
; COMPUTE_PGM_RSRC2:TGID_X_EN: 1
; COMPUTE_PGM_RSRC2:TGID_Y_EN: 0
; COMPUTE_PGM_RSRC2:TGID_Z_EN: 0
; COMPUTE_PGM_RSRC2:TIDIG_COMP_CNT: 0
	.section	.text._ZN2at6native12_GLOBAL__N_130segment_reduce_backward_kernelIfiEEvNS0_13ReductionTypeEPT_PKS4_S7_S7_PKT0_SA_llS4_lllllll,"axG",@progbits,_ZN2at6native12_GLOBAL__N_130segment_reduce_backward_kernelIfiEEvNS0_13ReductionTypeEPT_PKS4_S7_S7_PKT0_SA_llS4_lllllll,comdat
	.globl	_ZN2at6native12_GLOBAL__N_130segment_reduce_backward_kernelIfiEEvNS0_13ReductionTypeEPT_PKS4_S7_S7_PKT0_SA_llS4_lllllll ; -- Begin function _ZN2at6native12_GLOBAL__N_130segment_reduce_backward_kernelIfiEEvNS0_13ReductionTypeEPT_PKS4_S7_S7_PKT0_SA_llS4_lllllll
	.p2align	8
	.type	_ZN2at6native12_GLOBAL__N_130segment_reduce_backward_kernelIfiEEvNS0_13ReductionTypeEPT_PKS4_S7_S7_PKT0_SA_llS4_lllllll,@function
_ZN2at6native12_GLOBAL__N_130segment_reduce_backward_kernelIfiEEvNS0_13ReductionTypeEPT_PKS4_S7_S7_PKT0_SA_llS4_lllllll: ; @_ZN2at6native12_GLOBAL__N_130segment_reduce_backward_kernelIfiEEvNS0_13ReductionTypeEPT_PKS4_S7_S7_PKT0_SA_llS4_lllllll
; %bb.0:
	s_load_dword s0, s[4:5], 0x94
	s_load_dwordx16 s[8:23], s[4:5], 0x8
	s_load_dwordx8 s[24:31], s[4:5], 0x50
	v_mov_b32_e32 v2, 0
	v_mov_b32_e32 v1, v2
	s_waitcnt lgkmcnt(0)
	s_and_b32 s0, s0, 0xffff
	v_mov_b32_e32 v3, s6
	v_mad_u64_u32 v[0:1], s[0:1], s0, v3, v[0:1]
	s_mul_i32 s0, s24, s21
	s_mul_hi_u32 s1, s24, s20
	s_add_i32 s0, s1, s0
	s_mul_i32 s1, s25, s20
	s_mul_i32 s2, s24, s20
	s_add_i32 s0, s0, s1
	s_mul_i32 s1, s2, s27
	s_mul_hi_u32 s3, s2, s26
	s_add_i32 s1, s3, s1
	s_mul_i32 s0, s0, s26
	s_add_i32 s1, s1, s0
	s_mul_i32 s0, s2, s26
	v_cmp_gt_i64_e32 vcc, s[0:1], v[0:1]
	s_and_saveexec_b64 s[0:1], vcc
	s_cbranch_execz .LBB1_54
; %bb.1:
	v_or_b32_e32 v3, s27, v1
	v_cmp_ne_u64_e32 vcc, 0, v[2:3]
                                        ; implicit-def: $vgpr4_vgpr5
	s_and_saveexec_b64 s[0:1], vcc
	s_xor_b64 s[2:3], exec, s[0:1]
	s_cbranch_execz .LBB1_3
; %bb.2:
	s_ashr_i32 s6, s27, 31
	s_add_u32 s0, s26, s6
	s_mov_b32 s7, s6
	s_addc_u32 s1, s27, s6
	s_xor_b64 s[24:25], s[0:1], s[6:7]
	v_cvt_f32_u32_e32 v2, s24
	v_cvt_f32_u32_e32 v3, s25
	s_sub_u32 s7, 0, s24
	s_subb_u32 s33, 0, s25
	v_ashrrev_i32_e32 v6, 31, v1
	v_madmk_f32 v2, v3, 0x4f800000, v2
	v_rcp_f32_e32 v2, v2
	v_mul_f32_e32 v2, 0x5f7ffffc, v2
	v_mul_f32_e32 v3, 0x2f800000, v2
	v_trunc_f32_e32 v3, v3
	v_madmk_f32 v2, v3, 0xcf800000, v2
	v_cvt_u32_f32_e32 v3, v3
	v_cvt_u32_f32_e32 v2, v2
	v_readfirstlane_b32 s34, v3
	v_readfirstlane_b32 s0, v2
	s_mul_i32 s1, s7, s34
	s_mul_hi_u32 s36, s7, s0
	s_mul_i32 s35, s33, s0
	s_add_i32 s1, s36, s1
	s_add_i32 s1, s1, s35
	s_mul_i32 s37, s7, s0
	s_mul_i32 s36, s0, s1
	s_mul_hi_u32 s38, s0, s37
	s_mul_hi_u32 s35, s0, s1
	s_add_u32 s36, s38, s36
	s_addc_u32 s35, 0, s35
	s_mul_hi_u32 s39, s34, s37
	s_mul_i32 s37, s34, s37
	s_add_u32 s36, s36, s37
	s_mul_hi_u32 s38, s34, s1
	s_addc_u32 s35, s35, s39
	s_addc_u32 s36, s38, 0
	s_mul_i32 s1, s34, s1
	s_add_u32 s1, s35, s1
	s_addc_u32 s35, 0, s36
	s_add_u32 s36, s0, s1
	s_cselect_b64 s[0:1], -1, 0
	s_cmp_lg_u64 s[0:1], 0
	s_addc_u32 s34, s34, s35
	s_mul_i32 s0, s7, s34
	s_mul_hi_u32 s1, s7, s36
	s_add_i32 s0, s1, s0
	s_mul_i32 s33, s33, s36
	s_add_i32 s0, s0, s33
	s_mul_i32 s7, s7, s36
	s_mul_hi_u32 s33, s34, s7
	s_mul_i32 s35, s34, s7
	s_mul_i32 s38, s36, s0
	s_mul_hi_u32 s7, s36, s7
	s_mul_hi_u32 s37, s36, s0
	s_add_u32 s7, s7, s38
	s_addc_u32 s37, 0, s37
	s_add_u32 s7, s7, s35
	s_mul_hi_u32 s1, s34, s0
	s_addc_u32 s7, s37, s33
	s_addc_u32 s1, s1, 0
	s_mul_i32 s0, s34, s0
	s_add_u32 s0, s7, s0
	s_addc_u32 s7, 0, s1
	s_add_u32 s33, s36, s0
	s_cselect_b64 s[0:1], -1, 0
	s_cmp_lg_u64 s[0:1], 0
	v_add_co_u32_e32 v2, vcc, v0, v6
	s_addc_u32 s7, s34, s7
	v_xor_b32_e32 v7, v2, v6
	v_mad_u64_u32 v[2:3], s[0:1], v7, s7, 0
	v_mul_hi_u32 v5, v7, s33
	v_addc_co_u32_e32 v4, vcc, v1, v6, vcc
	v_xor_b32_e32 v8, v4, v6
	v_add_co_u32_e32 v9, vcc, v5, v2
	v_addc_co_u32_e32 v10, vcc, 0, v3, vcc
	v_mad_u64_u32 v[2:3], s[0:1], v8, s33, 0
	v_mad_u64_u32 v[4:5], s[0:1], v8, s7, 0
	v_add_co_u32_e32 v2, vcc, v9, v2
	v_addc_co_u32_e32 v2, vcc, v10, v3, vcc
	v_addc_co_u32_e32 v3, vcc, 0, v5, vcc
	v_add_co_u32_e32 v4, vcc, v2, v4
	v_addc_co_u32_e32 v5, vcc, 0, v3, vcc
	v_mul_lo_u32 v9, s25, v4
	v_mul_lo_u32 v10, s24, v5
	v_mad_u64_u32 v[2:3], s[0:1], s24, v4, 0
	v_add3_u32 v3, v3, v10, v9
	v_sub_u32_e32 v9, v8, v3
	v_mov_b32_e32 v10, s25
	v_sub_co_u32_e32 v2, vcc, v7, v2
	v_subb_co_u32_e64 v7, s[0:1], v9, v10, vcc
	v_subrev_co_u32_e64 v9, s[0:1], s24, v2
	v_subbrev_co_u32_e64 v7, s[0:1], 0, v7, s[0:1]
	v_cmp_le_u32_e64 s[0:1], s25, v7
	v_cndmask_b32_e64 v10, 0, -1, s[0:1]
	v_cmp_le_u32_e64 s[0:1], s24, v9
	v_cndmask_b32_e64 v9, 0, -1, s[0:1]
	v_cmp_eq_u32_e64 s[0:1], s25, v7
	v_cndmask_b32_e64 v7, v10, v9, s[0:1]
	v_add_co_u32_e64 v9, s[0:1], 2, v4
	v_subb_co_u32_e32 v3, vcc, v8, v3, vcc
	v_addc_co_u32_e64 v10, s[0:1], 0, v5, s[0:1]
	v_cmp_le_u32_e32 vcc, s25, v3
	v_add_co_u32_e64 v11, s[0:1], 1, v4
	v_cndmask_b32_e64 v8, 0, -1, vcc
	v_cmp_le_u32_e32 vcc, s24, v2
	v_addc_co_u32_e64 v12, s[0:1], 0, v5, s[0:1]
	v_cndmask_b32_e64 v2, 0, -1, vcc
	v_cmp_eq_u32_e32 vcc, s25, v3
	v_cmp_ne_u32_e64 s[0:1], 0, v7
	v_cndmask_b32_e32 v2, v8, v2, vcc
	v_cndmask_b32_e64 v7, v12, v10, s[0:1]
	v_cmp_ne_u32_e32 vcc, 0, v2
	v_cndmask_b32_e64 v3, v11, v9, s[0:1]
	v_cndmask_b32_e32 v2, v5, v7, vcc
	v_cndmask_b32_e32 v3, v4, v3, vcc
	v_xor_b32_e32 v5, s6, v6
	v_xor_b32_e32 v3, v3, v5
	;; [unrolled: 1-line block ×3, first 2 shown]
	v_sub_co_u32_e32 v4, vcc, v3, v5
	v_subb_co_u32_e32 v5, vcc, v2, v5, vcc
.LBB1_3:
	s_andn2_saveexec_b64 s[0:1], s[2:3]
	s_cbranch_execz .LBB1_5
; %bb.4:
	v_cvt_f32_u32_e32 v2, s26
	s_sub_i32 s2, 0, s26
	v_rcp_iflag_f32_e32 v2, v2
	v_mul_f32_e32 v2, 0x4f7ffffe, v2
	v_cvt_u32_f32_e32 v2, v2
	v_mul_lo_u32 v3, s2, v2
	v_mul_hi_u32 v3, v2, v3
	v_add_u32_e32 v2, v2, v3
	v_mul_hi_u32 v2, v0, v2
	v_mul_lo_u32 v3, v2, s26
	v_add_u32_e32 v4, 1, v2
	v_sub_u32_e32 v3, v0, v3
	v_subrev_u32_e32 v5, s26, v3
	v_cmp_le_u32_e32 vcc, s26, v3
	v_cndmask_b32_e32 v3, v3, v5, vcc
	v_cndmask_b32_e32 v2, v2, v4, vcc
	v_add_u32_e32 v4, 1, v2
	v_cmp_le_u32_e32 vcc, s26, v3
	v_cndmask_b32_e32 v4, v2, v4, vcc
	v_mov_b32_e32 v5, 0
.LBB1_5:
	s_or_b64 exec, exec, s[0:1]
	v_or_b32_e32 v3, s21, v5
	v_mov_b32_e32 v2, 0
	v_cmp_ne_u64_e32 vcc, 0, v[2:3]
                                        ; implicit-def: $vgpr2_vgpr3
	s_and_saveexec_b64 s[0:1], vcc
	s_xor_b64 s[2:3], exec, s[0:1]
	s_cbranch_execz .LBB1_7
; %bb.6:
	s_ashr_i32 s6, s21, 31
	s_add_u32 s0, s20, s6
	s_mov_b32 s7, s6
	s_addc_u32 s1, s21, s6
	s_xor_b64 s[24:25], s[0:1], s[6:7]
	v_cvt_f32_u32_e32 v2, s24
	v_cvt_f32_u32_e32 v3, s25
	s_sub_u32 s7, 0, s24
	s_subb_u32 s33, 0, s25
	v_ashrrev_i32_e32 v8, 31, v5
	v_madmk_f32 v2, v3, 0x4f800000, v2
	v_rcp_f32_e32 v2, v2
	v_mul_f32_e32 v2, 0x5f7ffffc, v2
	v_mul_f32_e32 v3, 0x2f800000, v2
	v_trunc_f32_e32 v3, v3
	v_madmk_f32 v2, v3, 0xcf800000, v2
	v_cvt_u32_f32_e32 v3, v3
	v_cvt_u32_f32_e32 v2, v2
	v_readfirstlane_b32 s34, v3
	v_readfirstlane_b32 s0, v2
	s_mul_i32 s1, s7, s34
	s_mul_hi_u32 s36, s7, s0
	s_mul_i32 s35, s33, s0
	s_add_i32 s1, s36, s1
	s_add_i32 s1, s1, s35
	s_mul_i32 s37, s7, s0
	s_mul_i32 s36, s0, s1
	s_mul_hi_u32 s38, s0, s37
	s_mul_hi_u32 s35, s0, s1
	s_add_u32 s36, s38, s36
	s_addc_u32 s35, 0, s35
	s_mul_hi_u32 s39, s34, s37
	s_mul_i32 s37, s34, s37
	s_add_u32 s36, s36, s37
	s_mul_hi_u32 s38, s34, s1
	s_addc_u32 s35, s35, s39
	s_addc_u32 s36, s38, 0
	s_mul_i32 s1, s34, s1
	s_add_u32 s1, s35, s1
	s_addc_u32 s35, 0, s36
	s_add_u32 s36, s0, s1
	s_cselect_b64 s[0:1], -1, 0
	s_cmp_lg_u64 s[0:1], 0
	s_addc_u32 s34, s34, s35
	s_mul_i32 s0, s7, s34
	s_mul_hi_u32 s1, s7, s36
	s_add_i32 s0, s1, s0
	s_mul_i32 s33, s33, s36
	s_add_i32 s0, s0, s33
	s_mul_i32 s7, s7, s36
	s_mul_hi_u32 s33, s34, s7
	s_mul_i32 s35, s34, s7
	s_mul_i32 s38, s36, s0
	s_mul_hi_u32 s7, s36, s7
	s_mul_hi_u32 s37, s36, s0
	s_add_u32 s7, s7, s38
	s_addc_u32 s37, 0, s37
	s_add_u32 s7, s7, s35
	s_mul_hi_u32 s1, s34, s0
	s_addc_u32 s7, s37, s33
	s_addc_u32 s1, s1, 0
	s_mul_i32 s0, s34, s0
	s_add_u32 s0, s7, s0
	s_addc_u32 s7, 0, s1
	s_add_u32 s33, s36, s0
	s_cselect_b64 s[0:1], -1, 0
	s_cmp_lg_u64 s[0:1], 0
	v_add_co_u32_e32 v2, vcc, v4, v8
	s_addc_u32 s7, s34, s7
	v_xor_b32_e32 v9, v2, v8
	v_mad_u64_u32 v[2:3], s[0:1], v9, s7, 0
	v_mul_hi_u32 v7, v9, s33
	v_addc_co_u32_e32 v6, vcc, v5, v8, vcc
	v_xor_b32_e32 v10, v6, v8
	v_add_co_u32_e32 v11, vcc, v7, v2
	v_addc_co_u32_e32 v12, vcc, 0, v3, vcc
	v_mad_u64_u32 v[2:3], s[0:1], v10, s33, 0
	v_mad_u64_u32 v[6:7], s[0:1], v10, s7, 0
	v_add_co_u32_e32 v2, vcc, v11, v2
	v_addc_co_u32_e32 v2, vcc, v12, v3, vcc
	v_addc_co_u32_e32 v3, vcc, 0, v7, vcc
	v_add_co_u32_e32 v6, vcc, v2, v6
	v_addc_co_u32_e32 v7, vcc, 0, v3, vcc
	v_mul_lo_u32 v11, s25, v6
	v_mul_lo_u32 v12, s24, v7
	v_mad_u64_u32 v[2:3], s[0:1], s24, v6, 0
	v_add3_u32 v3, v3, v12, v11
	v_sub_u32_e32 v11, v10, v3
	v_mov_b32_e32 v12, s25
	v_sub_co_u32_e32 v2, vcc, v9, v2
	v_subb_co_u32_e64 v9, s[0:1], v11, v12, vcc
	v_subrev_co_u32_e64 v11, s[0:1], s24, v2
	v_subbrev_co_u32_e64 v9, s[0:1], 0, v9, s[0:1]
	v_cmp_le_u32_e64 s[0:1], s25, v9
	v_cndmask_b32_e64 v12, 0, -1, s[0:1]
	v_cmp_le_u32_e64 s[0:1], s24, v11
	v_cndmask_b32_e64 v11, 0, -1, s[0:1]
	v_cmp_eq_u32_e64 s[0:1], s25, v9
	v_cndmask_b32_e64 v9, v12, v11, s[0:1]
	v_add_co_u32_e64 v11, s[0:1], 2, v6
	v_subb_co_u32_e32 v3, vcc, v10, v3, vcc
	v_addc_co_u32_e64 v12, s[0:1], 0, v7, s[0:1]
	v_cmp_le_u32_e32 vcc, s25, v3
	v_add_co_u32_e64 v13, s[0:1], 1, v6
	v_cndmask_b32_e64 v10, 0, -1, vcc
	v_cmp_le_u32_e32 vcc, s24, v2
	v_addc_co_u32_e64 v14, s[0:1], 0, v7, s[0:1]
	v_cndmask_b32_e64 v2, 0, -1, vcc
	v_cmp_eq_u32_e32 vcc, s25, v3
	v_cmp_ne_u32_e64 s[0:1], 0, v9
	v_cndmask_b32_e32 v2, v10, v2, vcc
	v_cndmask_b32_e64 v9, v14, v12, s[0:1]
	v_cmp_ne_u32_e32 vcc, 0, v2
	v_cndmask_b32_e64 v3, v13, v11, s[0:1]
	v_cndmask_b32_e32 v2, v7, v9, vcc
	v_cndmask_b32_e32 v3, v6, v3, vcc
	v_xor_b32_e32 v6, s6, v8
	v_xor_b32_e32 v7, v2, v6
	v_xor_b32_e32 v2, v3, v6
	v_sub_co_u32_e32 v2, vcc, v2, v6
	v_subb_co_u32_e32 v3, vcc, v7, v6, vcc
.LBB1_7:
	s_andn2_saveexec_b64 s[0:1], s[2:3]
	s_cbranch_execz .LBB1_9
; %bb.8:
	v_cvt_f32_u32_e32 v2, s20
	s_sub_i32 s2, 0, s20
	v_rcp_iflag_f32_e32 v2, v2
	v_mul_f32_e32 v2, 0x4f7ffffe, v2
	v_cvt_u32_f32_e32 v2, v2
	v_mul_lo_u32 v3, s2, v2
	v_mul_hi_u32 v3, v2, v3
	v_add_u32_e32 v2, v2, v3
	v_mul_hi_u32 v2, v4, v2
	v_mul_lo_u32 v3, v2, s20
	v_add_u32_e32 v6, 1, v2
	v_sub_u32_e32 v3, v4, v3
	v_subrev_u32_e32 v7, s20, v3
	v_cmp_le_u32_e32 vcc, s20, v3
	v_cndmask_b32_e32 v3, v3, v7, vcc
	v_cndmask_b32_e32 v2, v2, v6, vcc
	v_add_u32_e32 v6, 1, v2
	v_cmp_le_u32_e32 vcc, s20, v3
	v_cndmask_b32_e32 v2, v2, v6, vcc
	v_mov_b32_e32 v3, 0
.LBB1_9:
	s_or_b64 exec, exec, s[0:1]
	v_mul_lo_u32 v8, v3, s20
	v_mul_lo_u32 v9, v2, s21
	v_mad_u64_u32 v[6:7], s[0:1], v2, s20, 0
	v_add3_u32 v7, v7, v9, v8
	v_mul_lo_u32 v12, v7, s22
	v_mul_lo_u32 v13, v6, s23
	v_mad_u64_u32 v[10:11], s[0:1], v6, s22, 0
	v_sub_co_u32_e32 v8, vcc, v4, v6
	v_add3_u32 v11, v11, v13, v12
	v_subb_co_u32_e32 v9, vcc, v5, v7, vcc
	v_lshlrev_b64 v[6:7], 2, v[10:11]
	v_mov_b32_e32 v10, s17
	v_add_co_u32_e32 v11, vcc, s16, v6
	v_addc_co_u32_e32 v12, vcc, v10, v7, vcc
	v_lshlrev_b64 v[6:7], 2, v[8:9]
	v_add_co_u32_e32 v10, vcc, v11, v6
	v_addc_co_u32_e32 v11, vcc, v12, v7, vcc
	global_load_dword v28, v[10:11], off
	s_waitcnt vmcnt(0)
	v_cmp_ne_u32_e32 vcc, 0, v28
	s_and_b64 exec, exec, vcc
	s_cbranch_execz .LBB1_54
; %bb.10:
	s_load_dwordx8 s[36:43], s[4:5], 0x70
	s_add_u32 s0, s20, 1
	s_addc_u32 s1, s21, 0
	s_load_dword s22, s[4:5], 0x0
	s_waitcnt lgkmcnt(0)
	s_mul_i32 s1, s40, s1
	s_mul_hi_u32 s2, s40, s0
	s_mul_i32 s3, s41, s0
	s_add_i32 s1, s2, s1
	s_add_i32 s1, s1, s3
	s_mul_i32 s0, s40, s0
	v_mul_lo_u32 v12, s1, v2
	v_mul_lo_u32 v13, s0, v3
	v_mad_u64_u32 v[10:11], s[0:1], s0, v2, 0
	v_add3_u32 v11, v11, v13, v12
	v_lshlrev_b64 v[10:11], 2, v[10:11]
	v_mov_b32_e32 v12, s19
	v_add_co_u32_e32 v10, vcc, s18, v10
	v_addc_co_u32_e32 v11, vcc, v12, v11, vcc
	v_add_co_u32_e32 v6, vcc, v10, v6
	v_addc_co_u32_e32 v7, vcc, v11, v7, vcc
	global_load_dwordx2 v[6:7], v[6:7], off
	v_mul_lo_u32 v10, v5, s26
	v_mul_lo_u32 v11, v4, s27
	v_mad_u64_u32 v[4:5], s[0:1], v4, s26, 0
	v_add3_u32 v5, v5, v11, v10
	v_mad_u64_u32 v[10:11], s[0:1], v2, s38, v[8:9]
	v_mul_lo_u32 v8, v2, s39
	v_mul_lo_u32 v9, v3, s38
	v_sub_co_u32_e32 v14, vcc, v0, v4
	v_subb_co_u32_e32 v15, vcc, v1, v5, vcc
	v_add3_u32 v11, v9, v11, v8
	v_mad_u64_u32 v[8:9], s[0:1], v10, s36, v[14:15]
	v_mul_lo_u32 v10, v10, s37
	v_mul_lo_u32 v11, v11, s36
	s_and_b32 s0, s22, -3
	s_cmp_lg_u32 s0, 0
	v_add3_u32 v9, v11, v9, v10
	s_cbranch_scc0 .LBB1_25
; %bb.11:
	s_cmp_lt_i32 s22, 3
	s_mov_b64 s[0:1], -1
	s_cbranch_scc1 .LBB1_34
; %bb.12:
	s_cmp_lt_i32 s22, 4
	s_cbranch_scc1 .LBB1_28
; %bb.13:
	s_cmp_eq_u32 s22, 4
	s_cbranch_scc0 .LBB1_27
; %bb.14:
	s_waitcnt vmcnt(0)
	v_cmp_lt_i32_e32 vcc, v6, v7
	s_and_saveexec_b64 s[0:1], vcc
	s_cbranch_execz .LBB1_26
; %bb.15:
	v_lshlrev_b64 v[12:13], 2, v[8:9]
	v_mov_b32_e32 v11, s11
	v_add_co_u32_e32 v10, vcc, s10, v12
	v_addc_co_u32_e32 v11, vcc, v11, v13, vcc
	v_mov_b32_e32 v16, s13
	v_add_co_u32_e32 v12, vcc, s12, v12
	v_addc_co_u32_e32 v13, vcc, v16, v13, vcc
	global_load_dword v24, v[12:13], off
	global_load_dword v25, v[10:11], off
	v_mul_lo_u32 v22, s31, v2
	v_mul_lo_u32 v23, s30, v3
	v_mad_u64_u32 v[16:17], s[2:3], s30, v2, 0
	v_ashrrev_i32_e32 v13, 31, v6
	v_mov_b32_e32 v12, v6
	v_add3_u32 v17, v17, v23, v22
	v_lshlrev_b64 v[20:21], 2, v[12:13]
	v_lshlrev_b64 v[22:23], 2, v[16:17]
	;; [unrolled: 1-line block ×3, first 2 shown]
	v_add_co_u32_e32 v22, vcc, v22, v20
	v_addc_co_u32_e32 v23, vcc, v23, v21, vcc
	v_mul_lo_u32 v23, s28, v23
	v_mad_u64_u32 v[18:19], s[2:3], s28, v22, v[18:19]
	v_mul_lo_u32 v22, s29, v22
	v_lshlrev_b64 v[20:21], 2, v[4:5]
	v_mad_u64_u32 v[14:15], s[2:3], v16, s28, v[14:15]
	v_mul_lo_u32 v26, v16, s29
	v_mul_lo_u32 v16, v17, s28
	s_load_dword s23, s[4:5], 0x48
	v_add3_u32 v19, v22, v19, v23
	v_sub_co_u32_e32 v18, vcc, v18, v20
	v_subb_co_u32_e32 v19, vcc, v19, v21, vcc
	v_mov_b32_e32 v27, s15
	v_add_co_u32_e32 v18, vcc, s14, v18
	v_mov_b32_e32 v21, v13
	v_add3_u32 v15, v16, v15, v26
	v_ashrrev_i32_e32 v17, 31, v7
	v_mov_b32_e32 v16, v7
	s_lshl_b64 s[2:3], s[28:29], 2
	s_mov_b64 s[4:5], 0
	s_mov_b64 s[6:7], 0
	v_addc_co_u32_e32 v19, vcc, v27, v19, vcc
	v_mov_b32_e32 v20, v12
	s_waitcnt vmcnt(0)
	v_mul_f32_e32 v29, v25, v24
	s_branch .LBB1_18
.LBB1_16:                               ;   in Loop: Header=BB1_18 Depth=1
	s_or_b64 exec, exec, s[18:19]
	global_load_dword v24, v[10:11], off
	s_waitcnt vmcnt(0)
	v_mul_f32_e32 v24, v30, v24
.LBB1_17:                               ;   in Loop: Header=BB1_18 Depth=1
	s_or_b64 exec, exec, s[16:17]
	v_mov_b32_e32 v25, s9
	v_add_co_u32_e32 v22, vcc, s8, v22
	v_addc_co_u32_e32 v23, vcc, v25, v23, vcc
	v_add_co_u32_e32 v20, vcc, 1, v20
	v_addc_co_u32_e32 v21, vcc, 0, v21, vcc
	s_add_u32 s6, s6, 1
	v_cmp_ge_i64_e32 vcc, v[20:21], v[16:17]
	s_addc_u32 s7, s7, 0
	s_or_b64 s[4:5], vcc, s[4:5]
	global_store_dword v[22:23], v24, off
	s_andn2_b64 exec, exec, s[4:5]
	s_cbranch_execz .LBB1_26
.LBB1_18:                               ; =>This Loop Header: Depth=1
                                        ;     Child Loop BB1_23 Depth 2
	v_mad_u64_u32 v[22:23], s[16:17], v20, s28, v[14:15]
	v_mul_lo_u32 v24, v20, s29
	v_mul_lo_u32 v25, v21, s28
	v_add3_u32 v23, v25, v23, v24
	v_lshlrev_b64 v[22:23], 2, v[22:23]
	v_mov_b32_e32 v25, s15
	v_add_co_u32_e32 v24, vcc, s14, v22
	v_addc_co_u32_e32 v25, vcc, v25, v23, vcc
	global_load_dword v25, v[24:25], off
                                        ; implicit-def: $vgpr24
	s_waitcnt vmcnt(0)
	v_cmp_lg_f32_e32 vcc, 0, v25
	s_and_saveexec_b64 s[16:17], vcc
	s_xor_b64 s[16:17], exec, s[16:17]
	s_cbranch_execz .LBB1_20
; %bb.19:                               ;   in Loop: Header=BB1_18 Depth=1
	v_div_scale_f32 v24, s[18:19], v25, v25, v29
	v_div_scale_f32 v26, vcc, v29, v25, v29
	v_rcp_f32_e32 v27, v24
	v_fma_f32 v30, -v24, v27, 1.0
	v_fmac_f32_e32 v27, v30, v27
	v_mul_f32_e32 v30, v26, v27
	v_fma_f32 v31, -v24, v30, v26
	v_fmac_f32_e32 v30, v31, v27
	v_fma_f32 v24, -v24, v30, v26
	v_div_fmas_f32 v24, v24, v27, v30
	v_div_fixup_f32 v24, v24, v25, v29
.LBB1_20:                               ;   in Loop: Header=BB1_18 Depth=1
	s_andn2_saveexec_b64 s[16:17], s[16:17]
	s_cbranch_execz .LBB1_17
; %bb.21:                               ;   in Loop: Header=BB1_18 Depth=1
	v_mov_b32_e32 v25, v19
	v_mov_b32_e32 v27, v13
	s_mov_b64 s[18:19], 0
	s_waitcnt lgkmcnt(0)
	v_mov_b32_e32 v30, s23
	s_mov_b64 s[20:21], s[6:7]
	v_mov_b32_e32 v24, v18
	v_mov_b32_e32 v26, v12
	s_branch .LBB1_23
.LBB1_22:                               ;   in Loop: Header=BB1_23 Depth=2
	v_add_co_u32_e32 v26, vcc, 1, v26
	v_addc_co_u32_e32 v27, vcc, 0, v27, vcc
	s_add_u32 s20, s20, -1
	v_cmp_ge_i64_e32 vcc, v[26:27], v[16:17]
	s_addc_u32 s21, s21, -1
	v_mov_b32_e32 v31, s3
	s_or_b64 s[18:19], vcc, s[18:19]
	v_add_co_u32_e32 v24, vcc, s2, v24
	v_addc_co_u32_e32 v25, vcc, v25, v31, vcc
	s_andn2_b64 exec, exec, s[18:19]
	s_cbranch_execz .LBB1_16
.LBB1_23:                               ;   Parent Loop BB1_18 Depth=1
                                        ; =>  This Inner Loop Header: Depth=2
	s_cmp_eq_u64 s[20:21], 0
	s_cbranch_scc1 .LBB1_22
; %bb.24:                               ;   in Loop: Header=BB1_23 Depth=2
	global_load_dword v31, v[24:25], off
	s_waitcnt vmcnt(0)
	v_mul_f32_e32 v30, v30, v31
	s_branch .LBB1_22
.LBB1_25:
	s_cbranch_execnz .LBB1_41
	s_branch .LBB1_54
.LBB1_26:
	s_or_b64 exec, exec, s[0:1]
.LBB1_27:
	s_mov_b64 s[0:1], 0
.LBB1_28:
	s_andn2_b64 vcc, exec, s[0:1]
	s_cbranch_vccnz .LBB1_33
; %bb.29:
	s_waitcnt vmcnt(0)
	v_cmp_lt_i32_e32 vcc, v6, v7
	s_and_saveexec_b64 s[2:3], vcc
	s_cbranch_execz .LBB1_32
; %bb.30:
	v_lshlrev_b64 v[10:11], 2, v[8:9]
	v_mov_b32_e32 v12, s11
	v_add_co_u32_e32 v10, vcc, s10, v10
	v_addc_co_u32_e32 v11, vcc, v12, v11, vcc
	global_load_dword v16, v[10:11], off
	v_mul_lo_u32 v14, v3, s30
	v_mul_lo_u32 v15, v2, s31
	v_mad_u64_u32 v[12:13], s[0:1], v2, s30, 0
	v_ashrrev_i32_e32 v11, 31, v6
	v_mov_b32_e32 v10, v6
	v_add3_u32 v13, v13, v15, v14
	v_lshlrev_b64 v[12:13], 2, v[12:13]
	v_lshlrev_b64 v[14:15], 2, v[10:11]
	s_lshl_b64 s[4:5], s[28:29], 2
	v_add_co_u32_e32 v14, vcc, v12, v14
	v_addc_co_u32_e32 v15, vcc, v13, v15, vcc
	v_lshlrev_b64 v[12:13], 2, v[0:1]
	v_mul_lo_u32 v17, s28, v15
	v_mul_lo_u32 v18, s29, v14
	v_mad_u64_u32 v[14:15], s[0:1], s28, v14, v[12:13]
	v_ashrrev_i32_e32 v13, 31, v7
	v_mov_b32_e32 v12, v7
	v_add3_u32 v15, v18, v15, v17
	v_lshlrev_b64 v[17:18], 2, v[4:5]
	s_mov_b64 s[6:7], 0
	v_sub_co_u32_e32 v14, vcc, v14, v17
	v_subb_co_u32_e32 v15, vcc, v15, v18, vcc
	v_mov_b32_e32 v17, s9
	v_add_co_u32_e32 v14, vcc, s8, v14
	v_addc_co_u32_e32 v15, vcc, v17, v15, vcc
	s_waitcnt vmcnt(0)
.LBB1_31:                               ; =>This Inner Loop Header: Depth=1
	v_add_co_u32_e32 v10, vcc, 1, v10
	v_addc_co_u32_e32 v11, vcc, 0, v11, vcc
	v_cmp_ge_i64_e64 s[0:1], v[10:11], v[12:13]
	global_store_dword v[14:15], v16, off
	v_mov_b32_e32 v17, s5
	v_add_co_u32_e32 v14, vcc, s4, v14
	s_or_b64 s[6:7], s[0:1], s[6:7]
	v_addc_co_u32_e32 v15, vcc, v15, v17, vcc
	s_andn2_b64 exec, exec, s[6:7]
	s_cbranch_execnz .LBB1_31
.LBB1_32:
	s_or_b64 exec, exec, s[2:3]
.LBB1_33:
	s_mov_b64 s[0:1], 0
.LBB1_34:
	s_andn2_b64 vcc, exec, s[0:1]
	s_cbranch_vccnz .LBB1_40
; %bb.35:
	s_cmp_lg_u32 s22, 1
	s_cbranch_scc1 .LBB1_40
; %bb.36:
	s_waitcnt vmcnt(0)
	v_cmp_lt_i32_e32 vcc, v6, v7
	s_and_saveexec_b64 s[2:3], vcc
	s_cbranch_execz .LBB1_39
; %bb.37:
	v_lshlrev_b64 v[10:11], 2, v[8:9]
	v_mov_b32_e32 v12, s11
	v_add_co_u32_e32 v10, vcc, s10, v10
	v_addc_co_u32_e32 v11, vcc, v12, v11, vcc
	global_load_dword v20, v[10:11], off
	v_cvt_f32_i32_e32 v21, v28
	v_mul_lo_u32 v23, v3, s30
	v_mul_lo_u32 v24, v2, s31
	v_mad_u64_u32 v[12:13], s[0:1], v2, s30, 0
	v_ashrrev_i32_e32 v11, 31, v6
	v_mov_b32_e32 v10, v6
	v_add3_u32 v13, v13, v24, v23
	v_lshlrev_b64 v[18:19], 2, v[10:11]
	v_lshlrev_b64 v[12:13], 2, v[12:13]
	;; [unrolled: 1-line block ×4, first 2 shown]
	v_mov_b32_e32 v26, s9
	s_lshl_b64 s[4:5], s[28:29], 2
	s_mov_b64 s[6:7], 0
	s_waitcnt vmcnt(0)
	v_div_scale_f32 v22, s[0:1], v21, v21, v20
	v_div_scale_f32 v25, vcc, v20, v21, v20
	v_add_co_u32_e64 v12, s[0:1], v12, v18
	v_addc_co_u32_e64 v13, s[0:1], v13, v19, s[0:1]
	v_mul_lo_u32 v18, s28, v13
	v_mad_u64_u32 v[14:15], s[0:1], s28, v12, v[14:15]
	v_rcp_f32_e32 v23, v22
	v_fma_f32 v13, -v22, v23, 1.0
	v_fmac_f32_e32 v23, v13, v23
	v_mul_f32_e32 v13, v25, v23
	v_fma_f32 v19, -v22, v13, v25
	v_fmac_f32_e32 v13, v19, v23
	v_fma_f32 v19, -v22, v13, v25
	v_div_fmas_f32 v19, v19, v23, v13
	v_mul_lo_u32 v22, s29, v12
	v_sub_co_u32_e32 v14, vcc, v14, v16
	v_ashrrev_i32_e32 v13, 31, v7
	v_add3_u32 v15, v22, v15, v18
	v_subb_co_u32_e32 v15, vcc, v15, v17, vcc
	v_add_co_u32_e32 v14, vcc, s8, v14
	v_mov_b32_e32 v12, v7
	v_addc_co_u32_e32 v15, vcc, v26, v15, vcc
	v_div_fixup_f32 v16, v19, v21, v20
.LBB1_38:                               ; =>This Inner Loop Header: Depth=1
	v_add_co_u32_e32 v10, vcc, 1, v10
	v_addc_co_u32_e32 v11, vcc, 0, v11, vcc
	v_cmp_ge_i64_e64 s[0:1], v[10:11], v[12:13]
	global_store_dword v[14:15], v16, off
	v_mov_b32_e32 v17, s5
	v_add_co_u32_e32 v14, vcc, s4, v14
	s_or_b64 s[6:7], s[0:1], s[6:7]
	v_addc_co_u32_e32 v15, vcc, v15, v17, vcc
	s_andn2_b64 exec, exec, s[6:7]
	s_cbranch_execnz .LBB1_38
.LBB1_39:
	s_or_b64 exec, exec, s[2:3]
.LBB1_40:
	s_branch .LBB1_54
.LBB1_41:
	v_mov_b32_e32 v14, 0
	s_waitcnt vmcnt(0)
	v_ashrrev_i32_e32 v11, 31, v6
	v_mov_b32_e32 v10, v6
	v_ashrrev_i32_e32 v13, 31, v7
	v_mov_b32_e32 v12, v7
	v_cmp_ge_i32_e32 vcc, v6, v7
	v_mov_b32_e32 v15, 0
	v_cmp_lt_i32_e64 s[0:1], v6, v7
	s_and_saveexec_b64 s[2:3], s[0:1]
	s_cbranch_execz .LBB1_49
; %bb.42:
	v_mad_u64_u32 v[14:15], s[0:1], v2, s30, v[10:11]
	v_mul_lo_u32 v16, v2, s31
	v_mul_lo_u32 v17, v3, s30
	v_lshlrev_b64 v[8:9], 2, v[8:9]
	v_mov_b32_e32 v7, s13
	v_add_co_u32_e64 v6, s[0:1], s12, v8
	v_add3_u32 v15, v17, v15, v16
	v_addc_co_u32_e64 v7, s[0:1], v7, v9, s[0:1]
	v_mul_lo_u32 v16, s29, v14
	v_mul_lo_u32 v17, s28, v15
	v_mad_u64_u32 v[14:15], s[0:1], s28, v14, v[0:1]
	v_mov_b32_e32 v18, s11
	v_add_co_u32_e64 v8, s[0:1], s10, v8
	v_addc_co_u32_e64 v9, s[0:1], v18, v9, s[0:1]
	v_add3_u32 v15, v16, v15, v17
	v_sub_co_u32_e64 v14, s[0:1], v14, v4
	v_subb_co_u32_e64 v15, s[0:1], v15, v5, s[0:1]
	v_lshlrev_b64 v[16:17], 2, v[14:15]
	v_mov_b32_e32 v14, 0
	v_mov_b32_e32 v19, v11
	s_lshl_b64 s[6:7], s[28:29], 2
	s_mov_b64 s[4:5], 0
	v_mov_b32_e32 v15, 0
	v_mov_b32_e32 v18, v10
	s_branch .LBB1_44
.LBB1_43:                               ;   in Loop: Header=BB1_44 Depth=1
	s_or_b64 exec, exec, s[10:11]
	v_add_co_u32_e64 v18, s[0:1], 1, v18
	v_addc_co_u32_e64 v19, s[0:1], 0, v19, s[0:1]
	v_cmp_ge_i64_e64 s[0:1], v[18:19], v[12:13]
	v_mov_b32_e32 v20, s7
	s_or_b64 s[4:5], s[0:1], s[4:5]
	v_add_co_u32_e64 v16, s[0:1], s6, v16
	v_addc_co_u32_e64 v17, s[0:1], v17, v20, s[0:1]
	s_andn2_b64 exec, exec, s[4:5]
	s_cbranch_execz .LBB1_48
.LBB1_44:                               ; =>This Inner Loop Header: Depth=1
	v_mov_b32_e32 v21, s15
	v_add_co_u32_e64 v20, s[0:1], s14, v16
	v_addc_co_u32_e64 v21, s[0:1], v21, v17, s[0:1]
	global_load_dword v20, v[20:21], off
	s_waitcnt vmcnt(0)
	v_cmp_u_f32_e64 s[12:13], v20, v20
	v_cmp_o_f32_e64 s[0:1], v20, v20
	s_and_saveexec_b64 s[10:11], s[0:1]
	s_cbranch_execz .LBB1_46
; %bb.45:                               ;   in Loop: Header=BB1_44 Depth=1
	global_load_dword v21, v[6:7], off
	s_andn2_b64 s[12:13], s[12:13], exec
	s_waitcnt vmcnt(0)
	v_cmp_eq_f32_e64 s[0:1], v20, v21
	s_and_b64 s[0:1], s[0:1], exec
	s_or_b64 s[12:13], s[12:13], s[0:1]
.LBB1_46:                               ;   in Loop: Header=BB1_44 Depth=1
	s_or_b64 exec, exec, s[10:11]
	s_and_saveexec_b64 s[10:11], s[12:13]
	s_cbranch_execz .LBB1_43
; %bb.47:                               ;   in Loop: Header=BB1_44 Depth=1
	global_load_dword v22, v[8:9], off
	v_mov_b32_e32 v21, s9
	v_add_co_u32_e64 v20, s[0:1], s8, v16
	v_addc_co_u32_e64 v21, s[0:1], v21, v17, s[0:1]
	v_add_co_u32_e64 v14, s[0:1], 1, v14
	v_addc_co_u32_e64 v15, s[0:1], 0, v15, s[0:1]
	s_waitcnt vmcnt(0)
	global_store_dword v[20:21], v22, off
	s_branch .LBB1_43
.LBB1_48:
	s_or_b64 exec, exec, s[4:5]
.LBB1_49:
	s_or_b64 exec, exec, s[2:3]
	v_cmp_lt_i64_e64 s[0:1], 1, v[14:15]
	s_xor_b64 s[2:3], vcc, -1
	s_and_b64 s[0:1], s[0:1], s[2:3]
	s_and_b64 exec, exec, s[0:1]
	s_cbranch_execz .LBB1_54
; %bb.50:
	v_ffbh_u32_e32 v6, v15
	v_min_u32_e32 v8, 32, v6
	v_lshlrev_b64 v[6:7], v8, v[14:15]
	v_mul_lo_u32 v9, v3, s30
	v_mul_lo_u32 v14, v2, s31
	v_mad_u64_u32 v[2:3], s[0:1], v2, s30, 0
	v_min_u32_e32 v6, 1, v6
	v_or_b32_e32 v6, v7, v6
	v_add3_u32 v3, v3, v14, v9
	v_cvt_f32_u32_e32 v15, v6
	v_lshlrev_b64 v[2:3], 2, v[2:3]
	v_lshlrev_b64 v[6:7], 2, v[10:11]
	;; [unrolled: 1-line block ×3, first 2 shown]
	v_add_co_u32_e32 v2, vcc, v2, v6
	v_addc_co_u32_e32 v3, vcc, v3, v7, vcc
	v_mul_lo_u32 v3, s28, v3
	v_mul_lo_u32 v6, s29, v2
	v_mad_u64_u32 v[0:1], s[0:1], s28, v2, v[0:1]
	v_sub_u32_e32 v2, 32, v8
	v_ldexp_f32 v2, v15, v2
	v_add3_u32 v1, v6, v1, v3
	v_lshlrev_b64 v[3:4], 2, v[4:5]
	s_lshl_b64 s[0:1], s[28:29], 2
	v_sub_co_u32_e32 v0, vcc, v0, v3
	v_subb_co_u32_e32 v1, vcc, v1, v4, vcc
	v_mov_b32_e32 v3, s9
	v_add_co_u32_e32 v0, vcc, s8, v0
	v_addc_co_u32_e32 v1, vcc, v3, v1, vcc
	s_mov_b64 s[2:3], 0
	s_branch .LBB1_52
.LBB1_51:                               ;   in Loop: Header=BB1_52 Depth=1
	s_or_b64 exec, exec, s[4:5]
	v_add_co_u32_e32 v10, vcc, 1, v10
	v_addc_co_u32_e32 v11, vcc, 0, v11, vcc
	v_cmp_ge_i64_e32 vcc, v[10:11], v[12:13]
	v_mov_b32_e32 v3, s1
	s_or_b64 s[2:3], vcc, s[2:3]
	v_add_co_u32_e32 v0, vcc, s0, v0
	v_addc_co_u32_e32 v1, vcc, v1, v3, vcc
	s_andn2_b64 exec, exec, s[2:3]
	s_cbranch_execz .LBB1_54
.LBB1_52:                               ; =>This Inner Loop Header: Depth=1
	global_load_dword v3, v[0:1], off
	s_waitcnt vmcnt(0)
	v_cmp_lt_f32_e32 vcc, 0, v3
	s_and_saveexec_b64 s[4:5], vcc
	s_cbranch_execz .LBB1_51
; %bb.53:                               ;   in Loop: Header=BB1_52 Depth=1
	v_div_scale_f32 v4, s[6:7], v2, v2, v3
	v_div_scale_f32 v5, vcc, v3, v2, v3
	v_rcp_f32_e32 v6, v4
	v_fma_f32 v7, -v4, v6, 1.0
	v_fmac_f32_e32 v6, v7, v6
	v_mul_f32_e32 v7, v5, v6
	v_fma_f32 v8, -v4, v7, v5
	v_fmac_f32_e32 v7, v8, v6
	v_fma_f32 v4, -v4, v7, v5
	v_div_fmas_f32 v4, v4, v6, v7
	v_div_fixup_f32 v3, v4, v2, v3
	global_store_dword v[0:1], v3, off
	s_branch .LBB1_51
.LBB1_54:
	s_endpgm
	.section	.rodata,"a",@progbits
	.p2align	6, 0x0
	.amdhsa_kernel _ZN2at6native12_GLOBAL__N_130segment_reduce_backward_kernelIfiEEvNS0_13ReductionTypeEPT_PKS4_S7_S7_PKT0_SA_llS4_lllllll
		.amdhsa_group_segment_fixed_size 0
		.amdhsa_private_segment_fixed_size 0
		.amdhsa_kernarg_size 392
		.amdhsa_user_sgpr_count 6
		.amdhsa_user_sgpr_private_segment_buffer 1
		.amdhsa_user_sgpr_dispatch_ptr 0
		.amdhsa_user_sgpr_queue_ptr 0
		.amdhsa_user_sgpr_kernarg_segment_ptr 1
		.amdhsa_user_sgpr_dispatch_id 0
		.amdhsa_user_sgpr_flat_scratch_init 0
		.amdhsa_user_sgpr_private_segment_size 0
		.amdhsa_uses_dynamic_stack 0
		.amdhsa_system_sgpr_private_segment_wavefront_offset 0
		.amdhsa_system_sgpr_workgroup_id_x 1
		.amdhsa_system_sgpr_workgroup_id_y 0
		.amdhsa_system_sgpr_workgroup_id_z 0
		.amdhsa_system_sgpr_workgroup_info 0
		.amdhsa_system_vgpr_workitem_id 0
		.amdhsa_next_free_vgpr 32
		.amdhsa_next_free_sgpr 44
		.amdhsa_reserve_vcc 1
		.amdhsa_reserve_flat_scratch 0
		.amdhsa_float_round_mode_32 0
		.amdhsa_float_round_mode_16_64 0
		.amdhsa_float_denorm_mode_32 3
		.amdhsa_float_denorm_mode_16_64 3
		.amdhsa_dx10_clamp 1
		.amdhsa_ieee_mode 1
		.amdhsa_fp16_overflow 0
		.amdhsa_exception_fp_ieee_invalid_op 0
		.amdhsa_exception_fp_denorm_src 0
		.amdhsa_exception_fp_ieee_div_zero 0
		.amdhsa_exception_fp_ieee_overflow 0
		.amdhsa_exception_fp_ieee_underflow 0
		.amdhsa_exception_fp_ieee_inexact 0
		.amdhsa_exception_int_div_zero 0
	.end_amdhsa_kernel
	.section	.text._ZN2at6native12_GLOBAL__N_130segment_reduce_backward_kernelIfiEEvNS0_13ReductionTypeEPT_PKS4_S7_S7_PKT0_SA_llS4_lllllll,"axG",@progbits,_ZN2at6native12_GLOBAL__N_130segment_reduce_backward_kernelIfiEEvNS0_13ReductionTypeEPT_PKS4_S7_S7_PKT0_SA_llS4_lllllll,comdat
.Lfunc_end1:
	.size	_ZN2at6native12_GLOBAL__N_130segment_reduce_backward_kernelIfiEEvNS0_13ReductionTypeEPT_PKS4_S7_S7_PKT0_SA_llS4_lllllll, .Lfunc_end1-_ZN2at6native12_GLOBAL__N_130segment_reduce_backward_kernelIfiEEvNS0_13ReductionTypeEPT_PKS4_S7_S7_PKT0_SA_llS4_lllllll
                                        ; -- End function
	.set _ZN2at6native12_GLOBAL__N_130segment_reduce_backward_kernelIfiEEvNS0_13ReductionTypeEPT_PKS4_S7_S7_PKT0_SA_llS4_lllllll.num_vgpr, 32
	.set _ZN2at6native12_GLOBAL__N_130segment_reduce_backward_kernelIfiEEvNS0_13ReductionTypeEPT_PKS4_S7_S7_PKT0_SA_llS4_lllllll.num_agpr, 0
	.set _ZN2at6native12_GLOBAL__N_130segment_reduce_backward_kernelIfiEEvNS0_13ReductionTypeEPT_PKS4_S7_S7_PKT0_SA_llS4_lllllll.numbered_sgpr, 44
	.set _ZN2at6native12_GLOBAL__N_130segment_reduce_backward_kernelIfiEEvNS0_13ReductionTypeEPT_PKS4_S7_S7_PKT0_SA_llS4_lllllll.num_named_barrier, 0
	.set _ZN2at6native12_GLOBAL__N_130segment_reduce_backward_kernelIfiEEvNS0_13ReductionTypeEPT_PKS4_S7_S7_PKT0_SA_llS4_lllllll.private_seg_size, 0
	.set _ZN2at6native12_GLOBAL__N_130segment_reduce_backward_kernelIfiEEvNS0_13ReductionTypeEPT_PKS4_S7_S7_PKT0_SA_llS4_lllllll.uses_vcc, 1
	.set _ZN2at6native12_GLOBAL__N_130segment_reduce_backward_kernelIfiEEvNS0_13ReductionTypeEPT_PKS4_S7_S7_PKT0_SA_llS4_lllllll.uses_flat_scratch, 0
	.set _ZN2at6native12_GLOBAL__N_130segment_reduce_backward_kernelIfiEEvNS0_13ReductionTypeEPT_PKS4_S7_S7_PKT0_SA_llS4_lllllll.has_dyn_sized_stack, 0
	.set _ZN2at6native12_GLOBAL__N_130segment_reduce_backward_kernelIfiEEvNS0_13ReductionTypeEPT_PKS4_S7_S7_PKT0_SA_llS4_lllllll.has_recursion, 0
	.set _ZN2at6native12_GLOBAL__N_130segment_reduce_backward_kernelIfiEEvNS0_13ReductionTypeEPT_PKS4_S7_S7_PKT0_SA_llS4_lllllll.has_indirect_call, 0
	.section	.AMDGPU.csdata,"",@progbits
; Kernel info:
; codeLenInByte = 4044
; TotalNumSgprs: 48
; NumVgprs: 32
; ScratchSize: 0
; MemoryBound: 0
; FloatMode: 240
; IeeeMode: 1
; LDSByteSize: 0 bytes/workgroup (compile time only)
; SGPRBlocks: 5
; VGPRBlocks: 7
; NumSGPRsForWavesPerEU: 48
; NumVGPRsForWavesPerEU: 32
; Occupancy: 8
; WaveLimiterHint : 1
; COMPUTE_PGM_RSRC2:SCRATCH_EN: 0
; COMPUTE_PGM_RSRC2:USER_SGPR: 6
; COMPUTE_PGM_RSRC2:TRAP_HANDLER: 0
; COMPUTE_PGM_RSRC2:TGID_X_EN: 1
; COMPUTE_PGM_RSRC2:TGID_Y_EN: 0
; COMPUTE_PGM_RSRC2:TGID_Z_EN: 0
; COMPUTE_PGM_RSRC2:TIDIG_COMP_CNT: 0
	.section	.text._ZN2at6native12_GLOBAL__N_130segment_reduce_backward_kernelIN3c108BFloat16EiEEvNS0_13ReductionTypeEPT_PKS6_S9_S9_PKT0_SC_llS6_lllllll,"axG",@progbits,_ZN2at6native12_GLOBAL__N_130segment_reduce_backward_kernelIN3c108BFloat16EiEEvNS0_13ReductionTypeEPT_PKS6_S9_S9_PKT0_SC_llS6_lllllll,comdat
	.globl	_ZN2at6native12_GLOBAL__N_130segment_reduce_backward_kernelIN3c108BFloat16EiEEvNS0_13ReductionTypeEPT_PKS6_S9_S9_PKT0_SC_llS6_lllllll ; -- Begin function _ZN2at6native12_GLOBAL__N_130segment_reduce_backward_kernelIN3c108BFloat16EiEEvNS0_13ReductionTypeEPT_PKS6_S9_S9_PKT0_SC_llS6_lllllll
	.p2align	8
	.type	_ZN2at6native12_GLOBAL__N_130segment_reduce_backward_kernelIN3c108BFloat16EiEEvNS0_13ReductionTypeEPT_PKS6_S9_S9_PKT0_SC_llS6_lllllll,@function
_ZN2at6native12_GLOBAL__N_130segment_reduce_backward_kernelIN3c108BFloat16EiEEvNS0_13ReductionTypeEPT_PKS6_S9_S9_PKT0_SC_llS6_lllllll: ; @_ZN2at6native12_GLOBAL__N_130segment_reduce_backward_kernelIN3c108BFloat16EiEEvNS0_13ReductionTypeEPT_PKS6_S9_S9_PKT0_SC_llS6_lllllll
; %bb.0:
	s_load_dword s0, s[4:5], 0x94
	s_load_dwordx16 s[8:23], s[4:5], 0x8
	s_load_dwordx8 s[24:31], s[4:5], 0x50
	v_mov_b32_e32 v2, 0
	v_mov_b32_e32 v1, v2
	s_waitcnt lgkmcnt(0)
	s_and_b32 s0, s0, 0xffff
	v_mov_b32_e32 v3, s6
	v_mad_u64_u32 v[0:1], s[0:1], s0, v3, v[0:1]
	s_mul_i32 s0, s24, s21
	s_mul_hi_u32 s1, s24, s20
	s_add_i32 s0, s1, s0
	s_mul_i32 s1, s25, s20
	s_mul_i32 s2, s24, s20
	s_add_i32 s0, s0, s1
	s_mul_i32 s1, s2, s27
	s_mul_hi_u32 s3, s2, s26
	s_add_i32 s1, s3, s1
	s_mul_i32 s0, s0, s26
	s_add_i32 s1, s1, s0
	s_mul_i32 s0, s2, s26
	v_cmp_gt_i64_e32 vcc, s[0:1], v[0:1]
	s_and_saveexec_b64 s[0:1], vcc
	s_cbranch_execz .LBB2_75
; %bb.1:
	v_or_b32_e32 v3, s27, v1
	v_cmp_ne_u64_e32 vcc, 0, v[2:3]
                                        ; implicit-def: $vgpr2_vgpr3
	s_and_saveexec_b64 s[0:1], vcc
	s_xor_b64 s[2:3], exec, s[0:1]
	s_cbranch_execz .LBB2_3
; %bb.2:
	s_ashr_i32 s6, s27, 31
	s_add_u32 s0, s26, s6
	s_mov_b32 s7, s6
	s_addc_u32 s1, s27, s6
	s_xor_b64 s[24:25], s[0:1], s[6:7]
	v_cvt_f32_u32_e32 v2, s24
	v_cvt_f32_u32_e32 v3, s25
	s_sub_u32 s7, 0, s24
	s_subb_u32 s33, 0, s25
	v_ashrrev_i32_e32 v6, 31, v1
	v_madmk_f32 v2, v3, 0x4f800000, v2
	v_rcp_f32_e32 v2, v2
	v_mul_f32_e32 v2, 0x5f7ffffc, v2
	v_mul_f32_e32 v3, 0x2f800000, v2
	v_trunc_f32_e32 v3, v3
	v_madmk_f32 v2, v3, 0xcf800000, v2
	v_cvt_u32_f32_e32 v3, v3
	v_cvt_u32_f32_e32 v2, v2
	v_readfirstlane_b32 s34, v3
	v_readfirstlane_b32 s0, v2
	s_mul_i32 s1, s7, s34
	s_mul_hi_u32 s36, s7, s0
	s_mul_i32 s35, s33, s0
	s_add_i32 s1, s36, s1
	s_add_i32 s1, s1, s35
	s_mul_i32 s37, s7, s0
	s_mul_i32 s36, s0, s1
	s_mul_hi_u32 s38, s0, s37
	s_mul_hi_u32 s35, s0, s1
	s_add_u32 s36, s38, s36
	s_addc_u32 s35, 0, s35
	s_mul_hi_u32 s39, s34, s37
	s_mul_i32 s37, s34, s37
	s_add_u32 s36, s36, s37
	s_mul_hi_u32 s38, s34, s1
	s_addc_u32 s35, s35, s39
	s_addc_u32 s36, s38, 0
	s_mul_i32 s1, s34, s1
	s_add_u32 s1, s35, s1
	s_addc_u32 s35, 0, s36
	s_add_u32 s36, s0, s1
	s_cselect_b64 s[0:1], -1, 0
	s_cmp_lg_u64 s[0:1], 0
	s_addc_u32 s34, s34, s35
	s_mul_i32 s0, s7, s34
	s_mul_hi_u32 s1, s7, s36
	s_add_i32 s0, s1, s0
	s_mul_i32 s33, s33, s36
	s_add_i32 s0, s0, s33
	s_mul_i32 s7, s7, s36
	s_mul_hi_u32 s33, s34, s7
	s_mul_i32 s35, s34, s7
	s_mul_i32 s38, s36, s0
	s_mul_hi_u32 s7, s36, s7
	s_mul_hi_u32 s37, s36, s0
	s_add_u32 s7, s7, s38
	s_addc_u32 s37, 0, s37
	s_add_u32 s7, s7, s35
	s_mul_hi_u32 s1, s34, s0
	s_addc_u32 s7, s37, s33
	s_addc_u32 s1, s1, 0
	s_mul_i32 s0, s34, s0
	s_add_u32 s0, s7, s0
	s_addc_u32 s7, 0, s1
	s_add_u32 s33, s36, s0
	s_cselect_b64 s[0:1], -1, 0
	s_cmp_lg_u64 s[0:1], 0
	v_add_co_u32_e32 v2, vcc, v0, v6
	s_addc_u32 s7, s34, s7
	v_xor_b32_e32 v7, v2, v6
	v_mad_u64_u32 v[2:3], s[0:1], v7, s7, 0
	v_mul_hi_u32 v5, v7, s33
	v_addc_co_u32_e32 v4, vcc, v1, v6, vcc
	v_xor_b32_e32 v8, v4, v6
	v_add_co_u32_e32 v9, vcc, v5, v2
	v_addc_co_u32_e32 v10, vcc, 0, v3, vcc
	v_mad_u64_u32 v[2:3], s[0:1], v8, s33, 0
	v_mad_u64_u32 v[4:5], s[0:1], v8, s7, 0
	v_add_co_u32_e32 v2, vcc, v9, v2
	v_addc_co_u32_e32 v2, vcc, v10, v3, vcc
	v_addc_co_u32_e32 v3, vcc, 0, v5, vcc
	v_add_co_u32_e32 v4, vcc, v2, v4
	v_addc_co_u32_e32 v5, vcc, 0, v3, vcc
	v_mul_lo_u32 v9, s25, v4
	v_mul_lo_u32 v10, s24, v5
	v_mad_u64_u32 v[2:3], s[0:1], s24, v4, 0
	v_add3_u32 v3, v3, v10, v9
	v_sub_u32_e32 v9, v8, v3
	v_mov_b32_e32 v10, s25
	v_sub_co_u32_e32 v2, vcc, v7, v2
	v_subb_co_u32_e64 v7, s[0:1], v9, v10, vcc
	v_subrev_co_u32_e64 v9, s[0:1], s24, v2
	v_subbrev_co_u32_e64 v7, s[0:1], 0, v7, s[0:1]
	v_cmp_le_u32_e64 s[0:1], s25, v7
	v_cndmask_b32_e64 v10, 0, -1, s[0:1]
	v_cmp_le_u32_e64 s[0:1], s24, v9
	v_cndmask_b32_e64 v9, 0, -1, s[0:1]
	v_cmp_eq_u32_e64 s[0:1], s25, v7
	v_cndmask_b32_e64 v7, v10, v9, s[0:1]
	v_add_co_u32_e64 v9, s[0:1], 2, v4
	v_subb_co_u32_e32 v3, vcc, v8, v3, vcc
	v_addc_co_u32_e64 v10, s[0:1], 0, v5, s[0:1]
	v_cmp_le_u32_e32 vcc, s25, v3
	v_add_co_u32_e64 v11, s[0:1], 1, v4
	v_cndmask_b32_e64 v8, 0, -1, vcc
	v_cmp_le_u32_e32 vcc, s24, v2
	v_addc_co_u32_e64 v12, s[0:1], 0, v5, s[0:1]
	v_cndmask_b32_e64 v2, 0, -1, vcc
	v_cmp_eq_u32_e32 vcc, s25, v3
	v_cmp_ne_u32_e64 s[0:1], 0, v7
	v_cndmask_b32_e32 v2, v8, v2, vcc
	v_cndmask_b32_e64 v7, v12, v10, s[0:1]
	v_cmp_ne_u32_e32 vcc, 0, v2
	v_cndmask_b32_e64 v3, v11, v9, s[0:1]
	v_cndmask_b32_e32 v2, v5, v7, vcc
	v_cndmask_b32_e32 v3, v4, v3, vcc
	v_xor_b32_e32 v4, s6, v6
	v_xor_b32_e32 v5, v2, v4
	;; [unrolled: 1-line block ×3, first 2 shown]
	v_sub_co_u32_e32 v2, vcc, v2, v4
	v_subb_co_u32_e32 v3, vcc, v5, v4, vcc
.LBB2_3:
	s_andn2_saveexec_b64 s[0:1], s[2:3]
	s_cbranch_execz .LBB2_5
; %bb.4:
	v_cvt_f32_u32_e32 v2, s26
	s_sub_i32 s2, 0, s26
	v_rcp_iflag_f32_e32 v2, v2
	v_mul_f32_e32 v2, 0x4f7ffffe, v2
	v_cvt_u32_f32_e32 v2, v2
	v_mul_lo_u32 v3, s2, v2
	v_mul_hi_u32 v3, v2, v3
	v_add_u32_e32 v2, v2, v3
	v_mul_hi_u32 v2, v0, v2
	v_mul_lo_u32 v3, v2, s26
	v_add_u32_e32 v4, 1, v2
	v_sub_u32_e32 v3, v0, v3
	v_subrev_u32_e32 v5, s26, v3
	v_cmp_le_u32_e32 vcc, s26, v3
	v_cndmask_b32_e32 v3, v3, v5, vcc
	v_cndmask_b32_e32 v2, v2, v4, vcc
	v_add_u32_e32 v4, 1, v2
	v_cmp_le_u32_e32 vcc, s26, v3
	v_cndmask_b32_e32 v2, v2, v4, vcc
	v_mov_b32_e32 v3, 0
.LBB2_5:
	s_or_b64 exec, exec, s[0:1]
	v_or_b32_e32 v5, s21, v3
	v_mov_b32_e32 v4, 0
	v_cmp_ne_u64_e32 vcc, 0, v[4:5]
                                        ; implicit-def: $vgpr4_vgpr5
	s_and_saveexec_b64 s[0:1], vcc
	s_xor_b64 s[2:3], exec, s[0:1]
	s_cbranch_execz .LBB2_7
; %bb.6:
	s_ashr_i32 s6, s21, 31
	s_add_u32 s0, s20, s6
	s_mov_b32 s7, s6
	s_addc_u32 s1, s21, s6
	s_xor_b64 s[24:25], s[0:1], s[6:7]
	v_cvt_f32_u32_e32 v4, s24
	v_cvt_f32_u32_e32 v5, s25
	s_sub_u32 s7, 0, s24
	s_subb_u32 s33, 0, s25
	v_ashrrev_i32_e32 v8, 31, v3
	v_madmk_f32 v4, v5, 0x4f800000, v4
	v_rcp_f32_e32 v4, v4
	v_mul_f32_e32 v4, 0x5f7ffffc, v4
	v_mul_f32_e32 v5, 0x2f800000, v4
	v_trunc_f32_e32 v5, v5
	v_madmk_f32 v4, v5, 0xcf800000, v4
	v_cvt_u32_f32_e32 v5, v5
	v_cvt_u32_f32_e32 v4, v4
	v_readfirstlane_b32 s34, v5
	v_readfirstlane_b32 s0, v4
	s_mul_i32 s1, s7, s34
	s_mul_hi_u32 s36, s7, s0
	s_mul_i32 s35, s33, s0
	s_add_i32 s1, s36, s1
	s_add_i32 s1, s1, s35
	s_mul_i32 s37, s7, s0
	s_mul_i32 s36, s0, s1
	s_mul_hi_u32 s38, s0, s37
	s_mul_hi_u32 s35, s0, s1
	s_add_u32 s36, s38, s36
	s_addc_u32 s35, 0, s35
	s_mul_hi_u32 s39, s34, s37
	s_mul_i32 s37, s34, s37
	s_add_u32 s36, s36, s37
	s_mul_hi_u32 s38, s34, s1
	s_addc_u32 s35, s35, s39
	s_addc_u32 s36, s38, 0
	s_mul_i32 s1, s34, s1
	s_add_u32 s1, s35, s1
	s_addc_u32 s35, 0, s36
	s_add_u32 s36, s0, s1
	s_cselect_b64 s[0:1], -1, 0
	s_cmp_lg_u64 s[0:1], 0
	s_addc_u32 s34, s34, s35
	s_mul_i32 s0, s7, s34
	s_mul_hi_u32 s1, s7, s36
	s_add_i32 s0, s1, s0
	s_mul_i32 s33, s33, s36
	s_add_i32 s0, s0, s33
	s_mul_i32 s7, s7, s36
	s_mul_hi_u32 s33, s34, s7
	s_mul_i32 s35, s34, s7
	s_mul_i32 s38, s36, s0
	s_mul_hi_u32 s7, s36, s7
	s_mul_hi_u32 s37, s36, s0
	s_add_u32 s7, s7, s38
	s_addc_u32 s37, 0, s37
	s_add_u32 s7, s7, s35
	s_mul_hi_u32 s1, s34, s0
	s_addc_u32 s7, s37, s33
	s_addc_u32 s1, s1, 0
	s_mul_i32 s0, s34, s0
	s_add_u32 s0, s7, s0
	s_addc_u32 s7, 0, s1
	s_add_u32 s33, s36, s0
	s_cselect_b64 s[0:1], -1, 0
	s_cmp_lg_u64 s[0:1], 0
	v_add_co_u32_e32 v4, vcc, v2, v8
	s_addc_u32 s7, s34, s7
	v_xor_b32_e32 v9, v4, v8
	v_mad_u64_u32 v[4:5], s[0:1], v9, s7, 0
	v_mul_hi_u32 v7, v9, s33
	v_addc_co_u32_e32 v6, vcc, v3, v8, vcc
	v_xor_b32_e32 v10, v6, v8
	v_add_co_u32_e32 v11, vcc, v7, v4
	v_addc_co_u32_e32 v12, vcc, 0, v5, vcc
	v_mad_u64_u32 v[4:5], s[0:1], v10, s33, 0
	v_mad_u64_u32 v[6:7], s[0:1], v10, s7, 0
	v_add_co_u32_e32 v4, vcc, v11, v4
	v_addc_co_u32_e32 v4, vcc, v12, v5, vcc
	v_addc_co_u32_e32 v5, vcc, 0, v7, vcc
	v_add_co_u32_e32 v6, vcc, v4, v6
	v_addc_co_u32_e32 v7, vcc, 0, v5, vcc
	v_mul_lo_u32 v11, s25, v6
	v_mul_lo_u32 v12, s24, v7
	v_mad_u64_u32 v[4:5], s[0:1], s24, v6, 0
	v_add3_u32 v5, v5, v12, v11
	v_sub_u32_e32 v11, v10, v5
	v_mov_b32_e32 v12, s25
	v_sub_co_u32_e32 v4, vcc, v9, v4
	v_subb_co_u32_e64 v9, s[0:1], v11, v12, vcc
	v_subrev_co_u32_e64 v11, s[0:1], s24, v4
	v_subbrev_co_u32_e64 v9, s[0:1], 0, v9, s[0:1]
	v_cmp_le_u32_e64 s[0:1], s25, v9
	v_cndmask_b32_e64 v12, 0, -1, s[0:1]
	v_cmp_le_u32_e64 s[0:1], s24, v11
	v_cndmask_b32_e64 v11, 0, -1, s[0:1]
	v_cmp_eq_u32_e64 s[0:1], s25, v9
	v_cndmask_b32_e64 v9, v12, v11, s[0:1]
	v_add_co_u32_e64 v11, s[0:1], 2, v6
	v_subb_co_u32_e32 v5, vcc, v10, v5, vcc
	v_addc_co_u32_e64 v12, s[0:1], 0, v7, s[0:1]
	v_cmp_le_u32_e32 vcc, s25, v5
	v_add_co_u32_e64 v13, s[0:1], 1, v6
	v_cndmask_b32_e64 v10, 0, -1, vcc
	v_cmp_le_u32_e32 vcc, s24, v4
	v_addc_co_u32_e64 v14, s[0:1], 0, v7, s[0:1]
	v_cndmask_b32_e64 v4, 0, -1, vcc
	v_cmp_eq_u32_e32 vcc, s25, v5
	v_cmp_ne_u32_e64 s[0:1], 0, v9
	v_cndmask_b32_e32 v4, v10, v4, vcc
	v_cndmask_b32_e64 v9, v14, v12, s[0:1]
	v_cmp_ne_u32_e32 vcc, 0, v4
	v_cndmask_b32_e64 v5, v13, v11, s[0:1]
	v_cndmask_b32_e32 v4, v7, v9, vcc
	v_cndmask_b32_e32 v5, v6, v5, vcc
	v_xor_b32_e32 v6, s6, v8
	v_xor_b32_e32 v7, v4, v6
	;; [unrolled: 1-line block ×3, first 2 shown]
	v_sub_co_u32_e32 v4, vcc, v4, v6
	v_subb_co_u32_e32 v5, vcc, v7, v6, vcc
.LBB2_7:
	s_andn2_saveexec_b64 s[0:1], s[2:3]
	s_cbranch_execz .LBB2_9
; %bb.8:
	v_cvt_f32_u32_e32 v4, s20
	s_sub_i32 s2, 0, s20
	v_rcp_iflag_f32_e32 v4, v4
	v_mul_f32_e32 v4, 0x4f7ffffe, v4
	v_cvt_u32_f32_e32 v4, v4
	v_mul_lo_u32 v5, s2, v4
	v_mul_hi_u32 v5, v4, v5
	v_add_u32_e32 v4, v4, v5
	v_mul_hi_u32 v4, v2, v4
	v_mul_lo_u32 v5, v4, s20
	v_add_u32_e32 v6, 1, v4
	v_sub_u32_e32 v5, v2, v5
	v_subrev_u32_e32 v7, s20, v5
	v_cmp_le_u32_e32 vcc, s20, v5
	v_cndmask_b32_e32 v5, v5, v7, vcc
	v_cndmask_b32_e32 v4, v4, v6, vcc
	v_add_u32_e32 v6, 1, v4
	v_cmp_le_u32_e32 vcc, s20, v5
	v_cndmask_b32_e32 v4, v4, v6, vcc
	v_mov_b32_e32 v5, 0
.LBB2_9:
	s_or_b64 exec, exec, s[0:1]
	v_mul_lo_u32 v8, v5, s20
	v_mul_lo_u32 v9, v4, s21
	v_mad_u64_u32 v[6:7], s[0:1], v4, s20, 0
	v_add3_u32 v7, v7, v9, v8
	v_mul_lo_u32 v10, v7, s22
	v_mul_lo_u32 v11, v6, s23
	v_mad_u64_u32 v[8:9], s[0:1], v6, s22, 0
	v_sub_co_u32_e32 v6, vcc, v2, v6
	v_add3_u32 v9, v9, v11, v10
	v_lshlrev_b64 v[8:9], 2, v[8:9]
	v_subb_co_u32_e32 v7, vcc, v3, v7, vcc
	v_mov_b32_e32 v10, s17
	v_add_co_u32_e32 v11, vcc, s16, v8
	v_addc_co_u32_e32 v12, vcc, v10, v9, vcc
	v_lshlrev_b64 v[8:9], 2, v[6:7]
	v_add_co_u32_e32 v10, vcc, v11, v8
	v_addc_co_u32_e32 v11, vcc, v12, v9, vcc
	global_load_dword v30, v[10:11], off
	s_waitcnt vmcnt(0)
	v_cmp_ne_u32_e32 vcc, 0, v30
	s_and_b64 exec, exec, vcc
	s_cbranch_execz .LBB2_75
; %bb.10:
	s_load_dwordx8 s[36:43], s[4:5], 0x70
	s_add_u32 s0, s20, 1
	s_addc_u32 s1, s21, 0
	s_load_dword s22, s[4:5], 0x0
	s_waitcnt lgkmcnt(0)
	s_mul_i32 s1, s40, s1
	s_mul_hi_u32 s2, s40, s0
	s_mul_i32 s3, s41, s0
	s_add_i32 s1, s2, s1
	s_add_i32 s1, s1, s3
	s_mul_i32 s0, s40, s0
	v_mul_lo_u32 v12, s1, v4
	v_mul_lo_u32 v13, s0, v5
	v_mad_u64_u32 v[10:11], s[0:1], s0, v4, 0
	v_add3_u32 v11, v11, v13, v12
	v_lshlrev_b64 v[10:11], 2, v[10:11]
	v_mov_b32_e32 v12, s19
	v_add_co_u32_e32 v10, vcc, s18, v10
	v_addc_co_u32_e32 v11, vcc, v12, v11, vcc
	v_add_co_u32_e32 v8, vcc, v10, v8
	v_addc_co_u32_e32 v9, vcc, v11, v9, vcc
	global_load_dwordx2 v[8:9], v[8:9], off
	v_mul_lo_u32 v10, v3, s26
	v_mul_lo_u32 v11, v2, s27
	v_mad_u64_u32 v[2:3], s[0:1], v2, s26, 0
	v_mad_u64_u32 v[12:13], s[0:1], v4, s38, v[6:7]
	v_add3_u32 v3, v3, v11, v10
	v_mul_lo_u32 v10, v4, s39
	v_mul_lo_u32 v11, v5, s38
	v_sub_co_u32_e32 v6, vcc, v0, v2
	v_subb_co_u32_e32 v7, vcc, v1, v3, vcc
	v_add3_u32 v13, v11, v13, v10
	v_mad_u64_u32 v[10:11], s[0:1], v12, s36, v[6:7]
	v_mul_lo_u32 v12, v12, s37
	v_mul_lo_u32 v13, v13, s36
	s_and_b32 s0, s22, -3
	s_cmp_lg_u32 s0, 0
	v_add3_u32 v11, v13, v11, v12
	s_cbranch_scc0 .LBB2_25
; %bb.11:
	s_cmp_lt_i32 s22, 3
	s_mov_b64 s[0:1], -1
	s_cbranch_scc1 .LBB2_39
; %bb.12:
	s_cmp_lt_i32 s22, 4
	s_cbranch_scc1 .LBB2_28
; %bb.13:
	s_cmp_eq_u32 s22, 4
	s_cbranch_scc0 .LBB2_27
; %bb.14:
	s_waitcnt vmcnt(0)
	v_cmp_lt_i32_e32 vcc, v8, v9
	s_and_saveexec_b64 s[0:1], vcc
	s_cbranch_execz .LBB2_26
; %bb.15:
	v_lshlrev_b64 v[14:15], 1, v[10:11]
	v_mov_b32_e32 v13, s11
	v_add_co_u32_e32 v12, vcc, s10, v14
	v_addc_co_u32_e32 v13, vcc, v13, v15, vcc
	v_mov_b32_e32 v16, s13
	v_add_co_u32_e32 v14, vcc, s12, v14
	v_addc_co_u32_e32 v15, vcc, v16, v15, vcc
	global_load_ushort v28, v[14:15], off
	global_load_ushort v29, v[12:13], off
	v_mul_lo_u32 v26, s31, v4
	v_mul_lo_u32 v27, s30, v5
	v_mad_u64_u32 v[18:19], s[2:3], s30, v4, 0
	v_ashrrev_i32_e32 v15, 31, v8
	v_mov_b32_e32 v14, v8
	v_add3_u32 v19, v19, v27, v26
	v_lshlrev_b64 v[24:25], 1, v[14:15]
	v_lshlrev_b64 v[26:27], 1, v[18:19]
	;; [unrolled: 1-line block ×3, first 2 shown]
	v_add_co_u32_e32 v24, vcc, v26, v24
	v_addc_co_u32_e32 v25, vcc, v27, v25, vcc
	v_mul_lo_u32 v25, s28, v25
	v_mad_u64_u32 v[20:21], s[6:7], s28, v24, v[20:21]
	v_mul_lo_u32 v24, s29, v24
	v_lshlrev_b64 v[22:23], 1, v[2:3]
	s_load_dword s23, s[4:5], 0x48
	v_sub_co_u32_e32 v20, vcc, v20, v22
	v_add3_u32 v21, v24, v21, v25
	v_subb_co_u32_e32 v21, vcc, v21, v23, vcc
	s_movk_i32 s24, 0x7fff
	v_mov_b32_e32 v26, s15
	v_mul_lo_u32 v27, v18, s29
	v_mul_lo_u32 v31, v19, s28
	v_mad_u64_u32 v[18:19], s[6:7], v18, s28, v[6:7]
	v_add_co_u32_e32 v20, vcc, s14, v20
	v_addc_co_u32_e32 v21, vcc, v26, v21, vcc
	v_mov_b32_e32 v32, 0x7fc00000
	v_ashrrev_i32_e32 v17, 31, v9
	v_mov_b32_e32 v16, v9
	s_lshl_b64 s[2:3], s[28:29], 1
	s_mov_b64 s[4:5], 0
	v_add3_u32 v19, v31, v19, v27
	v_mov_b32_e32 v31, 0x7fc0
	s_mov_b64 s[6:7], 0
	s_waitcnt vmcnt(1)
	v_lshlrev_b32_e32 v22, 16, v28
	s_waitcnt vmcnt(0)
	v_lshlrev_b32_e32 v23, 16, v29
	v_mul_f32_e32 v22, v23, v22
	v_bfe_u32 v23, v22, 16, 1
	v_add3_u32 v23, v22, v23, s24
	v_and_b32_e32 v23, 0xffff0000, v23
	v_cmp_o_f32_e32 vcc, v22, v22
	v_cndmask_b32_e32 v32, v32, v23, vcc
	v_mov_b32_e32 v23, v15
	v_mov_b32_e32 v22, v14
	s_branch .LBB2_18
.LBB2_16:                               ;   in Loop: Header=BB2_18 Depth=1
	s_or_b64 exec, exec, s[18:19]
	global_load_ushort v26, v[12:13], off
	v_lshlrev_b32_e32 v27, 16, v33
	s_waitcnt vmcnt(0)
	v_lshlrev_b32_e32 v26, 16, v26
	v_mul_f32_e32 v26, v27, v26
.LBB2_17:                               ;   in Loop: Header=BB2_18 Depth=1
	s_or_b64 exec, exec, s[16:17]
	v_bfe_u32 v27, v26, 16, 1
	v_add3_u32 v27, v26, v27, s24
	v_cmp_o_f32_e32 vcc, v26, v26
	v_cndmask_b32_sdwa v26, v31, v27, vcc dst_sel:DWORD dst_unused:UNUSED_PAD src0_sel:DWORD src1_sel:WORD_1
	v_mov_b32_e32 v27, s9
	v_add_co_u32_e32 v24, vcc, s8, v24
	v_addc_co_u32_e32 v25, vcc, v27, v25, vcc
	v_add_co_u32_e32 v22, vcc, 1, v22
	v_addc_co_u32_e32 v23, vcc, 0, v23, vcc
	s_add_u32 s6, s6, 1
	v_cmp_ge_i64_e32 vcc, v[22:23], v[16:17]
	s_addc_u32 s7, s7, 0
	s_or_b64 s[4:5], vcc, s[4:5]
	global_store_short v[24:25], v26, off
	s_andn2_b64 exec, exec, s[4:5]
	s_cbranch_execz .LBB2_26
.LBB2_18:                               ; =>This Loop Header: Depth=1
                                        ;     Child Loop BB2_23 Depth 2
	v_mad_u64_u32 v[24:25], s[16:17], v22, s28, v[18:19]
	v_mul_lo_u32 v26, v22, s29
	v_mul_lo_u32 v27, v23, s28
	v_add3_u32 v25, v27, v25, v26
	v_lshlrev_b64 v[24:25], 1, v[24:25]
	v_mov_b32_e32 v27, s15
	v_add_co_u32_e32 v26, vcc, s14, v24
	v_addc_co_u32_e32 v27, vcc, v27, v25, vcc
	global_load_ushort v26, v[26:27], off
	s_waitcnt vmcnt(0)
	v_lshlrev_b32_e32 v27, 16, v26
	v_cmp_lg_f32_e32 vcc, 0, v27
                                        ; implicit-def: $vgpr26
	s_and_saveexec_b64 s[16:17], vcc
	s_xor_b64 s[16:17], exec, s[16:17]
	s_cbranch_execz .LBB2_20
; %bb.19:                               ;   in Loop: Header=BB2_18 Depth=1
	v_div_scale_f32 v26, s[18:19], v27, v27, v32
	v_div_scale_f32 v28, vcc, v32, v27, v32
	v_rcp_f32_e32 v29, v26
	v_fma_f32 v33, -v26, v29, 1.0
	v_fmac_f32_e32 v29, v33, v29
	v_mul_f32_e32 v33, v28, v29
	v_fma_f32 v34, -v26, v33, v28
	v_fmac_f32_e32 v33, v34, v29
	v_fma_f32 v26, -v26, v33, v28
	v_div_fmas_f32 v26, v26, v29, v33
	v_div_fixup_f32 v26, v26, v27, v32
.LBB2_20:                               ;   in Loop: Header=BB2_18 Depth=1
	s_andn2_saveexec_b64 s[16:17], s[16:17]
	s_cbranch_execz .LBB2_17
; %bb.21:                               ;   in Loop: Header=BB2_18 Depth=1
	v_mov_b32_e32 v27, v21
	v_mov_b32_e32 v29, v15
	s_mov_b64 s[18:19], 0
	s_waitcnt lgkmcnt(0)
	v_mov_b32_e32 v33, s23
	s_mov_b64 s[20:21], s[6:7]
	v_mov_b32_e32 v26, v20
	v_mov_b32_e32 v28, v14
	s_branch .LBB2_23
.LBB2_22:                               ;   in Loop: Header=BB2_23 Depth=2
	v_add_co_u32_e32 v28, vcc, 1, v28
	v_addc_co_u32_e32 v29, vcc, 0, v29, vcc
	s_add_u32 s20, s20, -1
	v_cmp_ge_i64_e32 vcc, v[28:29], v[16:17]
	s_addc_u32 s21, s21, -1
	v_mov_b32_e32 v34, s3
	s_or_b64 s[18:19], vcc, s[18:19]
	v_add_co_u32_e32 v26, vcc, s2, v26
	v_addc_co_u32_e32 v27, vcc, v27, v34, vcc
	s_andn2_b64 exec, exec, s[18:19]
	s_cbranch_execz .LBB2_16
.LBB2_23:                               ;   Parent Loop BB2_18 Depth=1
                                        ; =>  This Inner Loop Header: Depth=2
	s_cmp_eq_u64 s[20:21], 0
	s_cbranch_scc1 .LBB2_22
; %bb.24:                               ;   in Loop: Header=BB2_23 Depth=2
	global_load_ushort v34, v[26:27], off
	v_lshlrev_b32_e32 v33, 16, v33
	s_waitcnt vmcnt(0)
	v_lshlrev_b32_e32 v34, 16, v34
	v_mul_f32_e32 v33, v33, v34
	v_bfe_u32 v34, v33, 16, 1
	v_cmp_o_f32_e32 vcc, v33, v33
	v_add3_u32 v33, v33, v34, s24
	v_cndmask_b32_sdwa v33, v31, v33, vcc dst_sel:DWORD dst_unused:UNUSED_PAD src0_sel:DWORD src1_sel:WORD_1
	s_branch .LBB2_22
.LBB2_25:
	s_cbranch_execnz .LBB2_51
	s_branch .LBB2_75
.LBB2_26:
	s_or_b64 exec, exec, s[0:1]
.LBB2_27:
	s_mov_b64 s[0:1], 0
.LBB2_28:
	s_andn2_b64 vcc, exec, s[0:1]
	s_cbranch_vccnz .LBB2_38
; %bb.29:
	s_waitcnt vmcnt(0)
	v_cmp_lt_i32_e32 vcc, v8, v9
	s_and_saveexec_b64 s[2:3], vcc
	s_cbranch_execz .LBB2_37
; %bb.30:
	v_lshlrev_b64 v[12:13], 1, v[10:11]
	v_mov_b32_e32 v14, s11
	v_add_co_u32_e32 v12, vcc, s10, v12
	v_addc_co_u32_e32 v13, vcc, v14, v13, vcc
	global_load_ushort v26, v[12:13], off
	v_mul_lo_u32 v18, s31, v4
	v_mul_lo_u32 v19, s30, v5
	v_mad_u64_u32 v[16:17], s[0:1], s30, v4, 0
	v_ashrrev_i32_e32 v13, 31, v9
	v_ashrrev_i32_e32 v15, 31, v8
	v_add3_u32 v17, v17, v19, v18
	v_sub_co_u32_e32 v18, vcc, v9, v8
	v_subb_co_u32_e32 v19, vcc, v13, v15, vcc
	v_cmp_lt_u64_e32 vcc, 1, v[18:19]
	s_cmp_eq_u64 s[28:29], 1
	s_cselect_b64 s[0:1], -1, 0
	v_mov_b32_e32 v12, v9
	v_mov_b32_e32 v14, v8
	s_and_b64 s[6:7], vcc, s[0:1]
	s_mov_b64 s[0:1], -1
	s_and_saveexec_b64 s[4:5], s[6:7]
	s_cbranch_execz .LBB2_34
; %bb.31:
	v_mul_lo_u32 v22, v17, s28
	v_mul_lo_u32 v23, v16, s29
	v_mad_u64_u32 v[20:21], s[0:1], v16, s28, 0
	s_mov_b32 s0, 0x5040100
	s_waitcnt vmcnt(0)
	v_perm_b32 v27, v26, v26, s0
	v_add3_u32 v21, v21, v23, v22
	v_lshlrev_b64 v[20:21], 1, v[20:21]
	v_mov_b32_e32 v22, s9
	v_add_co_u32_e32 v23, vcc, s8, v20
	v_addc_co_u32_e32 v22, vcc, v22, v21, vcc
	v_lshlrev_b64 v[20:21], 1, v[6:7]
	s_mov_b64 s[6:7], 0
	v_add_co_u32_e32 v24, vcc, v23, v20
	v_addc_co_u32_e32 v25, vcc, v22, v21, vcc
	v_lshlrev_b64 v[22:23], 1, v[14:15]
	v_mov_b32_e32 v21, v19
	v_add_co_u32_e32 v22, vcc, v24, v22
	v_and_b32_e32 v20, -2, v18
	v_addc_co_u32_e32 v23, vcc, v25, v23, vcc
	v_mov_b32_e32 v25, v21
	v_mov_b32_e32 v24, v20
.LBB2_32:                               ; =>This Inner Loop Header: Depth=1
	v_add_co_u32_e64 v24, s[0:1], -2, v24
	v_addc_co_u32_e64 v25, s[0:1], -1, v25, s[0:1]
	v_cmp_eq_u64_e64 s[0:1], 0, v[24:25]
	global_store_dword v[22:23], v27, off
	v_add_co_u32_e32 v22, vcc, 4, v22
	s_or_b64 s[6:7], s[0:1], s[6:7]
	v_addc_co_u32_e32 v23, vcc, 0, v23, vcc
	s_andn2_b64 exec, exec, s[6:7]
	s_cbranch_execnz .LBB2_32
; %bb.33:
	s_or_b64 exec, exec, s[6:7]
	v_cmp_ne_u64_e32 vcc, v[18:19], v[20:21]
	v_add_co_u32_e64 v14, s[0:1], v20, v14
	v_addc_co_u32_e64 v15, s[0:1], v21, v15, s[0:1]
	s_orn2_b64 s[0:1], vcc, exec
.LBB2_34:
	s_or_b64 exec, exec, s[4:5]
	s_and_b64 exec, exec, s[0:1]
	s_cbranch_execz .LBB2_37
; %bb.35:
	v_lshlrev_b64 v[16:17], 1, v[16:17]
	v_lshlrev_b64 v[18:19], 1, v[14:15]
	s_lshl_b64 s[4:5], s[28:29], 1
	v_add_co_u32_e32 v18, vcc, v16, v18
	v_addc_co_u32_e32 v19, vcc, v17, v19, vcc
	v_lshlrev_b64 v[16:17], 1, v[0:1]
	v_mul_lo_u32 v19, s28, v19
	v_mul_lo_u32 v20, s29, v18
	v_mad_u64_u32 v[16:17], s[0:1], s28, v18, v[16:17]
	s_mov_b64 s[6:7], 0
	v_add3_u32 v19, v20, v17, v19
	v_lshlrev_b64 v[17:18], 1, v[2:3]
	v_sub_co_u32_e32 v16, vcc, v16, v17
	v_subb_co_u32_e32 v17, vcc, v19, v18, vcc
	v_mov_b32_e32 v18, s9
	v_add_co_u32_e32 v16, vcc, s8, v16
	v_addc_co_u32_e32 v17, vcc, v18, v17, vcc
	v_mov_b32_e32 v18, s5
	s_waitcnt vmcnt(0)
.LBB2_36:                               ; =>This Inner Loop Header: Depth=1
	v_add_co_u32_e32 v14, vcc, 1, v14
	v_addc_co_u32_e32 v15, vcc, 0, v15, vcc
	v_cmp_ge_i64_e64 s[0:1], v[14:15], v[12:13]
	global_store_short v[16:17], v26, off
	v_add_co_u32_e32 v16, vcc, s4, v16
	s_or_b64 s[6:7], s[0:1], s[6:7]
	v_addc_co_u32_e32 v17, vcc, v17, v18, vcc
	s_andn2_b64 exec, exec, s[6:7]
	s_cbranch_execnz .LBB2_36
.LBB2_37:
	s_or_b64 exec, exec, s[2:3]
.LBB2_38:
	s_mov_b64 s[0:1], 0
.LBB2_39:
	s_andn2_b64 vcc, exec, s[0:1]
	s_cbranch_vccnz .LBB2_50
; %bb.40:
	s_cmp_lg_u32 s22, 1
	s_cbranch_scc1 .LBB2_50
; %bb.41:
	s_waitcnt vmcnt(0)
	v_cmp_lt_i32_e32 vcc, v8, v9
	s_and_saveexec_b64 s[2:3], vcc
	s_cbranch_execz .LBB2_49
; %bb.42:
	v_lshlrev_b64 v[12:13], 1, v[10:11]
	v_mov_b32_e32 v14, s11
	v_add_co_u32_e32 v12, vcc, s10, v12
	v_addc_co_u32_e32 v13, vcc, v14, v13, vcc
	global_load_ushort v12, v[12:13], off
	v_cvt_f32_i32_e32 v13, v30
	s_movk_i32 s4, 0x7fff
	v_mul_lo_u32 v24, s31, v4
	v_mul_lo_u32 v25, s30, v5
	v_bfe_u32 v14, v13, 16, 1
	v_add3_u32 v13, v13, v14, s4
	v_and_b32_e32 v20, 0xffff0000, v13
	v_ashrrev_i32_e32 v13, 31, v9
	s_cmp_eq_u64 s[28:29], 1
	v_mov_b32_e32 v22, 0x7fc0
	s_waitcnt vmcnt(0)
	v_lshlrev_b32_e32 v21, 16, v12
	v_div_scale_f32 v14, s[0:1], v20, v20, v21
	v_div_scale_f32 v15, vcc, v21, v20, v21
	v_mov_b32_e32 v12, v9
	v_rcp_f32_e32 v16, v14
	v_fma_f32 v17, -v14, v16, 1.0
	v_fmac_f32_e32 v16, v17, v16
	v_mul_f32_e32 v17, v15, v16
	v_fma_f32 v18, -v14, v17, v15
	v_fmac_f32_e32 v17, v18, v16
	v_fma_f32 v14, -v14, v17, v15
	v_div_fmas_f32 v23, v14, v16, v17
	v_ashrrev_i32_e32 v15, 31, v8
	v_sub_co_u32_e32 v18, vcc, v9, v8
	v_mad_u64_u32 v[16:17], s[0:1], s30, v4, 0
	v_subb_co_u32_e32 v19, vcc, v13, v15, vcc
	v_cmp_lt_u64_e32 vcc, 1, v[18:19]
	s_cselect_b64 s[0:1], -1, 0
	s_and_b64 s[6:7], vcc, s[0:1]
	v_mov_b32_e32 v14, v8
	v_add3_u32 v17, v17, v25, v24
	s_mov_b64 s[0:1], -1
	v_div_fixup_f32 v20, v23, v20, v21
	v_bfe_u32 v21, v20, 16, 1
	v_add3_u32 v21, v20, v21, s4
	v_lshrrev_b32_e32 v21, 16, v21
	v_cmp_o_f32_e32 vcc, v20, v20
	v_cndmask_b32_e32 v26, v22, v21, vcc
	s_and_saveexec_b64 s[4:5], s[6:7]
	s_cbranch_execz .LBB2_46
; %bb.43:
	v_mul_lo_u32 v22, v17, s28
	v_mul_lo_u32 v23, v16, s29
	v_mad_u64_u32 v[20:21], s[0:1], v16, s28, 0
	s_mov_b32 s0, 0x5040100
	v_perm_b32 v27, v26, v26, s0
	v_add3_u32 v21, v21, v23, v22
	v_lshlrev_b64 v[20:21], 1, v[20:21]
	v_mov_b32_e32 v22, s9
	v_add_co_u32_e32 v23, vcc, s8, v20
	v_addc_co_u32_e32 v22, vcc, v22, v21, vcc
	v_lshlrev_b64 v[20:21], 1, v[6:7]
	s_mov_b64 s[6:7], 0
	v_add_co_u32_e32 v24, vcc, v23, v20
	v_addc_co_u32_e32 v25, vcc, v22, v21, vcc
	v_lshlrev_b64 v[22:23], 1, v[14:15]
	v_mov_b32_e32 v21, v19
	v_add_co_u32_e32 v22, vcc, v24, v22
	v_and_b32_e32 v20, -2, v18
	v_addc_co_u32_e32 v23, vcc, v25, v23, vcc
	v_mov_b32_e32 v25, v21
	v_mov_b32_e32 v24, v20
.LBB2_44:                               ; =>This Inner Loop Header: Depth=1
	v_add_co_u32_e64 v24, s[0:1], -2, v24
	v_addc_co_u32_e64 v25, s[0:1], -1, v25, s[0:1]
	v_cmp_eq_u64_e64 s[0:1], 0, v[24:25]
	global_store_dword v[22:23], v27, off
	v_add_co_u32_e32 v22, vcc, 4, v22
	s_or_b64 s[6:7], s[0:1], s[6:7]
	v_addc_co_u32_e32 v23, vcc, 0, v23, vcc
	s_andn2_b64 exec, exec, s[6:7]
	s_cbranch_execnz .LBB2_44
; %bb.45:
	s_or_b64 exec, exec, s[6:7]
	v_cmp_ne_u64_e32 vcc, v[18:19], v[20:21]
	v_add_co_u32_e64 v14, s[0:1], v20, v14
	v_addc_co_u32_e64 v15, s[0:1], v21, v15, s[0:1]
	s_orn2_b64 s[0:1], vcc, exec
.LBB2_46:
	s_or_b64 exec, exec, s[4:5]
	s_and_b64 exec, exec, s[0:1]
	s_cbranch_execz .LBB2_49
; %bb.47:
	v_lshlrev_b64 v[16:17], 1, v[16:17]
	v_lshlrev_b64 v[18:19], 1, v[14:15]
	s_lshl_b64 s[4:5], s[28:29], 1
	v_add_co_u32_e32 v18, vcc, v16, v18
	v_addc_co_u32_e32 v19, vcc, v17, v19, vcc
	v_lshlrev_b64 v[16:17], 1, v[0:1]
	v_mul_lo_u32 v19, s28, v19
	v_mul_lo_u32 v20, s29, v18
	v_mad_u64_u32 v[16:17], s[0:1], s28, v18, v[16:17]
	s_mov_b64 s[6:7], 0
	v_add3_u32 v19, v20, v17, v19
	v_lshlrev_b64 v[17:18], 1, v[2:3]
	v_sub_co_u32_e32 v16, vcc, v16, v17
	v_subb_co_u32_e32 v17, vcc, v19, v18, vcc
	v_mov_b32_e32 v18, s9
	v_add_co_u32_e32 v16, vcc, s8, v16
	v_addc_co_u32_e32 v17, vcc, v18, v17, vcc
	v_mov_b32_e32 v18, s5
.LBB2_48:                               ; =>This Inner Loop Header: Depth=1
	v_add_co_u32_e32 v14, vcc, 1, v14
	v_addc_co_u32_e32 v15, vcc, 0, v15, vcc
	v_cmp_ge_i64_e64 s[0:1], v[14:15], v[12:13]
	global_store_short v[16:17], v26, off
	v_add_co_u32_e32 v16, vcc, s4, v16
	s_or_b64 s[6:7], s[0:1], s[6:7]
	v_addc_co_u32_e32 v17, vcc, v17, v18, vcc
	s_andn2_b64 exec, exec, s[6:7]
	s_cbranch_execnz .LBB2_48
.LBB2_49:
	s_or_b64 exec, exec, s[2:3]
.LBB2_50:
	s_branch .LBB2_75
.LBB2_51:
	v_mov_b32_e32 v16, 0
	s_waitcnt vmcnt(0)
	v_ashrrev_i32_e32 v13, 31, v8
	v_mov_b32_e32 v12, v8
	v_ashrrev_i32_e32 v15, 31, v9
	v_mov_b32_e32 v14, v9
	v_cmp_ge_i32_e32 vcc, v8, v9
	v_mov_b32_e32 v17, 0
	v_cmp_lt_i32_e64 s[0:1], v8, v9
	s_and_saveexec_b64 s[2:3], s[0:1]
	s_cbranch_execz .LBB2_59
; %bb.52:
	v_mad_u64_u32 v[16:17], s[0:1], v4, s30, v[12:13]
	v_mul_lo_u32 v18, v4, s31
	v_mul_lo_u32 v19, v5, s30
	v_lshlrev_b64 v[10:11], 1, v[10:11]
	v_mov_b32_e32 v9, s13
	v_add_co_u32_e64 v8, s[0:1], s12, v10
	v_add3_u32 v17, v19, v17, v18
	v_addc_co_u32_e64 v9, s[0:1], v9, v11, s[0:1]
	v_mul_lo_u32 v18, s29, v16
	v_mul_lo_u32 v19, s28, v17
	v_mad_u64_u32 v[16:17], s[0:1], s28, v16, v[0:1]
	v_mov_b32_e32 v20, s11
	v_add_co_u32_e64 v10, s[0:1], s10, v10
	v_addc_co_u32_e64 v11, s[0:1], v20, v11, s[0:1]
	v_add3_u32 v17, v18, v17, v19
	v_sub_co_u32_e64 v16, s[0:1], v16, v2
	v_subb_co_u32_e64 v17, s[0:1], v17, v3, s[0:1]
	v_lshlrev_b64 v[18:19], 1, v[16:17]
	v_mov_b32_e32 v16, 0
	v_mov_b32_e32 v21, v13
	s_lshl_b64 s[6:7], s[28:29], 1
	s_mov_b64 s[4:5], 0
	v_mov_b32_e32 v17, 0
	v_mov_b32_e32 v20, v12
	s_branch .LBB2_54
.LBB2_53:                               ;   in Loop: Header=BB2_54 Depth=1
	s_or_b64 exec, exec, s[10:11]
	v_add_co_u32_e64 v20, s[0:1], 1, v20
	v_addc_co_u32_e64 v21, s[0:1], 0, v21, s[0:1]
	v_cmp_ge_i64_e64 s[0:1], v[20:21], v[14:15]
	v_mov_b32_e32 v22, s7
	s_or_b64 s[4:5], s[0:1], s[4:5]
	v_add_co_u32_e64 v18, s[0:1], s6, v18
	v_addc_co_u32_e64 v19, s[0:1], v19, v22, s[0:1]
	s_andn2_b64 exec, exec, s[4:5]
	s_cbranch_execz .LBB2_58
.LBB2_54:                               ; =>This Inner Loop Header: Depth=1
	v_mov_b32_e32 v23, s15
	v_add_co_u32_e64 v22, s[0:1], s14, v18
	v_addc_co_u32_e64 v23, s[0:1], v23, v19, s[0:1]
	global_load_ushort v22, v[22:23], off
	s_waitcnt vmcnt(0)
	v_lshlrev_b32_e32 v22, 16, v22
	v_cmp_u_f32_e64 s[12:13], v22, v22
	v_cmp_o_f32_e64 s[0:1], v22, v22
	s_and_saveexec_b64 s[10:11], s[0:1]
	s_cbranch_execz .LBB2_56
; %bb.55:                               ;   in Loop: Header=BB2_54 Depth=1
	global_load_ushort v23, v[8:9], off
	s_andn2_b64 s[12:13], s[12:13], exec
	s_waitcnt vmcnt(0)
	v_lshlrev_b32_e32 v23, 16, v23
	v_cmp_eq_f32_e64 s[0:1], v22, v23
	s_and_b64 s[0:1], s[0:1], exec
	s_or_b64 s[12:13], s[12:13], s[0:1]
.LBB2_56:                               ;   in Loop: Header=BB2_54 Depth=1
	s_or_b64 exec, exec, s[10:11]
	s_and_saveexec_b64 s[10:11], s[12:13]
	s_cbranch_execz .LBB2_53
; %bb.57:                               ;   in Loop: Header=BB2_54 Depth=1
	global_load_ushort v24, v[10:11], off
	v_mov_b32_e32 v23, s9
	v_add_co_u32_e64 v22, s[0:1], s8, v18
	v_addc_co_u32_e64 v23, s[0:1], v23, v19, s[0:1]
	v_add_co_u32_e64 v16, s[0:1], 1, v16
	v_addc_co_u32_e64 v17, s[0:1], 0, v17, s[0:1]
	s_waitcnt vmcnt(0)
	global_store_short v[22:23], v24, off
	s_branch .LBB2_53
.LBB2_58:
	s_or_b64 exec, exec, s[4:5]
.LBB2_59:
	s_or_b64 exec, exec, s[2:3]
	v_cmp_lt_i64_e64 s[0:1], 1, v[16:17]
	s_xor_b64 s[2:3], vcc, -1
	s_and_b64 s[0:1], s[0:1], s[2:3]
	s_and_b64 exec, exec, s[0:1]
	s_cbranch_execz .LBB2_75
; %bb.60:
	v_mul_lo_u32 v11, s30, v5
	v_ffbh_u32_e32 v5, v17
	v_min_u32_e32 v18, 32, v5
	v_lshlrev_b64 v[8:9], v18, v[16:17]
	v_mul_lo_u32 v10, s31, v4
	v_min_u32_e32 v8, 1, v8
	v_or_b32_e32 v8, v9, v8
	v_cvt_f32_u32_e32 v8, v8
	v_mad_u64_u32 v[4:5], s[0:1], s30, v4, 0
	v_sub_u32_e32 v9, 32, v18
	v_ldexp_f32 v8, v8, v9
	v_bfe_u32 v9, v8, 16, 1
	s_movk_i32 s0, 0x7fff
	v_add3_u32 v5, v5, v11, v10
	v_add3_u32 v10, v8, v9, s0
	v_sub_co_u32_e32 v8, vcc, v14, v12
	v_subb_co_u32_e32 v9, vcc, v15, v13, vcc
	v_cmp_gt_u64_e64 s[2:3], 28, v[8:9]
	v_cmp_lt_u64_e32 vcc, 27, v[8:9]
	v_and_b32_e32 v18, 0xffff0000, v10
	s_and_saveexec_b64 s[4:5], vcc
	s_cbranch_execz .LBB2_70
; %bb.61:
	v_not_b32_e32 v10, v12
	v_not_b32_e32 v11, v13
	v_add_co_u32_e32 v10, vcc, v10, v14
	v_addc_co_u32_e32 v11, vcc, v11, v15, vcc
	v_add_co_u32_e32 v6, vcc, v4, v6
	v_addc_co_u32_e32 v7, vcc, v5, v7, vcc
	;; [unrolled: 2-line block ×3, first 2 shown]
	v_lshlrev_b64 v[6:7], 1, v[6:7]
	v_mov_b32_e32 v16, s9
	v_add_co_u32_e32 v6, vcc, s8, v6
	v_addc_co_u32_e32 v7, vcc, v16, v7, vcc
	v_lshlrev_b64 v[16:17], 1, v[10:11]
	v_cmp_lt_i64_e32 vcc, -1, v[10:11]
	v_add_co_u32_e64 v10, s[0:1], v6, v16
	v_addc_co_u32_e64 v11, s[0:1], v7, v17, s[0:1]
	v_cmp_ge_u64_e64 s[0:1], v[10:11], v[6:7]
	s_cmp_eq_u64 s[28:29], 1
	s_cselect_b64 s[6:7], -1, 0
	s_and_b64 s[0:1], s[0:1], vcc
	s_mov_b64 s[10:11], -1
	s_and_b64 s[0:1], s[6:7], s[0:1]
	s_and_saveexec_b64 s[6:7], s[0:1]
	s_cbranch_execz .LBB2_69
; %bb.62:
	v_lshlrev_b64 v[10:11], 1, v[4:5]
	v_lshlrev_b64 v[16:17], 1, v[0:1]
	v_mov_b32_e32 v7, v9
	v_add_co_u32_e32 v16, vcc, v10, v16
	v_addc_co_u32_e32 v17, vcc, v11, v17, vcc
	v_lshlrev_b64 v[10:11], 1, v[12:13]
	v_and_b32_e32 v6, -2, v8
	v_add_co_u32_e32 v16, vcc, v16, v10
	v_addc_co_u32_e32 v17, vcc, v17, v11, vcc
	v_lshlrev_b64 v[10:11], 1, v[2:3]
	v_mov_b32_e32 v19, v18
	v_sub_co_u32_e32 v10, vcc, v16, v10
	v_subb_co_u32_e32 v11, vcc, v17, v11, vcc
	v_mov_b32_e32 v16, s9
	v_add_co_u32_e32 v10, vcc, s8, v10
	v_addc_co_u32_e32 v11, vcc, v16, v11, vcc
	v_add_co_u32_e32 v10, vcc, 2, v10
	v_mov_b32_e32 v17, v7
	v_addc_co_u32_e32 v11, vcc, 0, v11, vcc
	s_mov_b64 s[10:11], 0
	s_movk_i32 s14, 0x7fff
	v_mov_b32_e32 v20, 0x7fc0
	v_mov_b32_e32 v16, v6
	s_branch .LBB2_64
.LBB2_63:                               ;   in Loop: Header=BB2_64 Depth=1
	s_or_b64 exec, exec, s[12:13]
	v_add_co_u32_e32 v16, vcc, -2, v16
	v_addc_co_u32_e32 v17, vcc, -1, v17, vcc
	v_cmp_eq_u64_e32 vcc, 0, v[16:17]
	s_or_b64 s[10:11], vcc, s[10:11]
	v_add_co_u32_e32 v10, vcc, 4, v10
	v_addc_co_u32_e32 v11, vcc, 0, v11, vcc
	s_andn2_b64 exec, exec, s[10:11]
	s_cbranch_execz .LBB2_68
.LBB2_64:                               ; =>This Inner Loop Header: Depth=1
	global_load_dword v21, v[10:11], off offset:-2
	s_waitcnt vmcnt(0)
	v_and_b32_e32 v22, 0xffff0000, v21
	v_lshlrev_b32_e32 v23, 16, v21
	v_div_scale_f32 v21, s[0:1], v19, v19, v22
	v_div_scale_f32 v24, s[0:1], v18, v18, v23
	v_div_scale_f32 v25, vcc, v22, v19, v22
	v_div_scale_f32 v26, s[0:1], v23, v18, v23
	v_rcp_f32_e32 v27, v21
	v_rcp_f32_e32 v28, v24
	v_fma_f32 v29, -v21, v27, 1.0
	v_fmac_f32_e32 v27, v29, v27
	v_fma_f32 v30, -v24, v28, 1.0
	v_fmac_f32_e32 v28, v30, v28
	v_mul_f32_e32 v29, v25, v27
	v_mul_f32_e32 v30, v26, v28
	v_fma_f32 v31, -v21, v29, v25
	v_fma_f32 v32, -v24, v30, v26
	v_fmac_f32_e32 v29, v31, v27
	v_fmac_f32_e32 v30, v32, v28
	v_fma_f32 v21, -v21, v29, v25
	v_fma_f32 v24, -v24, v30, v26
	v_div_fmas_f32 v21, v21, v27, v29
	s_mov_b64 vcc, s[0:1]
	v_div_fmas_f32 v24, v24, v28, v30
	v_cmp_lt_f32_e64 s[0:1], 0, v22
	v_cmp_lt_f32_e32 vcc, 0, v23
	v_div_fixup_f32 v21, v21, v19, v22
	v_div_fixup_f32 v22, v24, v18, v23
	s_and_saveexec_b64 s[12:13], vcc
	s_cbranch_execz .LBB2_66
; %bb.65:                               ;   in Loop: Header=BB2_64 Depth=1
	v_bfe_u32 v23, v22, 16, 1
	v_add3_u32 v23, v22, v23, s14
	v_cmp_o_f32_e32 vcc, v22, v22
	v_cndmask_b32_sdwa v22, v20, v23, vcc dst_sel:DWORD dst_unused:UNUSED_PAD src0_sel:DWORD src1_sel:WORD_1
	global_store_short v[10:11], v22, off offset:-2
.LBB2_66:                               ;   in Loop: Header=BB2_64 Depth=1
	s_or_b64 exec, exec, s[12:13]
	s_and_saveexec_b64 s[12:13], s[0:1]
	s_cbranch_execz .LBB2_63
; %bb.67:                               ;   in Loop: Header=BB2_64 Depth=1
	v_bfe_u32 v22, v21, 16, 1
	v_add3_u32 v22, v21, v22, s14
	v_cmp_o_f32_e32 vcc, v21, v21
	v_cndmask_b32_sdwa v21, v20, v22, vcc dst_sel:DWORD dst_unused:UNUSED_PAD src0_sel:DWORD src1_sel:WORD_1
	global_store_short v[10:11], v21, off
	s_branch .LBB2_63
.LBB2_68:
	s_or_b64 exec, exec, s[10:11]
	v_cmp_ne_u64_e32 vcc, v[8:9], v[6:7]
	v_add_co_u32_e64 v12, s[0:1], v6, v12
	v_addc_co_u32_e64 v13, s[0:1], v7, v13, s[0:1]
	s_orn2_b64 s[10:11], vcc, exec
.LBB2_69:
	s_or_b64 exec, exec, s[6:7]
	s_andn2_b64 s[0:1], s[2:3], exec
	s_and_b64 s[2:3], s[10:11], exec
	s_or_b64 s[2:3], s[0:1], s[2:3]
.LBB2_70:
	s_or_b64 exec, exec, s[4:5]
	s_and_b64 exec, exec, s[2:3]
	s_cbranch_execz .LBB2_75
; %bb.71:
	v_lshlrev_b64 v[4:5], 1, v[4:5]
	v_lshlrev_b64 v[6:7], 1, v[12:13]
	;; [unrolled: 1-line block ×3, first 2 shown]
	v_add_co_u32_e32 v4, vcc, v4, v6
	v_addc_co_u32_e32 v5, vcc, v5, v7, vcc
	v_mul_lo_u32 v5, s28, v5
	v_mul_lo_u32 v6, s29, v4
	v_mad_u64_u32 v[0:1], s[0:1], s28, v4, v[0:1]
	s_lshl_b64 s[0:1], s[28:29], 1
	s_mov_b64 s[2:3], 0
	v_add3_u32 v4, v6, v1, v5
	v_lshlrev_b64 v[1:2], 1, v[2:3]
	s_movk_i32 s6, 0x7fff
	v_sub_co_u32_e32 v0, vcc, v0, v1
	v_subb_co_u32_e32 v1, vcc, v4, v2, vcc
	v_mov_b32_e32 v2, s9
	v_add_co_u32_e32 v0, vcc, s8, v0
	v_addc_co_u32_e32 v1, vcc, v2, v1, vcc
	v_mov_b32_e32 v2, 0x7fc0
	v_mov_b32_e32 v3, s1
	s_branch .LBB2_73
.LBB2_72:                               ;   in Loop: Header=BB2_73 Depth=1
	s_or_b64 exec, exec, s[4:5]
	v_add_co_u32_e32 v12, vcc, 1, v12
	v_addc_co_u32_e32 v13, vcc, 0, v13, vcc
	v_cmp_ge_i64_e32 vcc, v[12:13], v[14:15]
	s_or_b64 s[2:3], vcc, s[2:3]
	v_add_co_u32_e32 v0, vcc, s0, v0
	v_addc_co_u32_e32 v1, vcc, v1, v3, vcc
	s_andn2_b64 exec, exec, s[2:3]
	s_cbranch_execz .LBB2_75
.LBB2_73:                               ; =>This Inner Loop Header: Depth=1
	global_load_ushort v4, v[0:1], off
	s_waitcnt vmcnt(0)
	v_lshlrev_b32_e32 v4, 16, v4
	v_cmp_lt_f32_e32 vcc, 0, v4
	s_and_saveexec_b64 s[4:5], vcc
	s_cbranch_execz .LBB2_72
; %bb.74:                               ;   in Loop: Header=BB2_73 Depth=1
	v_div_scale_f32 v5, s[8:9], v18, v18, v4
	v_div_scale_f32 v6, vcc, v4, v18, v4
	v_rcp_f32_e32 v7, v5
	v_fma_f32 v8, -v5, v7, 1.0
	v_fmac_f32_e32 v7, v8, v7
	v_mul_f32_e32 v8, v6, v7
	v_fma_f32 v9, -v5, v8, v6
	v_fmac_f32_e32 v8, v9, v7
	v_fma_f32 v5, -v5, v8, v6
	v_div_fmas_f32 v5, v5, v7, v8
	v_div_fixup_f32 v4, v5, v18, v4
	v_bfe_u32 v5, v4, 16, 1
	v_cmp_o_f32_e32 vcc, v4, v4
	v_add3_u32 v4, v4, v5, s6
	v_cndmask_b32_sdwa v4, v2, v4, vcc dst_sel:DWORD dst_unused:UNUSED_PAD src0_sel:DWORD src1_sel:WORD_1
	global_store_short v[0:1], v4, off
	s_branch .LBB2_72
.LBB2_75:
	s_endpgm
	.section	.rodata,"a",@progbits
	.p2align	6, 0x0
	.amdhsa_kernel _ZN2at6native12_GLOBAL__N_130segment_reduce_backward_kernelIN3c108BFloat16EiEEvNS0_13ReductionTypeEPT_PKS6_S9_S9_PKT0_SC_llS6_lllllll
		.amdhsa_group_segment_fixed_size 0
		.amdhsa_private_segment_fixed_size 0
		.amdhsa_kernarg_size 392
		.amdhsa_user_sgpr_count 6
		.amdhsa_user_sgpr_private_segment_buffer 1
		.amdhsa_user_sgpr_dispatch_ptr 0
		.amdhsa_user_sgpr_queue_ptr 0
		.amdhsa_user_sgpr_kernarg_segment_ptr 1
		.amdhsa_user_sgpr_dispatch_id 0
		.amdhsa_user_sgpr_flat_scratch_init 0
		.amdhsa_user_sgpr_private_segment_size 0
		.amdhsa_uses_dynamic_stack 0
		.amdhsa_system_sgpr_private_segment_wavefront_offset 0
		.amdhsa_system_sgpr_workgroup_id_x 1
		.amdhsa_system_sgpr_workgroup_id_y 0
		.amdhsa_system_sgpr_workgroup_id_z 0
		.amdhsa_system_sgpr_workgroup_info 0
		.amdhsa_system_vgpr_workitem_id 0
		.amdhsa_next_free_vgpr 35
		.amdhsa_next_free_sgpr 44
		.amdhsa_reserve_vcc 1
		.amdhsa_reserve_flat_scratch 0
		.amdhsa_float_round_mode_32 0
		.amdhsa_float_round_mode_16_64 0
		.amdhsa_float_denorm_mode_32 3
		.amdhsa_float_denorm_mode_16_64 3
		.amdhsa_dx10_clamp 1
		.amdhsa_ieee_mode 1
		.amdhsa_fp16_overflow 0
		.amdhsa_exception_fp_ieee_invalid_op 0
		.amdhsa_exception_fp_denorm_src 0
		.amdhsa_exception_fp_ieee_div_zero 0
		.amdhsa_exception_fp_ieee_overflow 0
		.amdhsa_exception_fp_ieee_underflow 0
		.amdhsa_exception_fp_ieee_inexact 0
		.amdhsa_exception_int_div_zero 0
	.end_amdhsa_kernel
	.section	.text._ZN2at6native12_GLOBAL__N_130segment_reduce_backward_kernelIN3c108BFloat16EiEEvNS0_13ReductionTypeEPT_PKS6_S9_S9_PKT0_SC_llS6_lllllll,"axG",@progbits,_ZN2at6native12_GLOBAL__N_130segment_reduce_backward_kernelIN3c108BFloat16EiEEvNS0_13ReductionTypeEPT_PKS6_S9_S9_PKT0_SC_llS6_lllllll,comdat
.Lfunc_end2:
	.size	_ZN2at6native12_GLOBAL__N_130segment_reduce_backward_kernelIN3c108BFloat16EiEEvNS0_13ReductionTypeEPT_PKS6_S9_S9_PKT0_SC_llS6_lllllll, .Lfunc_end2-_ZN2at6native12_GLOBAL__N_130segment_reduce_backward_kernelIN3c108BFloat16EiEEvNS0_13ReductionTypeEPT_PKS6_S9_S9_PKT0_SC_llS6_lllllll
                                        ; -- End function
	.set _ZN2at6native12_GLOBAL__N_130segment_reduce_backward_kernelIN3c108BFloat16EiEEvNS0_13ReductionTypeEPT_PKS6_S9_S9_PKT0_SC_llS6_lllllll.num_vgpr, 35
	.set _ZN2at6native12_GLOBAL__N_130segment_reduce_backward_kernelIN3c108BFloat16EiEEvNS0_13ReductionTypeEPT_PKS6_S9_S9_PKT0_SC_llS6_lllllll.num_agpr, 0
	.set _ZN2at6native12_GLOBAL__N_130segment_reduce_backward_kernelIN3c108BFloat16EiEEvNS0_13ReductionTypeEPT_PKS6_S9_S9_PKT0_SC_llS6_lllllll.numbered_sgpr, 44
	.set _ZN2at6native12_GLOBAL__N_130segment_reduce_backward_kernelIN3c108BFloat16EiEEvNS0_13ReductionTypeEPT_PKS6_S9_S9_PKT0_SC_llS6_lllllll.num_named_barrier, 0
	.set _ZN2at6native12_GLOBAL__N_130segment_reduce_backward_kernelIN3c108BFloat16EiEEvNS0_13ReductionTypeEPT_PKS6_S9_S9_PKT0_SC_llS6_lllllll.private_seg_size, 0
	.set _ZN2at6native12_GLOBAL__N_130segment_reduce_backward_kernelIN3c108BFloat16EiEEvNS0_13ReductionTypeEPT_PKS6_S9_S9_PKT0_SC_llS6_lllllll.uses_vcc, 1
	.set _ZN2at6native12_GLOBAL__N_130segment_reduce_backward_kernelIN3c108BFloat16EiEEvNS0_13ReductionTypeEPT_PKS6_S9_S9_PKT0_SC_llS6_lllllll.uses_flat_scratch, 0
	.set _ZN2at6native12_GLOBAL__N_130segment_reduce_backward_kernelIN3c108BFloat16EiEEvNS0_13ReductionTypeEPT_PKS6_S9_S9_PKT0_SC_llS6_lllllll.has_dyn_sized_stack, 0
	.set _ZN2at6native12_GLOBAL__N_130segment_reduce_backward_kernelIN3c108BFloat16EiEEvNS0_13ReductionTypeEPT_PKS6_S9_S9_PKT0_SC_llS6_lllllll.has_recursion, 0
	.set _ZN2at6native12_GLOBAL__N_130segment_reduce_backward_kernelIN3c108BFloat16EiEEvNS0_13ReductionTypeEPT_PKS6_S9_S9_PKT0_SC_llS6_lllllll.has_indirect_call, 0
	.section	.AMDGPU.csdata,"",@progbits
; Kernel info:
; codeLenInByte = 5456
; TotalNumSgprs: 48
; NumVgprs: 35
; ScratchSize: 0
; MemoryBound: 0
; FloatMode: 240
; IeeeMode: 1
; LDSByteSize: 0 bytes/workgroup (compile time only)
; SGPRBlocks: 5
; VGPRBlocks: 8
; NumSGPRsForWavesPerEU: 48
; NumVGPRsForWavesPerEU: 35
; Occupancy: 7
; WaveLimiterHint : 1
; COMPUTE_PGM_RSRC2:SCRATCH_EN: 0
; COMPUTE_PGM_RSRC2:USER_SGPR: 6
; COMPUTE_PGM_RSRC2:TRAP_HANDLER: 0
; COMPUTE_PGM_RSRC2:TGID_X_EN: 1
; COMPUTE_PGM_RSRC2:TGID_Y_EN: 0
; COMPUTE_PGM_RSRC2:TGID_Z_EN: 0
; COMPUTE_PGM_RSRC2:TIDIG_COMP_CNT: 0
	.section	.text._ZN2at6native12_GLOBAL__N_130segment_reduce_backward_kernelIN3c104HalfEiEEvNS0_13ReductionTypeEPT_PKS6_S9_S9_PKT0_SC_llS6_lllllll,"axG",@progbits,_ZN2at6native12_GLOBAL__N_130segment_reduce_backward_kernelIN3c104HalfEiEEvNS0_13ReductionTypeEPT_PKS6_S9_S9_PKT0_SC_llS6_lllllll,comdat
	.globl	_ZN2at6native12_GLOBAL__N_130segment_reduce_backward_kernelIN3c104HalfEiEEvNS0_13ReductionTypeEPT_PKS6_S9_S9_PKT0_SC_llS6_lllllll ; -- Begin function _ZN2at6native12_GLOBAL__N_130segment_reduce_backward_kernelIN3c104HalfEiEEvNS0_13ReductionTypeEPT_PKS6_S9_S9_PKT0_SC_llS6_lllllll
	.p2align	8
	.type	_ZN2at6native12_GLOBAL__N_130segment_reduce_backward_kernelIN3c104HalfEiEEvNS0_13ReductionTypeEPT_PKS6_S9_S9_PKT0_SC_llS6_lllllll,@function
_ZN2at6native12_GLOBAL__N_130segment_reduce_backward_kernelIN3c104HalfEiEEvNS0_13ReductionTypeEPT_PKS6_S9_S9_PKT0_SC_llS6_lllllll: ; @_ZN2at6native12_GLOBAL__N_130segment_reduce_backward_kernelIN3c104HalfEiEEvNS0_13ReductionTypeEPT_PKS6_S9_S9_PKT0_SC_llS6_lllllll
; %bb.0:
	s_load_dword s0, s[4:5], 0x94
	s_load_dwordx16 s[8:23], s[4:5], 0x8
	s_load_dwordx8 s[24:31], s[4:5], 0x50
	v_mov_b32_e32 v2, 0
	v_mov_b32_e32 v1, v2
	s_waitcnt lgkmcnt(0)
	s_and_b32 s0, s0, 0xffff
	v_mov_b32_e32 v3, s6
	v_mad_u64_u32 v[0:1], s[0:1], s0, v3, v[0:1]
	s_mul_i32 s0, s24, s21
	s_mul_hi_u32 s1, s24, s20
	s_add_i32 s0, s1, s0
	s_mul_i32 s1, s25, s20
	s_mul_i32 s2, s24, s20
	s_add_i32 s0, s0, s1
	s_mul_i32 s1, s2, s27
	s_mul_hi_u32 s3, s2, s26
	s_add_i32 s1, s3, s1
	s_mul_i32 s0, s0, s26
	s_add_i32 s1, s1, s0
	s_mul_i32 s0, s2, s26
	v_cmp_gt_i64_e32 vcc, s[0:1], v[0:1]
	s_and_saveexec_b64 s[0:1], vcc
	s_cbranch_execz .LBB3_75
; %bb.1:
	v_or_b32_e32 v3, s27, v1
	v_cmp_ne_u64_e32 vcc, 0, v[2:3]
                                        ; implicit-def: $vgpr2_vgpr3
	s_and_saveexec_b64 s[0:1], vcc
	s_xor_b64 s[2:3], exec, s[0:1]
	s_cbranch_execz .LBB3_3
; %bb.2:
	s_ashr_i32 s6, s27, 31
	s_add_u32 s0, s26, s6
	s_mov_b32 s7, s6
	s_addc_u32 s1, s27, s6
	s_xor_b64 s[24:25], s[0:1], s[6:7]
	v_cvt_f32_u32_e32 v2, s24
	v_cvt_f32_u32_e32 v3, s25
	s_sub_u32 s7, 0, s24
	s_subb_u32 s33, 0, s25
	v_ashrrev_i32_e32 v6, 31, v1
	v_madmk_f32 v2, v3, 0x4f800000, v2
	v_rcp_f32_e32 v2, v2
	v_mul_f32_e32 v2, 0x5f7ffffc, v2
	v_mul_f32_e32 v3, 0x2f800000, v2
	v_trunc_f32_e32 v3, v3
	v_madmk_f32 v2, v3, 0xcf800000, v2
	v_cvt_u32_f32_e32 v3, v3
	v_cvt_u32_f32_e32 v2, v2
	v_readfirstlane_b32 s34, v3
	v_readfirstlane_b32 s0, v2
	s_mul_i32 s1, s7, s34
	s_mul_hi_u32 s36, s7, s0
	s_mul_i32 s35, s33, s0
	s_add_i32 s1, s36, s1
	s_add_i32 s1, s1, s35
	s_mul_i32 s37, s7, s0
	s_mul_i32 s36, s0, s1
	s_mul_hi_u32 s38, s0, s37
	s_mul_hi_u32 s35, s0, s1
	s_add_u32 s36, s38, s36
	s_addc_u32 s35, 0, s35
	s_mul_hi_u32 s39, s34, s37
	s_mul_i32 s37, s34, s37
	s_add_u32 s36, s36, s37
	s_mul_hi_u32 s38, s34, s1
	s_addc_u32 s35, s35, s39
	s_addc_u32 s36, s38, 0
	s_mul_i32 s1, s34, s1
	s_add_u32 s1, s35, s1
	s_addc_u32 s35, 0, s36
	s_add_u32 s36, s0, s1
	s_cselect_b64 s[0:1], -1, 0
	s_cmp_lg_u64 s[0:1], 0
	s_addc_u32 s34, s34, s35
	s_mul_i32 s0, s7, s34
	s_mul_hi_u32 s1, s7, s36
	s_add_i32 s0, s1, s0
	s_mul_i32 s33, s33, s36
	s_add_i32 s0, s0, s33
	s_mul_i32 s7, s7, s36
	s_mul_hi_u32 s33, s34, s7
	s_mul_i32 s35, s34, s7
	s_mul_i32 s38, s36, s0
	s_mul_hi_u32 s7, s36, s7
	s_mul_hi_u32 s37, s36, s0
	s_add_u32 s7, s7, s38
	s_addc_u32 s37, 0, s37
	s_add_u32 s7, s7, s35
	s_mul_hi_u32 s1, s34, s0
	s_addc_u32 s7, s37, s33
	s_addc_u32 s1, s1, 0
	s_mul_i32 s0, s34, s0
	s_add_u32 s0, s7, s0
	s_addc_u32 s7, 0, s1
	s_add_u32 s33, s36, s0
	s_cselect_b64 s[0:1], -1, 0
	s_cmp_lg_u64 s[0:1], 0
	v_add_co_u32_e32 v2, vcc, v0, v6
	s_addc_u32 s7, s34, s7
	v_xor_b32_e32 v7, v2, v6
	v_mad_u64_u32 v[2:3], s[0:1], v7, s7, 0
	v_mul_hi_u32 v5, v7, s33
	v_addc_co_u32_e32 v4, vcc, v1, v6, vcc
	v_xor_b32_e32 v8, v4, v6
	v_add_co_u32_e32 v9, vcc, v5, v2
	v_addc_co_u32_e32 v10, vcc, 0, v3, vcc
	v_mad_u64_u32 v[2:3], s[0:1], v8, s33, 0
	v_mad_u64_u32 v[4:5], s[0:1], v8, s7, 0
	v_add_co_u32_e32 v2, vcc, v9, v2
	v_addc_co_u32_e32 v2, vcc, v10, v3, vcc
	v_addc_co_u32_e32 v3, vcc, 0, v5, vcc
	v_add_co_u32_e32 v4, vcc, v2, v4
	v_addc_co_u32_e32 v5, vcc, 0, v3, vcc
	v_mul_lo_u32 v9, s25, v4
	v_mul_lo_u32 v10, s24, v5
	v_mad_u64_u32 v[2:3], s[0:1], s24, v4, 0
	v_add3_u32 v3, v3, v10, v9
	v_sub_u32_e32 v9, v8, v3
	v_mov_b32_e32 v10, s25
	v_sub_co_u32_e32 v2, vcc, v7, v2
	v_subb_co_u32_e64 v7, s[0:1], v9, v10, vcc
	v_subrev_co_u32_e64 v9, s[0:1], s24, v2
	v_subbrev_co_u32_e64 v7, s[0:1], 0, v7, s[0:1]
	v_cmp_le_u32_e64 s[0:1], s25, v7
	v_cndmask_b32_e64 v10, 0, -1, s[0:1]
	v_cmp_le_u32_e64 s[0:1], s24, v9
	v_cndmask_b32_e64 v9, 0, -1, s[0:1]
	v_cmp_eq_u32_e64 s[0:1], s25, v7
	v_cndmask_b32_e64 v7, v10, v9, s[0:1]
	v_add_co_u32_e64 v9, s[0:1], 2, v4
	v_subb_co_u32_e32 v3, vcc, v8, v3, vcc
	v_addc_co_u32_e64 v10, s[0:1], 0, v5, s[0:1]
	v_cmp_le_u32_e32 vcc, s25, v3
	v_add_co_u32_e64 v11, s[0:1], 1, v4
	v_cndmask_b32_e64 v8, 0, -1, vcc
	v_cmp_le_u32_e32 vcc, s24, v2
	v_addc_co_u32_e64 v12, s[0:1], 0, v5, s[0:1]
	v_cndmask_b32_e64 v2, 0, -1, vcc
	v_cmp_eq_u32_e32 vcc, s25, v3
	v_cmp_ne_u32_e64 s[0:1], 0, v7
	v_cndmask_b32_e32 v2, v8, v2, vcc
	v_cndmask_b32_e64 v7, v12, v10, s[0:1]
	v_cmp_ne_u32_e32 vcc, 0, v2
	v_cndmask_b32_e64 v3, v11, v9, s[0:1]
	v_cndmask_b32_e32 v2, v5, v7, vcc
	v_cndmask_b32_e32 v3, v4, v3, vcc
	v_xor_b32_e32 v4, s6, v6
	v_xor_b32_e32 v5, v2, v4
	;; [unrolled: 1-line block ×3, first 2 shown]
	v_sub_co_u32_e32 v2, vcc, v2, v4
	v_subb_co_u32_e32 v3, vcc, v5, v4, vcc
.LBB3_3:
	s_andn2_saveexec_b64 s[0:1], s[2:3]
	s_cbranch_execz .LBB3_5
; %bb.4:
	v_cvt_f32_u32_e32 v2, s26
	s_sub_i32 s2, 0, s26
	v_rcp_iflag_f32_e32 v2, v2
	v_mul_f32_e32 v2, 0x4f7ffffe, v2
	v_cvt_u32_f32_e32 v2, v2
	v_mul_lo_u32 v3, s2, v2
	v_mul_hi_u32 v3, v2, v3
	v_add_u32_e32 v2, v2, v3
	v_mul_hi_u32 v2, v0, v2
	v_mul_lo_u32 v3, v2, s26
	v_add_u32_e32 v4, 1, v2
	v_sub_u32_e32 v3, v0, v3
	v_subrev_u32_e32 v5, s26, v3
	v_cmp_le_u32_e32 vcc, s26, v3
	v_cndmask_b32_e32 v3, v3, v5, vcc
	v_cndmask_b32_e32 v2, v2, v4, vcc
	v_add_u32_e32 v4, 1, v2
	v_cmp_le_u32_e32 vcc, s26, v3
	v_cndmask_b32_e32 v2, v2, v4, vcc
	v_mov_b32_e32 v3, 0
.LBB3_5:
	s_or_b64 exec, exec, s[0:1]
	v_or_b32_e32 v5, s21, v3
	v_mov_b32_e32 v4, 0
	v_cmp_ne_u64_e32 vcc, 0, v[4:5]
                                        ; implicit-def: $vgpr4_vgpr5
	s_and_saveexec_b64 s[0:1], vcc
	s_xor_b64 s[2:3], exec, s[0:1]
	s_cbranch_execz .LBB3_7
; %bb.6:
	s_ashr_i32 s6, s21, 31
	s_add_u32 s0, s20, s6
	s_mov_b32 s7, s6
	s_addc_u32 s1, s21, s6
	s_xor_b64 s[24:25], s[0:1], s[6:7]
	v_cvt_f32_u32_e32 v4, s24
	v_cvt_f32_u32_e32 v5, s25
	s_sub_u32 s7, 0, s24
	s_subb_u32 s33, 0, s25
	v_ashrrev_i32_e32 v8, 31, v3
	v_madmk_f32 v4, v5, 0x4f800000, v4
	v_rcp_f32_e32 v4, v4
	v_mul_f32_e32 v4, 0x5f7ffffc, v4
	v_mul_f32_e32 v5, 0x2f800000, v4
	v_trunc_f32_e32 v5, v5
	v_madmk_f32 v4, v5, 0xcf800000, v4
	v_cvt_u32_f32_e32 v5, v5
	v_cvt_u32_f32_e32 v4, v4
	v_readfirstlane_b32 s34, v5
	v_readfirstlane_b32 s0, v4
	s_mul_i32 s1, s7, s34
	s_mul_hi_u32 s36, s7, s0
	s_mul_i32 s35, s33, s0
	s_add_i32 s1, s36, s1
	s_add_i32 s1, s1, s35
	s_mul_i32 s37, s7, s0
	s_mul_i32 s36, s0, s1
	s_mul_hi_u32 s38, s0, s37
	s_mul_hi_u32 s35, s0, s1
	s_add_u32 s36, s38, s36
	s_addc_u32 s35, 0, s35
	s_mul_hi_u32 s39, s34, s37
	s_mul_i32 s37, s34, s37
	s_add_u32 s36, s36, s37
	s_mul_hi_u32 s38, s34, s1
	s_addc_u32 s35, s35, s39
	s_addc_u32 s36, s38, 0
	s_mul_i32 s1, s34, s1
	s_add_u32 s1, s35, s1
	s_addc_u32 s35, 0, s36
	s_add_u32 s36, s0, s1
	s_cselect_b64 s[0:1], -1, 0
	s_cmp_lg_u64 s[0:1], 0
	s_addc_u32 s34, s34, s35
	s_mul_i32 s0, s7, s34
	s_mul_hi_u32 s1, s7, s36
	s_add_i32 s0, s1, s0
	s_mul_i32 s33, s33, s36
	s_add_i32 s0, s0, s33
	s_mul_i32 s7, s7, s36
	s_mul_hi_u32 s33, s34, s7
	s_mul_i32 s35, s34, s7
	s_mul_i32 s38, s36, s0
	s_mul_hi_u32 s7, s36, s7
	s_mul_hi_u32 s37, s36, s0
	s_add_u32 s7, s7, s38
	s_addc_u32 s37, 0, s37
	s_add_u32 s7, s7, s35
	s_mul_hi_u32 s1, s34, s0
	s_addc_u32 s7, s37, s33
	s_addc_u32 s1, s1, 0
	s_mul_i32 s0, s34, s0
	s_add_u32 s0, s7, s0
	s_addc_u32 s7, 0, s1
	s_add_u32 s33, s36, s0
	s_cselect_b64 s[0:1], -1, 0
	s_cmp_lg_u64 s[0:1], 0
	v_add_co_u32_e32 v4, vcc, v2, v8
	s_addc_u32 s7, s34, s7
	v_xor_b32_e32 v9, v4, v8
	v_mad_u64_u32 v[4:5], s[0:1], v9, s7, 0
	v_mul_hi_u32 v7, v9, s33
	v_addc_co_u32_e32 v6, vcc, v3, v8, vcc
	v_xor_b32_e32 v10, v6, v8
	v_add_co_u32_e32 v11, vcc, v7, v4
	v_addc_co_u32_e32 v12, vcc, 0, v5, vcc
	v_mad_u64_u32 v[4:5], s[0:1], v10, s33, 0
	v_mad_u64_u32 v[6:7], s[0:1], v10, s7, 0
	v_add_co_u32_e32 v4, vcc, v11, v4
	v_addc_co_u32_e32 v4, vcc, v12, v5, vcc
	v_addc_co_u32_e32 v5, vcc, 0, v7, vcc
	v_add_co_u32_e32 v6, vcc, v4, v6
	v_addc_co_u32_e32 v7, vcc, 0, v5, vcc
	v_mul_lo_u32 v11, s25, v6
	v_mul_lo_u32 v12, s24, v7
	v_mad_u64_u32 v[4:5], s[0:1], s24, v6, 0
	v_add3_u32 v5, v5, v12, v11
	v_sub_u32_e32 v11, v10, v5
	v_mov_b32_e32 v12, s25
	v_sub_co_u32_e32 v4, vcc, v9, v4
	v_subb_co_u32_e64 v9, s[0:1], v11, v12, vcc
	v_subrev_co_u32_e64 v11, s[0:1], s24, v4
	v_subbrev_co_u32_e64 v9, s[0:1], 0, v9, s[0:1]
	v_cmp_le_u32_e64 s[0:1], s25, v9
	v_cndmask_b32_e64 v12, 0, -1, s[0:1]
	v_cmp_le_u32_e64 s[0:1], s24, v11
	v_cndmask_b32_e64 v11, 0, -1, s[0:1]
	v_cmp_eq_u32_e64 s[0:1], s25, v9
	v_cndmask_b32_e64 v9, v12, v11, s[0:1]
	v_add_co_u32_e64 v11, s[0:1], 2, v6
	v_subb_co_u32_e32 v5, vcc, v10, v5, vcc
	v_addc_co_u32_e64 v12, s[0:1], 0, v7, s[0:1]
	v_cmp_le_u32_e32 vcc, s25, v5
	v_add_co_u32_e64 v13, s[0:1], 1, v6
	v_cndmask_b32_e64 v10, 0, -1, vcc
	v_cmp_le_u32_e32 vcc, s24, v4
	v_addc_co_u32_e64 v14, s[0:1], 0, v7, s[0:1]
	v_cndmask_b32_e64 v4, 0, -1, vcc
	v_cmp_eq_u32_e32 vcc, s25, v5
	v_cmp_ne_u32_e64 s[0:1], 0, v9
	v_cndmask_b32_e32 v4, v10, v4, vcc
	v_cndmask_b32_e64 v9, v14, v12, s[0:1]
	v_cmp_ne_u32_e32 vcc, 0, v4
	v_cndmask_b32_e64 v5, v13, v11, s[0:1]
	v_cndmask_b32_e32 v4, v7, v9, vcc
	v_cndmask_b32_e32 v5, v6, v5, vcc
	v_xor_b32_e32 v6, s6, v8
	v_xor_b32_e32 v7, v4, v6
	;; [unrolled: 1-line block ×3, first 2 shown]
	v_sub_co_u32_e32 v4, vcc, v4, v6
	v_subb_co_u32_e32 v5, vcc, v7, v6, vcc
.LBB3_7:
	s_andn2_saveexec_b64 s[0:1], s[2:3]
	s_cbranch_execz .LBB3_9
; %bb.8:
	v_cvt_f32_u32_e32 v4, s20
	s_sub_i32 s2, 0, s20
	v_rcp_iflag_f32_e32 v4, v4
	v_mul_f32_e32 v4, 0x4f7ffffe, v4
	v_cvt_u32_f32_e32 v4, v4
	v_mul_lo_u32 v5, s2, v4
	v_mul_hi_u32 v5, v4, v5
	v_add_u32_e32 v4, v4, v5
	v_mul_hi_u32 v4, v2, v4
	v_mul_lo_u32 v5, v4, s20
	v_add_u32_e32 v6, 1, v4
	v_sub_u32_e32 v5, v2, v5
	v_subrev_u32_e32 v7, s20, v5
	v_cmp_le_u32_e32 vcc, s20, v5
	v_cndmask_b32_e32 v5, v5, v7, vcc
	v_cndmask_b32_e32 v4, v4, v6, vcc
	v_add_u32_e32 v6, 1, v4
	v_cmp_le_u32_e32 vcc, s20, v5
	v_cndmask_b32_e32 v4, v4, v6, vcc
	v_mov_b32_e32 v5, 0
.LBB3_9:
	s_or_b64 exec, exec, s[0:1]
	v_mul_lo_u32 v8, v5, s20
	v_mul_lo_u32 v9, v4, s21
	v_mad_u64_u32 v[6:7], s[0:1], v4, s20, 0
	v_add3_u32 v7, v7, v9, v8
	v_mul_lo_u32 v10, v7, s22
	v_mul_lo_u32 v11, v6, s23
	v_mad_u64_u32 v[8:9], s[0:1], v6, s22, 0
	v_sub_co_u32_e32 v6, vcc, v2, v6
	v_add3_u32 v9, v9, v11, v10
	v_lshlrev_b64 v[8:9], 2, v[8:9]
	v_subb_co_u32_e32 v7, vcc, v3, v7, vcc
	v_mov_b32_e32 v10, s17
	v_add_co_u32_e32 v11, vcc, s16, v8
	v_addc_co_u32_e32 v12, vcc, v10, v9, vcc
	v_lshlrev_b64 v[8:9], 2, v[6:7]
	v_add_co_u32_e32 v10, vcc, v11, v8
	v_addc_co_u32_e32 v11, vcc, v12, v9, vcc
	global_load_dword v30, v[10:11], off
	s_waitcnt vmcnt(0)
	v_cmp_ne_u32_e32 vcc, 0, v30
	s_and_b64 exec, exec, vcc
	s_cbranch_execz .LBB3_75
; %bb.10:
	s_load_dwordx8 s[36:43], s[4:5], 0x70
	s_add_u32 s0, s20, 1
	s_addc_u32 s1, s21, 0
	s_load_dword s22, s[4:5], 0x0
	s_waitcnt lgkmcnt(0)
	s_mul_i32 s1, s40, s1
	s_mul_hi_u32 s2, s40, s0
	s_mul_i32 s3, s41, s0
	s_add_i32 s1, s2, s1
	s_add_i32 s1, s1, s3
	s_mul_i32 s0, s40, s0
	v_mul_lo_u32 v12, s1, v4
	v_mul_lo_u32 v13, s0, v5
	v_mad_u64_u32 v[10:11], s[0:1], s0, v4, 0
	v_add3_u32 v11, v11, v13, v12
	v_lshlrev_b64 v[10:11], 2, v[10:11]
	v_mov_b32_e32 v12, s19
	v_add_co_u32_e32 v10, vcc, s18, v10
	v_addc_co_u32_e32 v11, vcc, v12, v11, vcc
	v_add_co_u32_e32 v8, vcc, v10, v8
	v_addc_co_u32_e32 v9, vcc, v11, v9, vcc
	global_load_dwordx2 v[8:9], v[8:9], off
	v_mul_lo_u32 v10, v3, s26
	v_mul_lo_u32 v11, v2, s27
	v_mad_u64_u32 v[2:3], s[0:1], v2, s26, 0
	v_mad_u64_u32 v[12:13], s[0:1], v4, s38, v[6:7]
	v_add3_u32 v3, v3, v11, v10
	v_mul_lo_u32 v10, v4, s39
	v_mul_lo_u32 v11, v5, s38
	v_sub_co_u32_e32 v6, vcc, v0, v2
	v_subb_co_u32_e32 v7, vcc, v1, v3, vcc
	v_add3_u32 v13, v11, v13, v10
	v_mad_u64_u32 v[10:11], s[0:1], v12, s36, v[6:7]
	v_mul_lo_u32 v12, v12, s37
	v_mul_lo_u32 v13, v13, s36
	s_and_b32 s0, s22, -3
	s_cmp_lg_u32 s0, 0
	v_add3_u32 v11, v13, v11, v12
	s_cbranch_scc0 .LBB3_25
; %bb.11:
	s_cmp_lt_i32 s22, 3
	s_mov_b64 s[0:1], -1
	s_cbranch_scc1 .LBB3_39
; %bb.12:
	s_cmp_lt_i32 s22, 4
	s_cbranch_scc1 .LBB3_28
; %bb.13:
	s_cmp_eq_u32 s22, 4
	s_cbranch_scc0 .LBB3_27
; %bb.14:
	s_waitcnt vmcnt(0)
	v_cmp_lt_i32_e32 vcc, v8, v9
	s_and_saveexec_b64 s[0:1], vcc
	s_cbranch_execz .LBB3_26
; %bb.15:
	v_lshlrev_b64 v[14:15], 1, v[10:11]
	v_mov_b32_e32 v13, s11
	v_add_co_u32_e32 v12, vcc, s10, v14
	v_addc_co_u32_e32 v13, vcc, v13, v15, vcc
	v_mov_b32_e32 v16, s13
	v_add_co_u32_e32 v14, vcc, s12, v14
	v_addc_co_u32_e32 v15, vcc, v16, v15, vcc
	global_load_ushort v29, v[12:13], off
	global_load_ushort v31, v[14:15], off
	v_mul_lo_u32 v18, s31, v4
	v_mul_lo_u32 v27, s30, v5
	v_mad_u64_u32 v[19:20], s[2:3], s30, v4, 0
	v_ashrrev_i32_e32 v15, 31, v8
	v_mov_b32_e32 v14, v8
	v_add3_u32 v20, v20, v27, v18
	v_lshlrev_b64 v[25:26], 1, v[14:15]
	v_lshlrev_b64 v[27:28], 1, v[19:20]
	v_lshlrev_b64 v[21:22], 1, v[0:1]
	v_add_co_u32_e32 v25, vcc, v27, v25
	v_addc_co_u32_e32 v26, vcc, v28, v26, vcc
	s_load_dword s23, s[4:5], 0x48
	v_mul_lo_u32 v28, v20, s28
	v_mul_lo_u32 v26, s28, v26
	v_mad_u64_u32 v[20:21], s[4:5], s28, v25, v[21:22]
	v_mul_lo_u32 v22, s29, v25
	v_lshlrev_b64 v[23:24], 1, v[2:3]
	v_mul_lo_u32 v27, v19, s29
	v_mad_u64_u32 v[18:19], s[4:5], v19, s28, v[6:7]
	v_add3_u32 v21, v22, v21, v26
	v_sub_co_u32_e32 v20, vcc, v20, v23
	v_subb_co_u32_e32 v21, vcc, v21, v24, vcc
	v_mov_b32_e32 v32, s15
	v_add_co_u32_e32 v20, vcc, s14, v20
	v_mov_b32_e32 v23, v15
	v_ashrrev_i32_e32 v17, 31, v9
	v_mov_b32_e32 v16, v9
	s_lshl_b64 s[2:3], s[28:29], 1
	s_mov_b64 s[4:5], 0
	s_mov_b64 s[6:7], 0
	v_add3_u32 v19, v28, v19, v27
	v_addc_co_u32_e32 v21, vcc, v32, v21, vcc
	v_mov_b32_e32 v22, v14
	s_waitcnt vmcnt(0)
	v_mul_f16_e32 v31, v29, v31
	s_branch .LBB3_18
.LBB3_16:                               ;   in Loop: Header=BB3_18 Depth=1
	s_or_b64 exec, exec, s[18:19]
	global_load_ushort v26, v[12:13], off
	s_waitcnt vmcnt(0)
	v_mul_f16_e32 v26, v26, v32
.LBB3_17:                               ;   in Loop: Header=BB3_18 Depth=1
	s_or_b64 exec, exec, s[16:17]
	v_mov_b32_e32 v27, s9
	v_add_co_u32_e32 v24, vcc, s8, v24
	v_addc_co_u32_e32 v25, vcc, v27, v25, vcc
	v_add_co_u32_e32 v22, vcc, 1, v22
	v_addc_co_u32_e32 v23, vcc, 0, v23, vcc
	s_add_u32 s6, s6, 1
	v_cmp_ge_i64_e32 vcc, v[22:23], v[16:17]
	s_addc_u32 s7, s7, 0
	s_or_b64 s[4:5], vcc, s[4:5]
	global_store_short v[24:25], v26, off
	s_andn2_b64 exec, exec, s[4:5]
	s_cbranch_execz .LBB3_26
.LBB3_18:                               ; =>This Loop Header: Depth=1
                                        ;     Child Loop BB3_23 Depth 2
	v_mad_u64_u32 v[24:25], s[16:17], v22, s28, v[18:19]
	v_mul_lo_u32 v26, v22, s29
	v_mul_lo_u32 v27, v23, s28
	v_add3_u32 v25, v27, v25, v26
	v_lshlrev_b64 v[24:25], 1, v[24:25]
	v_mov_b32_e32 v27, s15
	v_add_co_u32_e32 v26, vcc, s14, v24
	v_addc_co_u32_e32 v27, vcc, v27, v25, vcc
	global_load_ushort v27, v[26:27], off
                                        ; implicit-def: $vgpr26
	s_waitcnt vmcnt(0)
	v_cmp_lg_f16_e32 vcc, 0, v27
	s_and_saveexec_b64 s[16:17], vcc
	s_xor_b64 s[16:17], exec, s[16:17]
	s_cbranch_execz .LBB3_20
; %bb.19:                               ;   in Loop: Header=BB3_18 Depth=1
	v_cvt_f32_f16_e32 v26, v27
	v_cvt_f32_f16_e32 v28, v31
	v_rcp_f32_e32 v29, v26
	v_mul_f32_e32 v32, v28, v29
	v_mad_f32 v33, -v26, v32, v28
	v_mac_f32_e32 v32, v33, v29
	v_mad_f32 v26, -v26, v32, v28
	v_mul_f32_e32 v26, v26, v29
	v_and_b32_e32 v26, 0xff800000, v26
	v_add_f32_e32 v26, v26, v32
	v_cvt_f16_f32_e32 v26, v26
	v_div_fixup_f16 v26, v26, v27, v31
.LBB3_20:                               ;   in Loop: Header=BB3_18 Depth=1
	s_andn2_saveexec_b64 s[16:17], s[16:17]
	s_cbranch_execz .LBB3_17
; %bb.21:                               ;   in Loop: Header=BB3_18 Depth=1
	v_mov_b32_e32 v27, v21
	v_mov_b32_e32 v29, v15
	s_mov_b64 s[18:19], 0
	s_waitcnt lgkmcnt(0)
	v_mov_b32_e32 v32, s23
	s_mov_b64 s[20:21], s[6:7]
	v_mov_b32_e32 v26, v20
	v_mov_b32_e32 v28, v14
	s_branch .LBB3_23
.LBB3_22:                               ;   in Loop: Header=BB3_23 Depth=2
	v_add_co_u32_e32 v28, vcc, 1, v28
	v_addc_co_u32_e32 v29, vcc, 0, v29, vcc
	s_add_u32 s20, s20, -1
	v_cmp_ge_i64_e32 vcc, v[28:29], v[16:17]
	s_addc_u32 s21, s21, -1
	v_mov_b32_e32 v33, s3
	s_or_b64 s[18:19], vcc, s[18:19]
	v_add_co_u32_e32 v26, vcc, s2, v26
	v_addc_co_u32_e32 v27, vcc, v27, v33, vcc
	s_andn2_b64 exec, exec, s[18:19]
	s_cbranch_execz .LBB3_16
.LBB3_23:                               ;   Parent Loop BB3_18 Depth=1
                                        ; =>  This Inner Loop Header: Depth=2
	s_cmp_eq_u64 s[20:21], 0
	s_cbranch_scc1 .LBB3_22
; %bb.24:                               ;   in Loop: Header=BB3_23 Depth=2
	global_load_ushort v33, v[26:27], off
	s_waitcnt vmcnt(0)
	v_mul_f16_e32 v32, v33, v32
	s_branch .LBB3_22
.LBB3_25:
	s_cbranch_execnz .LBB3_51
	s_branch .LBB3_75
.LBB3_26:
	s_or_b64 exec, exec, s[0:1]
.LBB3_27:
	s_mov_b64 s[0:1], 0
.LBB3_28:
	s_andn2_b64 vcc, exec, s[0:1]
	s_cbranch_vccnz .LBB3_38
; %bb.29:
	s_waitcnt vmcnt(0)
	v_cmp_lt_i32_e32 vcc, v8, v9
	s_and_saveexec_b64 s[2:3], vcc
	s_cbranch_execz .LBB3_37
; %bb.30:
	v_lshlrev_b64 v[12:13], 1, v[10:11]
	v_mov_b32_e32 v14, s11
	v_add_co_u32_e32 v12, vcc, s10, v12
	v_addc_co_u32_e32 v13, vcc, v14, v13, vcc
	global_load_ushort v26, v[12:13], off
	v_mul_lo_u32 v18, s31, v4
	v_mul_lo_u32 v19, s30, v5
	v_mad_u64_u32 v[16:17], s[0:1], s30, v4, 0
	v_ashrrev_i32_e32 v13, 31, v9
	v_ashrrev_i32_e32 v15, 31, v8
	v_add3_u32 v17, v17, v19, v18
	v_sub_co_u32_e32 v18, vcc, v9, v8
	v_subb_co_u32_e32 v19, vcc, v13, v15, vcc
	v_cmp_lt_u64_e32 vcc, 1, v[18:19]
	s_cmp_eq_u64 s[28:29], 1
	s_cselect_b64 s[0:1], -1, 0
	v_mov_b32_e32 v12, v9
	v_mov_b32_e32 v14, v8
	s_and_b64 s[6:7], vcc, s[0:1]
	s_mov_b64 s[0:1], -1
	s_and_saveexec_b64 s[4:5], s[6:7]
	s_cbranch_execz .LBB3_34
; %bb.31:
	v_mul_lo_u32 v22, v17, s28
	v_mul_lo_u32 v23, v16, s29
	v_mad_u64_u32 v[20:21], s[0:1], v16, s28, 0
	s_mov_b32 s0, 0x5040100
	s_waitcnt vmcnt(0)
	v_perm_b32 v27, v26, v26, s0
	v_add3_u32 v21, v21, v23, v22
	v_lshlrev_b64 v[20:21], 1, v[20:21]
	v_mov_b32_e32 v22, s9
	v_add_co_u32_e32 v23, vcc, s8, v20
	v_addc_co_u32_e32 v22, vcc, v22, v21, vcc
	v_lshlrev_b64 v[20:21], 1, v[6:7]
	s_mov_b64 s[6:7], 0
	v_add_co_u32_e32 v24, vcc, v23, v20
	v_addc_co_u32_e32 v25, vcc, v22, v21, vcc
	v_lshlrev_b64 v[22:23], 1, v[14:15]
	v_mov_b32_e32 v21, v19
	v_add_co_u32_e32 v22, vcc, v24, v22
	v_and_b32_e32 v20, -2, v18
	v_addc_co_u32_e32 v23, vcc, v25, v23, vcc
	v_mov_b32_e32 v25, v21
	v_mov_b32_e32 v24, v20
.LBB3_32:                               ; =>This Inner Loop Header: Depth=1
	v_add_co_u32_e64 v24, s[0:1], -2, v24
	v_addc_co_u32_e64 v25, s[0:1], -1, v25, s[0:1]
	v_cmp_eq_u64_e64 s[0:1], 0, v[24:25]
	global_store_dword v[22:23], v27, off
	v_add_co_u32_e32 v22, vcc, 4, v22
	s_or_b64 s[6:7], s[0:1], s[6:7]
	v_addc_co_u32_e32 v23, vcc, 0, v23, vcc
	s_andn2_b64 exec, exec, s[6:7]
	s_cbranch_execnz .LBB3_32
; %bb.33:
	s_or_b64 exec, exec, s[6:7]
	v_cmp_ne_u64_e32 vcc, v[18:19], v[20:21]
	v_add_co_u32_e64 v14, s[0:1], v20, v14
	v_addc_co_u32_e64 v15, s[0:1], v21, v15, s[0:1]
	s_orn2_b64 s[0:1], vcc, exec
.LBB3_34:
	s_or_b64 exec, exec, s[4:5]
	s_and_b64 exec, exec, s[0:1]
	s_cbranch_execz .LBB3_37
; %bb.35:
	v_lshlrev_b64 v[16:17], 1, v[16:17]
	v_lshlrev_b64 v[18:19], 1, v[14:15]
	s_lshl_b64 s[4:5], s[28:29], 1
	v_add_co_u32_e32 v18, vcc, v16, v18
	v_addc_co_u32_e32 v19, vcc, v17, v19, vcc
	v_lshlrev_b64 v[16:17], 1, v[0:1]
	v_mul_lo_u32 v19, s28, v19
	v_mul_lo_u32 v20, s29, v18
	v_mad_u64_u32 v[16:17], s[0:1], s28, v18, v[16:17]
	s_mov_b64 s[6:7], 0
	v_add3_u32 v19, v20, v17, v19
	v_lshlrev_b64 v[17:18], 1, v[2:3]
	v_sub_co_u32_e32 v16, vcc, v16, v17
	v_subb_co_u32_e32 v17, vcc, v19, v18, vcc
	v_mov_b32_e32 v18, s9
	v_add_co_u32_e32 v16, vcc, s8, v16
	v_addc_co_u32_e32 v17, vcc, v18, v17, vcc
	v_mov_b32_e32 v18, s5
	s_waitcnt vmcnt(0)
.LBB3_36:                               ; =>This Inner Loop Header: Depth=1
	v_add_co_u32_e32 v14, vcc, 1, v14
	v_addc_co_u32_e32 v15, vcc, 0, v15, vcc
	v_cmp_ge_i64_e64 s[0:1], v[14:15], v[12:13]
	global_store_short v[16:17], v26, off
	v_add_co_u32_e32 v16, vcc, s4, v16
	s_or_b64 s[6:7], s[0:1], s[6:7]
	v_addc_co_u32_e32 v17, vcc, v17, v18, vcc
	s_andn2_b64 exec, exec, s[6:7]
	s_cbranch_execnz .LBB3_36
.LBB3_37:
	s_or_b64 exec, exec, s[2:3]
.LBB3_38:
	s_mov_b64 s[0:1], 0
.LBB3_39:
	s_andn2_b64 vcc, exec, s[0:1]
	s_cbranch_vccnz .LBB3_50
; %bb.40:
	s_cmp_lg_u32 s22, 1
	s_cbranch_scc1 .LBB3_50
; %bb.41:
	s_waitcnt vmcnt(0)
	v_cmp_lt_i32_e32 vcc, v8, v9
	s_and_saveexec_b64 s[2:3], vcc
	s_cbranch_execz .LBB3_49
; %bb.42:
	v_lshlrev_b64 v[12:13], 1, v[10:11]
	v_mov_b32_e32 v14, s11
	v_add_co_u32_e32 v12, vcc, s10, v12
	v_addc_co_u32_e32 v13, vcc, v14, v13, vcc
	global_load_ushort v20, v[12:13], off
	v_cvt_f32_i32_e32 v14, v30
	v_ashrrev_i32_e32 v13, 31, v9
	v_ashrrev_i32_e32 v15, 31, v8
	v_mul_lo_u32 v22, s31, v4
	v_cvt_f16_f32_e32 v21, v14
	v_mul_lo_u32 v23, s30, v5
	v_mad_u64_u32 v[16:17], s[0:1], s30, v4, 0
	v_cvt_f32_f16_e32 v24, v21
	v_sub_co_u32_e32 v18, vcc, v9, v8
	v_subb_co_u32_e32 v19, vcc, v13, v15, vcc
	v_rcp_f32_e32 v25, v24
	s_cmp_eq_u64 s[28:29], 1
	v_cmp_lt_u64_e32 vcc, 1, v[18:19]
	s_cselect_b64 s[0:1], -1, 0
	v_mov_b32_e32 v12, v9
	v_mov_b32_e32 v14, v8
	v_add3_u32 v17, v17, v23, v22
	s_and_b64 s[6:7], vcc, s[0:1]
	s_mov_b64 s[0:1], -1
	s_waitcnt vmcnt(0)
	v_cvt_f32_f16_e32 v26, v20
	v_mul_f32_e32 v27, v26, v25
	v_mad_f32 v28, -v24, v27, v26
	v_mac_f32_e32 v27, v28, v25
	v_mad_f32 v24, -v24, v27, v26
	v_mul_f32_e32 v24, v24, v25
	v_and_b32_e32 v24, 0xff800000, v24
	v_add_f32_e32 v24, v24, v27
	v_cvt_f16_f32_e32 v24, v24
	v_div_fixup_f16 v26, v24, v21, v20
	s_and_saveexec_b64 s[4:5], s[6:7]
	s_cbranch_execz .LBB3_46
; %bb.43:
	v_mul_lo_u32 v22, v17, s28
	v_mul_lo_u32 v23, v16, s29
	v_mad_u64_u32 v[20:21], s[0:1], v16, s28, 0
	s_mov_b32 s0, 0x5040100
	v_perm_b32 v27, v26, v26, s0
	v_add3_u32 v21, v21, v23, v22
	v_lshlrev_b64 v[20:21], 1, v[20:21]
	v_mov_b32_e32 v22, s9
	v_add_co_u32_e32 v23, vcc, s8, v20
	v_addc_co_u32_e32 v22, vcc, v22, v21, vcc
	v_lshlrev_b64 v[20:21], 1, v[6:7]
	s_mov_b64 s[6:7], 0
	v_add_co_u32_e32 v24, vcc, v23, v20
	v_addc_co_u32_e32 v25, vcc, v22, v21, vcc
	v_lshlrev_b64 v[22:23], 1, v[14:15]
	v_mov_b32_e32 v21, v19
	v_add_co_u32_e32 v22, vcc, v24, v22
	v_and_b32_e32 v20, -2, v18
	v_addc_co_u32_e32 v23, vcc, v25, v23, vcc
	v_mov_b32_e32 v25, v21
	v_mov_b32_e32 v24, v20
.LBB3_44:                               ; =>This Inner Loop Header: Depth=1
	v_add_co_u32_e64 v24, s[0:1], -2, v24
	v_addc_co_u32_e64 v25, s[0:1], -1, v25, s[0:1]
	v_cmp_eq_u64_e64 s[0:1], 0, v[24:25]
	global_store_dword v[22:23], v27, off
	v_add_co_u32_e32 v22, vcc, 4, v22
	s_or_b64 s[6:7], s[0:1], s[6:7]
	v_addc_co_u32_e32 v23, vcc, 0, v23, vcc
	s_andn2_b64 exec, exec, s[6:7]
	s_cbranch_execnz .LBB3_44
; %bb.45:
	s_or_b64 exec, exec, s[6:7]
	v_cmp_ne_u64_e32 vcc, v[18:19], v[20:21]
	v_add_co_u32_e64 v14, s[0:1], v20, v14
	v_addc_co_u32_e64 v15, s[0:1], v21, v15, s[0:1]
	s_orn2_b64 s[0:1], vcc, exec
.LBB3_46:
	s_or_b64 exec, exec, s[4:5]
	s_and_b64 exec, exec, s[0:1]
	s_cbranch_execz .LBB3_49
; %bb.47:
	v_lshlrev_b64 v[16:17], 1, v[16:17]
	v_lshlrev_b64 v[18:19], 1, v[14:15]
	s_lshl_b64 s[4:5], s[28:29], 1
	v_add_co_u32_e32 v18, vcc, v16, v18
	v_addc_co_u32_e32 v19, vcc, v17, v19, vcc
	v_lshlrev_b64 v[16:17], 1, v[0:1]
	v_mul_lo_u32 v19, s28, v19
	v_mul_lo_u32 v20, s29, v18
	v_mad_u64_u32 v[16:17], s[0:1], s28, v18, v[16:17]
	s_mov_b64 s[6:7], 0
	v_add3_u32 v19, v20, v17, v19
	v_lshlrev_b64 v[17:18], 1, v[2:3]
	v_sub_co_u32_e32 v16, vcc, v16, v17
	v_subb_co_u32_e32 v17, vcc, v19, v18, vcc
	v_mov_b32_e32 v18, s9
	v_add_co_u32_e32 v16, vcc, s8, v16
	v_addc_co_u32_e32 v17, vcc, v18, v17, vcc
	v_mov_b32_e32 v18, s5
.LBB3_48:                               ; =>This Inner Loop Header: Depth=1
	v_add_co_u32_e32 v14, vcc, 1, v14
	v_addc_co_u32_e32 v15, vcc, 0, v15, vcc
	v_cmp_ge_i64_e64 s[0:1], v[14:15], v[12:13]
	global_store_short v[16:17], v26, off
	v_add_co_u32_e32 v16, vcc, s4, v16
	s_or_b64 s[6:7], s[0:1], s[6:7]
	v_addc_co_u32_e32 v17, vcc, v17, v18, vcc
	s_andn2_b64 exec, exec, s[6:7]
	s_cbranch_execnz .LBB3_48
.LBB3_49:
	s_or_b64 exec, exec, s[2:3]
.LBB3_50:
	s_branch .LBB3_75
.LBB3_51:
	v_mov_b32_e32 v16, 0
	s_waitcnt vmcnt(0)
	v_ashrrev_i32_e32 v13, 31, v8
	v_mov_b32_e32 v12, v8
	v_ashrrev_i32_e32 v15, 31, v9
	v_mov_b32_e32 v14, v9
	v_cmp_ge_i32_e32 vcc, v8, v9
	v_mov_b32_e32 v17, 0
	v_cmp_lt_i32_e64 s[0:1], v8, v9
	s_and_saveexec_b64 s[2:3], s[0:1]
	s_cbranch_execz .LBB3_59
; %bb.52:
	v_mad_u64_u32 v[16:17], s[0:1], v4, s30, v[12:13]
	v_mul_lo_u32 v18, v4, s31
	v_mul_lo_u32 v19, v5, s30
	v_lshlrev_b64 v[10:11], 1, v[10:11]
	v_mov_b32_e32 v9, s13
	v_add_co_u32_e64 v8, s[0:1], s12, v10
	v_add3_u32 v17, v19, v17, v18
	v_addc_co_u32_e64 v9, s[0:1], v9, v11, s[0:1]
	v_mul_lo_u32 v18, s29, v16
	v_mul_lo_u32 v19, s28, v17
	v_mad_u64_u32 v[16:17], s[0:1], s28, v16, v[0:1]
	v_mov_b32_e32 v20, s11
	v_add_co_u32_e64 v10, s[0:1], s10, v10
	v_addc_co_u32_e64 v11, s[0:1], v20, v11, s[0:1]
	v_add3_u32 v17, v18, v17, v19
	v_sub_co_u32_e64 v16, s[0:1], v16, v2
	v_subb_co_u32_e64 v17, s[0:1], v17, v3, s[0:1]
	v_lshlrev_b64 v[18:19], 1, v[16:17]
	v_mov_b32_e32 v16, 0
	v_mov_b32_e32 v21, v13
	s_lshl_b64 s[6:7], s[28:29], 1
	s_mov_b64 s[4:5], 0
	v_mov_b32_e32 v17, 0
	v_mov_b32_e32 v20, v12
	s_branch .LBB3_54
.LBB3_53:                               ;   in Loop: Header=BB3_54 Depth=1
	s_or_b64 exec, exec, s[10:11]
	v_add_co_u32_e64 v20, s[0:1], 1, v20
	v_addc_co_u32_e64 v21, s[0:1], 0, v21, s[0:1]
	v_cmp_ge_i64_e64 s[0:1], v[20:21], v[14:15]
	v_mov_b32_e32 v22, s7
	s_or_b64 s[4:5], s[0:1], s[4:5]
	v_add_co_u32_e64 v18, s[0:1], s6, v18
	v_addc_co_u32_e64 v19, s[0:1], v19, v22, s[0:1]
	s_andn2_b64 exec, exec, s[4:5]
	s_cbranch_execz .LBB3_58
.LBB3_54:                               ; =>This Inner Loop Header: Depth=1
	v_mov_b32_e32 v23, s15
	v_add_co_u32_e64 v22, s[0:1], s14, v18
	v_addc_co_u32_e64 v23, s[0:1], v23, v19, s[0:1]
	global_load_ushort v22, v[22:23], off
	s_waitcnt vmcnt(0)
	v_cmp_u_f16_e64 s[12:13], v22, v22
	v_cmp_o_f16_e64 s[0:1], v22, v22
	s_and_saveexec_b64 s[10:11], s[0:1]
	s_cbranch_execz .LBB3_56
; %bb.55:                               ;   in Loop: Header=BB3_54 Depth=1
	global_load_ushort v23, v[8:9], off
	s_andn2_b64 s[12:13], s[12:13], exec
	s_waitcnt vmcnt(0)
	v_cmp_eq_f16_e64 s[0:1], v22, v23
	s_and_b64 s[0:1], s[0:1], exec
	s_or_b64 s[12:13], s[12:13], s[0:1]
.LBB3_56:                               ;   in Loop: Header=BB3_54 Depth=1
	s_or_b64 exec, exec, s[10:11]
	s_and_saveexec_b64 s[10:11], s[12:13]
	s_cbranch_execz .LBB3_53
; %bb.57:                               ;   in Loop: Header=BB3_54 Depth=1
	global_load_ushort v24, v[10:11], off
	v_mov_b32_e32 v23, s9
	v_add_co_u32_e64 v22, s[0:1], s8, v18
	v_addc_co_u32_e64 v23, s[0:1], v23, v19, s[0:1]
	v_add_co_u32_e64 v16, s[0:1], 1, v16
	v_addc_co_u32_e64 v17, s[0:1], 0, v17, s[0:1]
	s_waitcnt vmcnt(0)
	global_store_short v[22:23], v24, off
	s_branch .LBB3_53
.LBB3_58:
	s_or_b64 exec, exec, s[4:5]
.LBB3_59:
	s_or_b64 exec, exec, s[2:3]
	v_cmp_lt_i64_e64 s[0:1], 1, v[16:17]
	s_xor_b64 s[2:3], vcc, -1
	s_and_b64 s[0:1], s[0:1], s[2:3]
	s_and_b64 exec, exec, s[0:1]
	s_cbranch_execz .LBB3_75
; %bb.60:
	v_ffbh_u32_e32 v8, v17
	v_min_u32_e32 v11, 32, v8
	v_lshlrev_b64 v[8:9], v11, v[16:17]
	v_mul_lo_u32 v16, s30, v5
	v_min_u32_e32 v5, 1, v8
	v_or_b32_e32 v5, v9, v5
	v_cvt_f32_u32_e32 v8, v5
	v_sub_u32_e32 v9, 32, v11
	v_mul_lo_u32 v10, s31, v4
	v_mad_u64_u32 v[4:5], s[0:1], s30, v4, 0
	v_ldexp_f32 v8, v8, v9
	v_cvt_f16_f32_e32 v18, v8
	v_sub_co_u32_e32 v8, vcc, v14, v12
	v_subb_co_u32_e32 v9, vcc, v15, v13, vcc
	v_cmp_gt_u64_e64 s[2:3], 14, v[8:9]
	v_cmp_lt_u64_e32 vcc, 13, v[8:9]
	v_add3_u32 v5, v5, v16, v10
	s_and_saveexec_b64 s[4:5], vcc
	s_cbranch_execz .LBB3_70
; %bb.61:
	v_not_b32_e32 v10, v12
	v_not_b32_e32 v11, v13
	v_add_co_u32_e32 v10, vcc, v10, v14
	v_addc_co_u32_e32 v11, vcc, v11, v15, vcc
	v_add_co_u32_e32 v6, vcc, v4, v6
	v_addc_co_u32_e32 v7, vcc, v5, v7, vcc
	v_add_co_u32_e32 v6, vcc, v6, v12
	v_addc_co_u32_e32 v7, vcc, v7, v13, vcc
	v_lshlrev_b64 v[6:7], 1, v[6:7]
	v_mov_b32_e32 v16, s9
	v_add_co_u32_e32 v6, vcc, s8, v6
	v_addc_co_u32_e32 v7, vcc, v16, v7, vcc
	v_lshlrev_b64 v[16:17], 1, v[10:11]
	v_cmp_lt_i64_e32 vcc, -1, v[10:11]
	v_add_co_u32_e64 v10, s[0:1], v6, v16
	v_addc_co_u32_e64 v11, s[0:1], v7, v17, s[0:1]
	v_cmp_ge_u64_e64 s[0:1], v[10:11], v[6:7]
	s_cmp_eq_u64 s[28:29], 1
	s_cselect_b64 s[6:7], -1, 0
	s_and_b64 s[0:1], s[0:1], vcc
	s_mov_b64 s[10:11], -1
	s_and_b64 s[0:1], s[6:7], s[0:1]
	s_and_saveexec_b64 s[6:7], s[0:1]
	s_cbranch_execz .LBB3_69
; %bb.62:
	v_lshlrev_b64 v[10:11], 1, v[4:5]
	v_lshlrev_b64 v[16:17], 1, v[0:1]
	v_mov_b32_e32 v7, v9
	v_add_co_u32_e32 v16, vcc, v10, v16
	v_addc_co_u32_e32 v17, vcc, v11, v17, vcc
	v_lshlrev_b64 v[10:11], 1, v[12:13]
	v_and_b32_e32 v6, -2, v8
	v_add_co_u32_e32 v16, vcc, v16, v10
	v_addc_co_u32_e32 v17, vcc, v17, v11, vcc
	v_lshlrev_b64 v[10:11], 1, v[2:3]
	s_mov_b64 s[10:11], 0
	v_sub_co_u32_e32 v10, vcc, v16, v10
	v_subb_co_u32_e32 v11, vcc, v17, v11, vcc
	v_mov_b32_e32 v16, s9
	v_add_co_u32_e32 v10, vcc, s8, v10
	v_addc_co_u32_e32 v11, vcc, v16, v11, vcc
	v_add_co_u32_e32 v10, vcc, 2, v10
	v_mov_b32_e32 v17, v7
	v_addc_co_u32_e32 v11, vcc, 0, v11, vcc
	v_mov_b32_e32 v16, v6
	s_branch .LBB3_64
.LBB3_63:                               ;   in Loop: Header=BB3_64 Depth=1
	s_or_b64 exec, exec, s[0:1]
	v_add_co_u32_e32 v16, vcc, -2, v16
	v_addc_co_u32_e32 v17, vcc, -1, v17, vcc
	v_cmp_eq_u64_e32 vcc, 0, v[16:17]
	s_or_b64 s[10:11], vcc, s[10:11]
	v_add_co_u32_e32 v10, vcc, 4, v10
	v_addc_co_u32_e32 v11, vcc, 0, v11, vcc
	s_andn2_b64 exec, exec, s[10:11]
	s_cbranch_execz .LBB3_68
.LBB3_64:                               ; =>This Inner Loop Header: Depth=1
	global_load_dword v20, v[10:11], off offset:-2
	s_waitcnt vmcnt(0)
	v_lshrrev_b32_e32 v19, 16, v20
	v_cmp_lt_f16_e32 vcc, 0, v19
	v_cmp_lt_f16_e64 s[0:1], 0, v20
	s_and_saveexec_b64 s[12:13], s[0:1]
	s_cbranch_execz .LBB3_66
; %bb.65:                               ;   in Loop: Header=BB3_64 Depth=1
	v_cvt_f32_f16_e32 v21, v18
	v_cvt_f32_f16_e32 v23, v20
	v_rcp_f32_e32 v22, v21
	v_mul_f32_e32 v24, v23, v22
	v_mad_f32 v25, -v21, v24, v23
	v_mac_f32_e32 v24, v25, v22
	v_mad_f32 v21, -v21, v24, v23
	v_mul_f32_e32 v21, v21, v22
	v_and_b32_e32 v21, 0xff800000, v21
	v_add_f32_e32 v21, v21, v24
	v_cvt_f16_f32_e32 v21, v21
	v_div_fixup_f16 v20, v21, v18, v20
	global_store_short v[10:11], v20, off offset:-2
.LBB3_66:                               ;   in Loop: Header=BB3_64 Depth=1
	s_or_b64 exec, exec, s[12:13]
	s_and_saveexec_b64 s[0:1], vcc
	s_cbranch_execz .LBB3_63
; %bb.67:                               ;   in Loop: Header=BB3_64 Depth=1
	v_cvt_f32_f16_e32 v20, v18
	v_cvt_f32_f16_e32 v21, v19
	v_rcp_f32_e32 v22, v20
	v_mul_f32_e32 v23, v21, v22
	v_mad_f32 v24, -v20, v23, v21
	v_mac_f32_e32 v23, v24, v22
	v_mad_f32 v20, -v20, v23, v21
	v_mul_f32_e32 v20, v20, v22
	v_and_b32_e32 v20, 0xff800000, v20
	v_add_f32_e32 v20, v20, v23
	v_cvt_f16_f32_e32 v20, v20
	v_div_fixup_f16 v19, v20, v18, v19
	global_store_short v[10:11], v19, off
	s_branch .LBB3_63
.LBB3_68:
	s_or_b64 exec, exec, s[10:11]
	v_cmp_ne_u64_e32 vcc, v[8:9], v[6:7]
	v_add_co_u32_e64 v12, s[0:1], v6, v12
	v_addc_co_u32_e64 v13, s[0:1], v7, v13, s[0:1]
	s_orn2_b64 s[10:11], vcc, exec
.LBB3_69:
	s_or_b64 exec, exec, s[6:7]
	s_andn2_b64 s[0:1], s[2:3], exec
	s_and_b64 s[2:3], s[10:11], exec
	s_or_b64 s[2:3], s[0:1], s[2:3]
.LBB3_70:
	s_or_b64 exec, exec, s[4:5]
	s_and_b64 exec, exec, s[2:3]
	s_cbranch_execz .LBB3_75
; %bb.71:
	v_lshlrev_b64 v[4:5], 1, v[4:5]
	v_lshlrev_b64 v[6:7], 1, v[12:13]
	;; [unrolled: 1-line block ×3, first 2 shown]
	v_add_co_u32_e32 v4, vcc, v4, v6
	v_addc_co_u32_e32 v5, vcc, v5, v7, vcc
	v_mul_lo_u32 v5, s28, v5
	v_mul_lo_u32 v6, s29, v4
	v_mad_u64_u32 v[0:1], s[0:1], s28, v4, v[0:1]
	s_lshl_b64 s[0:1], s[28:29], 1
	s_mov_b64 s[2:3], 0
	v_add3_u32 v4, v6, v1, v5
	v_lshlrev_b64 v[1:2], 1, v[2:3]
	v_mov_b32_e32 v3, s9
	v_sub_co_u32_e32 v0, vcc, v0, v1
	v_subb_co_u32_e32 v1, vcc, v4, v2, vcc
	v_cvt_f32_f16_e32 v2, v18
	v_add_co_u32_e32 v0, vcc, s8, v0
	v_addc_co_u32_e32 v1, vcc, v3, v1, vcc
	v_rcp_f32_e32 v3, v2
	v_mov_b32_e32 v4, s1
	s_branch .LBB3_73
.LBB3_72:                               ;   in Loop: Header=BB3_73 Depth=1
	s_or_b64 exec, exec, s[4:5]
	v_add_co_u32_e32 v12, vcc, 1, v12
	v_addc_co_u32_e32 v13, vcc, 0, v13, vcc
	v_cmp_ge_i64_e32 vcc, v[12:13], v[14:15]
	s_or_b64 s[2:3], vcc, s[2:3]
	v_add_co_u32_e32 v0, vcc, s0, v0
	v_addc_co_u32_e32 v1, vcc, v1, v4, vcc
	s_andn2_b64 exec, exec, s[2:3]
	s_cbranch_execz .LBB3_75
.LBB3_73:                               ; =>This Inner Loop Header: Depth=1
	global_load_ushort v5, v[0:1], off
	s_waitcnt vmcnt(0)
	v_cmp_lt_f16_e32 vcc, 0, v5
	s_and_saveexec_b64 s[4:5], vcc
	s_cbranch_execz .LBB3_72
; %bb.74:                               ;   in Loop: Header=BB3_73 Depth=1
	v_cvt_f32_f16_e32 v6, v5
	v_mul_f32_e32 v7, v6, v3
	v_mad_f32 v8, -v2, v7, v6
	v_mac_f32_e32 v7, v8, v3
	v_mad_f32 v6, -v2, v7, v6
	v_mul_f32_e32 v6, v6, v3
	v_and_b32_e32 v6, 0xff800000, v6
	v_add_f32_e32 v6, v6, v7
	v_cvt_f16_f32_e32 v6, v6
	v_div_fixup_f16 v5, v6, v18, v5
	global_store_short v[0:1], v5, off
	s_branch .LBB3_72
.LBB3_75:
	s_endpgm
	.section	.rodata,"a",@progbits
	.p2align	6, 0x0
	.amdhsa_kernel _ZN2at6native12_GLOBAL__N_130segment_reduce_backward_kernelIN3c104HalfEiEEvNS0_13ReductionTypeEPT_PKS6_S9_S9_PKT0_SC_llS6_lllllll
		.amdhsa_group_segment_fixed_size 0
		.amdhsa_private_segment_fixed_size 0
		.amdhsa_kernarg_size 392
		.amdhsa_user_sgpr_count 6
		.amdhsa_user_sgpr_private_segment_buffer 1
		.amdhsa_user_sgpr_dispatch_ptr 0
		.amdhsa_user_sgpr_queue_ptr 0
		.amdhsa_user_sgpr_kernarg_segment_ptr 1
		.amdhsa_user_sgpr_dispatch_id 0
		.amdhsa_user_sgpr_flat_scratch_init 0
		.amdhsa_user_sgpr_private_segment_size 0
		.amdhsa_uses_dynamic_stack 0
		.amdhsa_system_sgpr_private_segment_wavefront_offset 0
		.amdhsa_system_sgpr_workgroup_id_x 1
		.amdhsa_system_sgpr_workgroup_id_y 0
		.amdhsa_system_sgpr_workgroup_id_z 0
		.amdhsa_system_sgpr_workgroup_info 0
		.amdhsa_system_vgpr_workitem_id 0
		.amdhsa_next_free_vgpr 34
		.amdhsa_next_free_sgpr 44
		.amdhsa_reserve_vcc 1
		.amdhsa_reserve_flat_scratch 0
		.amdhsa_float_round_mode_32 0
		.amdhsa_float_round_mode_16_64 0
		.amdhsa_float_denorm_mode_32 3
		.amdhsa_float_denorm_mode_16_64 3
		.amdhsa_dx10_clamp 1
		.amdhsa_ieee_mode 1
		.amdhsa_fp16_overflow 0
		.amdhsa_exception_fp_ieee_invalid_op 0
		.amdhsa_exception_fp_denorm_src 0
		.amdhsa_exception_fp_ieee_div_zero 0
		.amdhsa_exception_fp_ieee_overflow 0
		.amdhsa_exception_fp_ieee_underflow 0
		.amdhsa_exception_fp_ieee_inexact 0
		.amdhsa_exception_int_div_zero 0
	.end_amdhsa_kernel
	.section	.text._ZN2at6native12_GLOBAL__N_130segment_reduce_backward_kernelIN3c104HalfEiEEvNS0_13ReductionTypeEPT_PKS6_S9_S9_PKT0_SC_llS6_lllllll,"axG",@progbits,_ZN2at6native12_GLOBAL__N_130segment_reduce_backward_kernelIN3c104HalfEiEEvNS0_13ReductionTypeEPT_PKS6_S9_S9_PKT0_SC_llS6_lllllll,comdat
.Lfunc_end3:
	.size	_ZN2at6native12_GLOBAL__N_130segment_reduce_backward_kernelIN3c104HalfEiEEvNS0_13ReductionTypeEPT_PKS6_S9_S9_PKT0_SC_llS6_lllllll, .Lfunc_end3-_ZN2at6native12_GLOBAL__N_130segment_reduce_backward_kernelIN3c104HalfEiEEvNS0_13ReductionTypeEPT_PKS6_S9_S9_PKT0_SC_llS6_lllllll
                                        ; -- End function
	.set _ZN2at6native12_GLOBAL__N_130segment_reduce_backward_kernelIN3c104HalfEiEEvNS0_13ReductionTypeEPT_PKS6_S9_S9_PKT0_SC_llS6_lllllll.num_vgpr, 34
	.set _ZN2at6native12_GLOBAL__N_130segment_reduce_backward_kernelIN3c104HalfEiEEvNS0_13ReductionTypeEPT_PKS6_S9_S9_PKT0_SC_llS6_lllllll.num_agpr, 0
	.set _ZN2at6native12_GLOBAL__N_130segment_reduce_backward_kernelIN3c104HalfEiEEvNS0_13ReductionTypeEPT_PKS6_S9_S9_PKT0_SC_llS6_lllllll.numbered_sgpr, 44
	.set _ZN2at6native12_GLOBAL__N_130segment_reduce_backward_kernelIN3c104HalfEiEEvNS0_13ReductionTypeEPT_PKS6_S9_S9_PKT0_SC_llS6_lllllll.num_named_barrier, 0
	.set _ZN2at6native12_GLOBAL__N_130segment_reduce_backward_kernelIN3c104HalfEiEEvNS0_13ReductionTypeEPT_PKS6_S9_S9_PKT0_SC_llS6_lllllll.private_seg_size, 0
	.set _ZN2at6native12_GLOBAL__N_130segment_reduce_backward_kernelIN3c104HalfEiEEvNS0_13ReductionTypeEPT_PKS6_S9_S9_PKT0_SC_llS6_lllllll.uses_vcc, 1
	.set _ZN2at6native12_GLOBAL__N_130segment_reduce_backward_kernelIN3c104HalfEiEEvNS0_13ReductionTypeEPT_PKS6_S9_S9_PKT0_SC_llS6_lllllll.uses_flat_scratch, 0
	.set _ZN2at6native12_GLOBAL__N_130segment_reduce_backward_kernelIN3c104HalfEiEEvNS0_13ReductionTypeEPT_PKS6_S9_S9_PKT0_SC_llS6_lllllll.has_dyn_sized_stack, 0
	.set _ZN2at6native12_GLOBAL__N_130segment_reduce_backward_kernelIN3c104HalfEiEEvNS0_13ReductionTypeEPT_PKS6_S9_S9_PKT0_SC_llS6_lllllll.has_recursion, 0
	.set _ZN2at6native12_GLOBAL__N_130segment_reduce_backward_kernelIN3c104HalfEiEEvNS0_13ReductionTypeEPT_PKS6_S9_S9_PKT0_SC_llS6_lllllll.has_indirect_call, 0
	.section	.AMDGPU.csdata,"",@progbits
; Kernel info:
; codeLenInByte = 5052
; TotalNumSgprs: 48
; NumVgprs: 34
; ScratchSize: 0
; MemoryBound: 0
; FloatMode: 240
; IeeeMode: 1
; LDSByteSize: 0 bytes/workgroup (compile time only)
; SGPRBlocks: 5
; VGPRBlocks: 8
; NumSGPRsForWavesPerEU: 48
; NumVGPRsForWavesPerEU: 34
; Occupancy: 7
; WaveLimiterHint : 1
; COMPUTE_PGM_RSRC2:SCRATCH_EN: 0
; COMPUTE_PGM_RSRC2:USER_SGPR: 6
; COMPUTE_PGM_RSRC2:TRAP_HANDLER: 0
; COMPUTE_PGM_RSRC2:TGID_X_EN: 1
; COMPUTE_PGM_RSRC2:TGID_Y_EN: 0
; COMPUTE_PGM_RSRC2:TGID_Z_EN: 0
; COMPUTE_PGM_RSRC2:TIDIG_COMP_CNT: 0
	.section	.text._ZN2at6native12_GLOBAL__N_130segment_reduce_backward_kernelIdlEEvNS0_13ReductionTypeEPT_PKS4_S7_S7_PKT0_SA_llS4_lllllll,"axG",@progbits,_ZN2at6native12_GLOBAL__N_130segment_reduce_backward_kernelIdlEEvNS0_13ReductionTypeEPT_PKS4_S7_S7_PKT0_SA_llS4_lllllll,comdat
	.globl	_ZN2at6native12_GLOBAL__N_130segment_reduce_backward_kernelIdlEEvNS0_13ReductionTypeEPT_PKS4_S7_S7_PKT0_SA_llS4_lllllll ; -- Begin function _ZN2at6native12_GLOBAL__N_130segment_reduce_backward_kernelIdlEEvNS0_13ReductionTypeEPT_PKS4_S7_S7_PKT0_SA_llS4_lllllll
	.p2align	8
	.type	_ZN2at6native12_GLOBAL__N_130segment_reduce_backward_kernelIdlEEvNS0_13ReductionTypeEPT_PKS4_S7_S7_PKT0_SA_llS4_lllllll,@function
_ZN2at6native12_GLOBAL__N_130segment_reduce_backward_kernelIdlEEvNS0_13ReductionTypeEPT_PKS4_S7_S7_PKT0_SA_llS4_lllllll: ; @_ZN2at6native12_GLOBAL__N_130segment_reduce_backward_kernelIdlEEvNS0_13ReductionTypeEPT_PKS4_S7_S7_PKT0_SA_llS4_lllllll
; %bb.0:
	s_load_dword s0, s[4:5], 0x94
	s_load_dwordx16 s[36:51], s[4:5], 0x8
	s_load_dwordx16 s[8:23], s[4:5], 0x48
	v_mov_b32_e32 v2, 0
	v_mov_b32_e32 v1, v2
	s_waitcnt lgkmcnt(0)
	s_and_b32 s0, s0, 0xffff
	v_mov_b32_e32 v3, s6
	v_mad_u64_u32 v[4:5], s[0:1], s0, v3, v[0:1]
	s_mul_i32 s0, s10, s49
	s_mul_hi_u32 s1, s10, s48
	s_add_i32 s0, s1, s0
	s_mul_i32 s1, s11, s48
	s_mul_i32 s2, s10, s48
	s_add_i32 s0, s0, s1
	s_mul_i32 s1, s2, s13
	s_mul_hi_u32 s3, s2, s12
	s_add_i32 s1, s3, s1
	s_mul_i32 s0, s0, s12
	s_add_i32 s1, s1, s0
	s_mul_i32 s0, s2, s12
	v_cmp_gt_i64_e32 vcc, s[0:1], v[4:5]
	s_and_saveexec_b64 s[0:1], vcc
	s_cbranch_execz .LBB4_54
; %bb.1:
	v_or_b32_e32 v3, s13, v5
	v_cmp_ne_u64_e32 vcc, 0, v[2:3]
                                        ; implicit-def: $vgpr8_vgpr9
	s_and_saveexec_b64 s[0:1], vcc
	s_xor_b64 s[2:3], exec, s[0:1]
	s_cbranch_execz .LBB4_3
; %bb.2:
	s_ashr_i32 s6, s13, 31
	s_add_u32 s0, s12, s6
	s_mov_b32 s7, s6
	s_addc_u32 s1, s13, s6
	s_xor_b64 s[10:11], s[0:1], s[6:7]
	v_cvt_f32_u32_e32 v0, s10
	v_cvt_f32_u32_e32 v1, s11
	s_sub_u32 s7, 0, s10
	s_subb_u32 s24, 0, s11
	v_ashrrev_i32_e32 v6, 31, v5
	v_madmk_f32 v0, v1, 0x4f800000, v0
	v_rcp_f32_e32 v0, v0
	v_mul_f32_e32 v0, 0x5f7ffffc, v0
	v_mul_f32_e32 v1, 0x2f800000, v0
	v_trunc_f32_e32 v1, v1
	v_madmk_f32 v0, v1, 0xcf800000, v0
	v_cvt_u32_f32_e32 v1, v1
	v_cvt_u32_f32_e32 v0, v0
	v_readfirstlane_b32 s25, v1
	v_readfirstlane_b32 s0, v0
	s_mul_i32 s1, s7, s25
	s_mul_hi_u32 s27, s7, s0
	s_mul_i32 s26, s24, s0
	s_add_i32 s1, s27, s1
	s_add_i32 s1, s1, s26
	s_mul_i32 s28, s7, s0
	s_mul_i32 s27, s0, s1
	s_mul_hi_u32 s29, s0, s28
	s_mul_hi_u32 s26, s0, s1
	s_add_u32 s27, s29, s27
	s_addc_u32 s26, 0, s26
	s_mul_hi_u32 s30, s25, s28
	s_mul_i32 s28, s25, s28
	s_add_u32 s27, s27, s28
	s_mul_hi_u32 s29, s25, s1
	s_addc_u32 s26, s26, s30
	s_addc_u32 s27, s29, 0
	s_mul_i32 s1, s25, s1
	s_add_u32 s1, s26, s1
	s_addc_u32 s26, 0, s27
	s_add_u32 s27, s0, s1
	s_cselect_b64 s[0:1], -1, 0
	s_cmp_lg_u64 s[0:1], 0
	s_addc_u32 s25, s25, s26
	s_mul_i32 s0, s7, s25
	s_mul_hi_u32 s1, s7, s27
	s_add_i32 s0, s1, s0
	s_mul_i32 s24, s24, s27
	s_add_i32 s0, s0, s24
	s_mul_i32 s7, s7, s27
	s_mul_hi_u32 s24, s25, s7
	s_mul_i32 s26, s25, s7
	s_mul_i32 s29, s27, s0
	s_mul_hi_u32 s7, s27, s7
	s_mul_hi_u32 s28, s27, s0
	s_add_u32 s7, s7, s29
	s_addc_u32 s28, 0, s28
	s_add_u32 s7, s7, s26
	s_mul_hi_u32 s1, s25, s0
	s_addc_u32 s7, s28, s24
	s_addc_u32 s1, s1, 0
	s_mul_i32 s0, s25, s0
	s_add_u32 s0, s7, s0
	s_addc_u32 s7, 0, s1
	s_add_u32 s24, s27, s0
	s_cselect_b64 s[0:1], -1, 0
	s_cmp_lg_u64 s[0:1], 0
	v_add_co_u32_e32 v0, vcc, v4, v6
	s_addc_u32 s7, s25, s7
	v_xor_b32_e32 v7, v0, v6
	v_mad_u64_u32 v[0:1], s[0:1], v7, s7, 0
	v_mul_hi_u32 v3, v7, s24
	v_addc_co_u32_e32 v2, vcc, v5, v6, vcc
	v_xor_b32_e32 v8, v2, v6
	v_add_co_u32_e32 v9, vcc, v3, v0
	v_addc_co_u32_e32 v10, vcc, 0, v1, vcc
	v_mad_u64_u32 v[0:1], s[0:1], v8, s24, 0
	v_mad_u64_u32 v[2:3], s[0:1], v8, s7, 0
	v_add_co_u32_e32 v0, vcc, v9, v0
	v_addc_co_u32_e32 v0, vcc, v10, v1, vcc
	v_addc_co_u32_e32 v1, vcc, 0, v3, vcc
	v_add_co_u32_e32 v2, vcc, v0, v2
	v_addc_co_u32_e32 v3, vcc, 0, v1, vcc
	v_mul_lo_u32 v9, s11, v2
	v_mul_lo_u32 v10, s10, v3
	v_mad_u64_u32 v[0:1], s[0:1], s10, v2, 0
	v_add3_u32 v1, v1, v10, v9
	v_sub_u32_e32 v9, v8, v1
	v_mov_b32_e32 v10, s11
	v_sub_co_u32_e32 v0, vcc, v7, v0
	v_subb_co_u32_e64 v7, s[0:1], v9, v10, vcc
	v_subrev_co_u32_e64 v9, s[0:1], s10, v0
	v_subbrev_co_u32_e64 v7, s[0:1], 0, v7, s[0:1]
	v_cmp_le_u32_e64 s[0:1], s11, v7
	v_cndmask_b32_e64 v10, 0, -1, s[0:1]
	v_cmp_le_u32_e64 s[0:1], s10, v9
	v_cndmask_b32_e64 v9, 0, -1, s[0:1]
	v_cmp_eq_u32_e64 s[0:1], s11, v7
	v_cndmask_b32_e64 v7, v10, v9, s[0:1]
	v_add_co_u32_e64 v9, s[0:1], 2, v2
	v_subb_co_u32_e32 v1, vcc, v8, v1, vcc
	v_addc_co_u32_e64 v10, s[0:1], 0, v3, s[0:1]
	v_cmp_le_u32_e32 vcc, s11, v1
	v_add_co_u32_e64 v11, s[0:1], 1, v2
	v_cndmask_b32_e64 v8, 0, -1, vcc
	v_cmp_le_u32_e32 vcc, s10, v0
	v_addc_co_u32_e64 v12, s[0:1], 0, v3, s[0:1]
	v_cndmask_b32_e64 v0, 0, -1, vcc
	v_cmp_eq_u32_e32 vcc, s11, v1
	v_cmp_ne_u32_e64 s[0:1], 0, v7
	v_cndmask_b32_e32 v0, v8, v0, vcc
	v_cmp_ne_u32_e32 vcc, 0, v0
	v_cndmask_b32_e64 v1, v11, v9, s[0:1]
	v_cndmask_b32_e64 v7, v12, v10, s[0:1]
	v_cndmask_b32_e32 v1, v2, v1, vcc
	v_xor_b32_e32 v2, s6, v6
	v_cndmask_b32_e32 v0, v3, v7, vcc
	v_xor_b32_e32 v1, v1, v2
	v_xor_b32_e32 v0, v0, v2
	v_sub_co_u32_e32 v8, vcc, v1, v2
	v_subb_co_u32_e32 v9, vcc, v0, v2, vcc
.LBB4_3:
	s_andn2_saveexec_b64 s[0:1], s[2:3]
	s_cbranch_execz .LBB4_5
; %bb.4:
	v_cvt_f32_u32_e32 v0, s12
	s_sub_i32 s2, 0, s12
	v_mov_b32_e32 v9, 0
	v_rcp_iflag_f32_e32 v0, v0
	v_mul_f32_e32 v0, 0x4f7ffffe, v0
	v_cvt_u32_f32_e32 v0, v0
	v_mul_lo_u32 v1, s2, v0
	v_mul_hi_u32 v1, v0, v1
	v_add_u32_e32 v0, v0, v1
	v_mul_hi_u32 v0, v4, v0
	v_mul_lo_u32 v1, v0, s12
	v_add_u32_e32 v2, 1, v0
	v_sub_u32_e32 v1, v4, v1
	v_subrev_u32_e32 v3, s12, v1
	v_cmp_le_u32_e32 vcc, s12, v1
	v_cndmask_b32_e32 v1, v1, v3, vcc
	v_cndmask_b32_e32 v0, v0, v2, vcc
	v_add_u32_e32 v2, 1, v0
	v_cmp_le_u32_e32 vcc, s12, v1
	v_cndmask_b32_e32 v8, v0, v2, vcc
.LBB4_5:
	s_or_b64 exec, exec, s[0:1]
	v_or_b32_e32 v1, s49, v9
	v_mov_b32_e32 v0, 0
	v_cmp_ne_u64_e32 vcc, 0, v[0:1]
                                        ; implicit-def: $vgpr6_vgpr7
	s_and_saveexec_b64 s[0:1], vcc
	s_xor_b64 s[2:3], exec, s[0:1]
	s_cbranch_execz .LBB4_7
; %bb.6:
	s_ashr_i32 s6, s49, 31
	s_add_u32 s0, s48, s6
	s_mov_b32 s7, s6
	s_addc_u32 s1, s49, s6
	s_xor_b64 s[10:11], s[0:1], s[6:7]
	v_cvt_f32_u32_e32 v0, s10
	v_cvt_f32_u32_e32 v1, s11
	s_sub_u32 s7, 0, s10
	s_subb_u32 s24, 0, s11
	v_ashrrev_i32_e32 v6, 31, v9
	v_madmk_f32 v0, v1, 0x4f800000, v0
	v_rcp_f32_e32 v0, v0
	v_mul_f32_e32 v0, 0x5f7ffffc, v0
	v_mul_f32_e32 v1, 0x2f800000, v0
	v_trunc_f32_e32 v1, v1
	v_madmk_f32 v0, v1, 0xcf800000, v0
	v_cvt_u32_f32_e32 v1, v1
	v_cvt_u32_f32_e32 v0, v0
	v_readfirstlane_b32 s25, v1
	v_readfirstlane_b32 s0, v0
	s_mul_i32 s1, s7, s25
	s_mul_hi_u32 s27, s7, s0
	s_mul_i32 s26, s24, s0
	s_add_i32 s1, s27, s1
	s_add_i32 s1, s1, s26
	s_mul_i32 s28, s7, s0
	s_mul_i32 s27, s0, s1
	s_mul_hi_u32 s29, s0, s28
	s_mul_hi_u32 s26, s0, s1
	s_add_u32 s27, s29, s27
	s_addc_u32 s26, 0, s26
	s_mul_hi_u32 s30, s25, s28
	s_mul_i32 s28, s25, s28
	s_add_u32 s27, s27, s28
	s_mul_hi_u32 s29, s25, s1
	s_addc_u32 s26, s26, s30
	s_addc_u32 s27, s29, 0
	s_mul_i32 s1, s25, s1
	s_add_u32 s1, s26, s1
	s_addc_u32 s26, 0, s27
	s_add_u32 s27, s0, s1
	s_cselect_b64 s[0:1], -1, 0
	s_cmp_lg_u64 s[0:1], 0
	s_addc_u32 s25, s25, s26
	s_mul_i32 s0, s7, s25
	s_mul_hi_u32 s1, s7, s27
	s_add_i32 s0, s1, s0
	s_mul_i32 s24, s24, s27
	s_add_i32 s0, s0, s24
	s_mul_i32 s7, s7, s27
	s_mul_hi_u32 s24, s25, s7
	s_mul_i32 s26, s25, s7
	s_mul_i32 s29, s27, s0
	s_mul_hi_u32 s7, s27, s7
	s_mul_hi_u32 s28, s27, s0
	s_add_u32 s7, s7, s29
	s_addc_u32 s28, 0, s28
	s_add_u32 s7, s7, s26
	s_mul_hi_u32 s1, s25, s0
	s_addc_u32 s7, s28, s24
	s_addc_u32 s1, s1, 0
	s_mul_i32 s0, s25, s0
	s_add_u32 s0, s7, s0
	s_addc_u32 s7, 0, s1
	s_add_u32 s24, s27, s0
	s_cselect_b64 s[0:1], -1, 0
	s_cmp_lg_u64 s[0:1], 0
	v_add_co_u32_e32 v0, vcc, v8, v6
	s_addc_u32 s7, s25, s7
	v_xor_b32_e32 v7, v0, v6
	v_mad_u64_u32 v[0:1], s[0:1], v7, s7, 0
	v_mul_hi_u32 v3, v7, s24
	v_addc_co_u32_e32 v2, vcc, v9, v6, vcc
	v_xor_b32_e32 v10, v2, v6
	v_add_co_u32_e32 v11, vcc, v3, v0
	v_addc_co_u32_e32 v12, vcc, 0, v1, vcc
	v_mad_u64_u32 v[0:1], s[0:1], v10, s24, 0
	v_mad_u64_u32 v[2:3], s[0:1], v10, s7, 0
	v_add_co_u32_e32 v0, vcc, v11, v0
	v_addc_co_u32_e32 v0, vcc, v12, v1, vcc
	v_addc_co_u32_e32 v1, vcc, 0, v3, vcc
	v_add_co_u32_e32 v2, vcc, v0, v2
	v_addc_co_u32_e32 v3, vcc, 0, v1, vcc
	v_mul_lo_u32 v11, s11, v2
	v_mul_lo_u32 v12, s10, v3
	v_mad_u64_u32 v[0:1], s[0:1], s10, v2, 0
	v_add3_u32 v1, v1, v12, v11
	v_sub_u32_e32 v11, v10, v1
	v_mov_b32_e32 v12, s11
	v_sub_co_u32_e32 v0, vcc, v7, v0
	v_subb_co_u32_e64 v7, s[0:1], v11, v12, vcc
	v_subrev_co_u32_e64 v11, s[0:1], s10, v0
	v_subbrev_co_u32_e64 v7, s[0:1], 0, v7, s[0:1]
	v_cmp_le_u32_e64 s[0:1], s11, v7
	v_cndmask_b32_e64 v12, 0, -1, s[0:1]
	v_cmp_le_u32_e64 s[0:1], s10, v11
	v_cndmask_b32_e64 v11, 0, -1, s[0:1]
	v_cmp_eq_u32_e64 s[0:1], s11, v7
	v_cndmask_b32_e64 v7, v12, v11, s[0:1]
	v_add_co_u32_e64 v11, s[0:1], 2, v2
	v_subb_co_u32_e32 v1, vcc, v10, v1, vcc
	v_addc_co_u32_e64 v12, s[0:1], 0, v3, s[0:1]
	v_cmp_le_u32_e32 vcc, s11, v1
	v_add_co_u32_e64 v13, s[0:1], 1, v2
	v_cndmask_b32_e64 v10, 0, -1, vcc
	v_cmp_le_u32_e32 vcc, s10, v0
	v_addc_co_u32_e64 v14, s[0:1], 0, v3, s[0:1]
	v_cndmask_b32_e64 v0, 0, -1, vcc
	v_cmp_eq_u32_e32 vcc, s11, v1
	v_cmp_ne_u32_e64 s[0:1], 0, v7
	v_cndmask_b32_e32 v0, v10, v0, vcc
	v_cmp_ne_u32_e32 vcc, 0, v0
	v_cndmask_b32_e64 v1, v13, v11, s[0:1]
	v_cndmask_b32_e64 v7, v14, v12, s[0:1]
	v_cndmask_b32_e32 v1, v2, v1, vcc
	v_xor_b32_e32 v2, s6, v6
	v_cndmask_b32_e32 v0, v3, v7, vcc
	v_xor_b32_e32 v1, v1, v2
	v_xor_b32_e32 v0, v0, v2
	v_sub_co_u32_e32 v6, vcc, v1, v2
	v_subb_co_u32_e32 v7, vcc, v0, v2, vcc
.LBB4_7:
	s_andn2_saveexec_b64 s[0:1], s[2:3]
	s_cbranch_execz .LBB4_9
; %bb.8:
	v_cvt_f32_u32_e32 v0, s48
	s_sub_i32 s2, 0, s48
	v_mov_b32_e32 v7, 0
	v_rcp_iflag_f32_e32 v0, v0
	v_mul_f32_e32 v0, 0x4f7ffffe, v0
	v_cvt_u32_f32_e32 v0, v0
	v_mul_lo_u32 v1, s2, v0
	v_mul_hi_u32 v1, v0, v1
	v_add_u32_e32 v0, v0, v1
	v_mul_hi_u32 v0, v8, v0
	v_mul_lo_u32 v1, v0, s48
	v_add_u32_e32 v2, 1, v0
	v_sub_u32_e32 v1, v8, v1
	v_subrev_u32_e32 v3, s48, v1
	v_cmp_le_u32_e32 vcc, s48, v1
	v_cndmask_b32_e32 v1, v1, v3, vcc
	v_cndmask_b32_e32 v0, v0, v2, vcc
	v_add_u32_e32 v2, 1, v0
	v_cmp_le_u32_e32 vcc, s48, v1
	v_cndmask_b32_e32 v6, v0, v2, vcc
.LBB4_9:
	s_or_b64 exec, exec, s[0:1]
	v_mul_lo_u32 v2, v7, s48
	v_mul_lo_u32 v3, v6, s49
	v_mad_u64_u32 v[0:1], s[0:1], v6, s48, 0
	v_add3_u32 v3, v1, v3, v2
	v_mul_lo_u32 v12, v3, s50
	v_mul_lo_u32 v13, v0, s51
	v_mad_u64_u32 v[1:2], s[0:1], v0, s50, 0
	v_sub_co_u32_e32 v10, vcc, v8, v0
	v_add3_u32 v2, v2, v13, v12
	v_lshlrev_b64 v[0:1], 3, v[1:2]
	v_subb_co_u32_e32 v11, vcc, v9, v3, vcc
	v_mov_b32_e32 v2, s45
	v_add_co_u32_e32 v3, vcc, s44, v0
	v_addc_co_u32_e32 v12, vcc, v2, v1, vcc
	v_lshlrev_b64 v[0:1], 3, v[10:11]
	v_add_co_u32_e32 v2, vcc, v3, v0
	v_addc_co_u32_e32 v3, vcc, v12, v1, vcc
	global_load_dwordx2 v[12:13], v[2:3], off
	s_waitcnt vmcnt(0)
	v_cmp_ne_u64_e32 vcc, 0, v[12:13]
	s_and_b64 exec, exec, vcc
	s_cbranch_execz .LBB4_54
; %bb.10:
	s_add_u32 s0, s48, 1
	s_addc_u32 s1, s49, 0
	s_mul_i32 s1, s22, s1
	s_mul_hi_u32 s2, s22, s0
	s_add_i32 s1, s2, s1
	s_mul_i32 s2, s23, s0
	s_add_i32 s1, s1, s2
	s_mul_i32 s0, s22, s0
	v_mul_lo_u32 v14, s1, v6
	v_mul_lo_u32 v15, s0, v7
	v_mad_u64_u32 v[2:3], s[0:1], s0, v6, 0
	v_add3_u32 v3, v3, v15, v14
	v_lshlrev_b64 v[2:3], 3, v[2:3]
	v_mov_b32_e32 v14, s47
	v_add_co_u32_e32 v2, vcc, s46, v2
	v_addc_co_u32_e32 v3, vcc, v14, v3, vcc
	v_add_co_u32_e32 v0, vcc, v2, v0
	v_addc_co_u32_e32 v1, vcc, v3, v1, vcc
	global_load_dwordx4 v[0:3], v[0:1], off
	v_mul_lo_u32 v14, v9, s12
	v_mul_lo_u32 v15, v8, s13
	v_mad_u64_u32 v[8:9], s[0:1], v8, s12, 0
	v_add3_u32 v9, v9, v15, v14
	v_mad_u64_u32 v[14:15], s[0:1], v6, s20, v[10:11]
	v_mul_lo_u32 v10, v6, s21
	v_mul_lo_u32 v11, v7, s20
	v_sub_co_u32_e32 v16, vcc, v4, v8
	s_load_dword s20, s[4:5], 0x0
	v_subb_co_u32_e32 v17, vcc, v5, v9, vcc
	v_add3_u32 v15, v11, v15, v10
	v_mad_u64_u32 v[10:11], s[0:1], v14, s18, v[16:17]
	v_mul_lo_u32 v14, v14, s19
	v_mul_lo_u32 v15, v15, s18
	s_waitcnt lgkmcnt(0)
	s_and_b32 s0, s20, -3
	s_cmp_lg_u32 s0, 0
	v_add3_u32 v11, v15, v11, v14
	s_cbranch_scc0 .LBB4_25
; %bb.11:
	s_cmp_lt_i32 s20, 3
	s_mov_b64 s[0:1], -1
	s_cbranch_scc1 .LBB4_34
; %bb.12:
	s_cmp_lt_i32 s20, 4
	s_cbranch_scc1 .LBB4_28
; %bb.13:
	s_cmp_eq_u32 s20, 4
	s_cbranch_scc0 .LBB4_27
; %bb.14:
	s_waitcnt vmcnt(0)
	v_cmp_lt_i64_e32 vcc, v[0:1], v[2:3]
	s_and_saveexec_b64 s[0:1], vcc
	s_cbranch_execz .LBB4_26
; %bb.15:
	v_lshlrev_b64 v[18:19], 3, v[10:11]
	v_mov_b32_e32 v15, s39
	v_add_co_u32_e32 v14, vcc, s38, v18
	v_addc_co_u32_e32 v15, vcc, v15, v19, vcc
	v_mov_b32_e32 v20, s41
	v_add_co_u32_e32 v18, vcc, s40, v18
	v_addc_co_u32_e32 v19, vcc, v20, v19, vcc
	global_load_dwordx2 v[20:21], v[14:15], off
	global_load_dwordx2 v[22:23], v[18:19], off
	v_mul_lo_u32 v28, s17, v6
	v_mul_lo_u32 v29, s16, v7
	v_mad_u64_u32 v[18:19], s[2:3], s16, v6, 0
	v_lshlrev_b64 v[24:25], 3, v[0:1]
	v_lshlrev_b64 v[26:27], 3, v[4:5]
	v_add3_u32 v19, v19, v29, v28
	v_lshlrev_b64 v[28:29], 3, v[18:19]
	v_mul_lo_u32 v30, v18, s15
	v_add_co_u32_e32 v24, vcc, v28, v24
	v_mad_u64_u32 v[16:17], s[2:3], v18, s14, v[16:17]
	v_addc_co_u32_e32 v18, vcc, v29, v25, vcc
	v_mul_lo_u32 v31, v19, s14
	v_mul_lo_u32 v28, s14, v18
	v_mad_u64_u32 v[18:19], s[2:3], s14, v24, v[26:27]
	v_mul_lo_u32 v26, s15, v24
	v_lshlrev_b64 v[24:25], 3, v[8:9]
	v_mov_b32_e32 v27, s43
	v_sub_co_u32_e32 v24, vcc, v18, v24
	v_add3_u32 v19, v26, v19, v28
	v_subb_co_u32_e32 v25, vcc, v19, v25, vcc
	v_add3_u32 v17, v31, v17, v30
	s_lshl_b64 s[2:3], s[14:15], 3
	s_mov_b64 s[4:5], 0
	s_mov_b64 s[6:7], 0
	s_waitcnt vmcnt(0)
	v_mul_f64 v[18:19], v[20:21], v[22:23]
	v_add_co_u32_e32 v20, vcc, s42, v24
	v_mov_b32_e32 v23, v1
	v_addc_co_u32_e32 v21, vcc, v27, v25, vcc
	v_mov_b32_e32 v22, v0
	s_branch .LBB4_18
.LBB4_16:                               ;   in Loop: Header=BB4_18 Depth=1
	s_or_b64 exec, exec, s[12:13]
	global_load_dwordx2 v[28:29], v[14:15], off
	s_waitcnt vmcnt(0)
	v_mul_f64 v[26:27], v[26:27], v[28:29]
.LBB4_17:                               ;   in Loop: Header=BB4_18 Depth=1
	s_or_b64 exec, exec, s[10:11]
	v_mov_b32_e32 v28, s37
	v_add_co_u32_e32 v24, vcc, s36, v24
	v_addc_co_u32_e32 v25, vcc, v28, v25, vcc
	v_add_co_u32_e32 v22, vcc, 1, v22
	v_addc_co_u32_e32 v23, vcc, 0, v23, vcc
	s_add_u32 s6, s6, 1
	v_cmp_ge_i64_e32 vcc, v[22:23], v[2:3]
	s_addc_u32 s7, s7, 0
	s_or_b64 s[4:5], vcc, s[4:5]
	global_store_dwordx2 v[24:25], v[26:27], off
	s_andn2_b64 exec, exec, s[4:5]
	s_cbranch_execz .LBB4_26
.LBB4_18:                               ; =>This Loop Header: Depth=1
                                        ;     Child Loop BB4_23 Depth 2
	v_mad_u64_u32 v[24:25], s[10:11], v22, s14, v[16:17]
	v_mul_lo_u32 v26, v22, s15
	v_mul_lo_u32 v27, v23, s14
	v_add3_u32 v25, v27, v25, v26
	v_lshlrev_b64 v[24:25], 3, v[24:25]
	v_mov_b32_e32 v27, s43
	v_add_co_u32_e32 v26, vcc, s42, v24
	v_addc_co_u32_e32 v27, vcc, v27, v25, vcc
	global_load_dwordx2 v[28:29], v[26:27], off
                                        ; implicit-def: $vgpr26_vgpr27
	s_waitcnt vmcnt(0)
	v_cmp_lg_f64_e32 vcc, 0, v[28:29]
	s_and_saveexec_b64 s[10:11], vcc
	s_xor_b64 s[10:11], exec, s[10:11]
	s_cbranch_execz .LBB4_20
; %bb.19:                               ;   in Loop: Header=BB4_18 Depth=1
	v_div_scale_f64 v[26:27], s[12:13], v[28:29], v[28:29], v[18:19]
	v_div_scale_f64 v[34:35], vcc, v[18:19], v[28:29], v[18:19]
	v_rcp_f64_e32 v[30:31], v[26:27]
	v_fma_f64 v[32:33], -v[26:27], v[30:31], 1.0
	v_fma_f64 v[30:31], v[30:31], v[32:33], v[30:31]
	v_fma_f64 v[32:33], -v[26:27], v[30:31], 1.0
	v_fma_f64 v[30:31], v[30:31], v[32:33], v[30:31]
	v_mul_f64 v[32:33], v[34:35], v[30:31]
	v_fma_f64 v[26:27], -v[26:27], v[32:33], v[34:35]
	v_div_fmas_f64 v[26:27], v[26:27], v[30:31], v[32:33]
	v_div_fixup_f64 v[26:27], v[26:27], v[28:29], v[18:19]
.LBB4_20:                               ;   in Loop: Header=BB4_18 Depth=1
	s_andn2_saveexec_b64 s[10:11], s[10:11]
	s_cbranch_execz .LBB4_17
; %bb.21:                               ;   in Loop: Header=BB4_18 Depth=1
	v_mov_b32_e32 v27, s9
	v_mov_b32_e32 v29, v21
	;; [unrolled: 1-line block ×3, first 2 shown]
	s_mov_b64 s[12:13], 0
	v_mov_b32_e32 v26, s8
	s_mov_b64 s[18:19], s[6:7]
	v_mov_b32_e32 v28, v20
	v_mov_b32_e32 v30, v0
	s_branch .LBB4_23
.LBB4_22:                               ;   in Loop: Header=BB4_23 Depth=2
	v_add_co_u32_e32 v30, vcc, 1, v30
	v_addc_co_u32_e32 v31, vcc, 0, v31, vcc
	s_add_u32 s18, s18, -1
	v_cmp_ge_i64_e32 vcc, v[30:31], v[2:3]
	s_addc_u32 s19, s19, -1
	v_mov_b32_e32 v32, s3
	s_or_b64 s[12:13], vcc, s[12:13]
	v_add_co_u32_e32 v28, vcc, s2, v28
	v_addc_co_u32_e32 v29, vcc, v29, v32, vcc
	s_andn2_b64 exec, exec, s[12:13]
	s_cbranch_execz .LBB4_16
.LBB4_23:                               ;   Parent Loop BB4_18 Depth=1
                                        ; =>  This Inner Loop Header: Depth=2
	s_cmp_eq_u64 s[18:19], 0
	s_cbranch_scc1 .LBB4_22
; %bb.24:                               ;   in Loop: Header=BB4_23 Depth=2
	global_load_dwordx2 v[32:33], v[28:29], off
	s_waitcnt vmcnt(0)
	v_mul_f64 v[26:27], v[26:27], v[32:33]
	s_branch .LBB4_22
.LBB4_25:
	s_cbranch_execnz .LBB4_41
	s_branch .LBB4_54
.LBB4_26:
	s_or_b64 exec, exec, s[0:1]
.LBB4_27:
	s_mov_b64 s[0:1], 0
.LBB4_28:
	s_andn2_b64 vcc, exec, s[0:1]
	s_cbranch_vccnz .LBB4_33
; %bb.29:
	s_waitcnt vmcnt(0)
	v_cmp_lt_i64_e32 vcc, v[0:1], v[2:3]
	s_and_saveexec_b64 s[2:3], vcc
	s_cbranch_execz .LBB4_32
; %bb.30:
	v_lshlrev_b64 v[14:15], 3, v[10:11]
	v_mov_b32_e32 v16, s39
	v_add_co_u32_e32 v14, vcc, s38, v14
	v_addc_co_u32_e32 v15, vcc, v16, v15, vcc
	global_load_dwordx2 v[14:15], v[14:15], off
	v_mul_lo_u32 v18, v7, s16
	v_mul_lo_u32 v19, v6, s17
	v_mad_u64_u32 v[16:17], s[0:1], v6, s16, 0
	s_lshl_b64 s[4:5], s[14:15], 3
	s_mov_b64 s[6:7], 0
	v_add3_u32 v17, v17, v19, v18
	v_lshlrev_b64 v[16:17], 3, v[16:17]
	v_lshlrev_b64 v[18:19], 3, v[0:1]
	v_add_co_u32_e32 v18, vcc, v16, v18
	v_addc_co_u32_e32 v19, vcc, v17, v19, vcc
	v_lshlrev_b64 v[16:17], 3, v[4:5]
	v_mul_lo_u32 v19, s14, v19
	v_mul_lo_u32 v20, s15, v18
	v_mad_u64_u32 v[16:17], s[0:1], s14, v18, v[16:17]
	v_add3_u32 v19, v20, v17, v19
	v_lshlrev_b64 v[17:18], 3, v[8:9]
	v_mov_b32_e32 v20, s5
	v_sub_co_u32_e32 v16, vcc, v16, v17
	v_subb_co_u32_e32 v17, vcc, v19, v18, vcc
	v_mov_b32_e32 v18, s37
	v_add_co_u32_e32 v16, vcc, s36, v16
	v_addc_co_u32_e32 v17, vcc, v18, v17, vcc
	v_mov_b32_e32 v19, v1
	v_mov_b32_e32 v18, v0
	s_waitcnt vmcnt(0)
.LBB4_31:                               ; =>This Inner Loop Header: Depth=1
	v_add_co_u32_e32 v18, vcc, 1, v18
	v_addc_co_u32_e32 v19, vcc, 0, v19, vcc
	v_cmp_ge_i64_e64 s[0:1], v[18:19], v[2:3]
	global_store_dwordx2 v[16:17], v[14:15], off
	v_add_co_u32_e32 v16, vcc, s4, v16
	s_or_b64 s[6:7], s[0:1], s[6:7]
	v_addc_co_u32_e32 v17, vcc, v17, v20, vcc
	s_andn2_b64 exec, exec, s[6:7]
	s_cbranch_execnz .LBB4_31
.LBB4_32:
	s_or_b64 exec, exec, s[2:3]
.LBB4_33:
	s_mov_b64 s[0:1], 0
.LBB4_34:
	s_andn2_b64 vcc, exec, s[0:1]
	s_cbranch_vccnz .LBB4_40
; %bb.35:
	s_cmp_lg_u32 s20, 1
	s_cbranch_scc1 .LBB4_40
; %bb.36:
	s_waitcnt vmcnt(0)
	v_cmp_lt_i64_e32 vcc, v[0:1], v[2:3]
	s_and_saveexec_b64 s[2:3], vcc
	s_cbranch_execz .LBB4_39
; %bb.37:
	v_lshlrev_b64 v[14:15], 3, v[10:11]
	v_mov_b32_e32 v16, s39
	v_add_co_u32_e32 v14, vcc, s38, v14
	v_addc_co_u32_e32 v15, vcc, v16, v15, vcc
	global_load_dwordx2 v[14:15], v[14:15], off
	v_cvt_f64_i32_e32 v[16:17], v13
	v_cvt_f64_u32_e32 v[12:13], v12
	v_mul_lo_u32 v28, v7, s16
	v_mul_lo_u32 v29, v6, s17
	v_ldexp_f64 v[16:17], v[16:17], 32
	v_lshlrev_b64 v[24:25], 3, v[0:1]
	v_lshlrev_b64 v[26:27], 3, v[4:5]
	s_lshl_b64 s[4:5], s[14:15], 3
	s_mov_b64 s[6:7], 0
	v_add_f64 v[12:13], v[16:17], v[12:13]
	s_waitcnt vmcnt(0)
	v_div_scale_f64 v[16:17], s[0:1], v[12:13], v[12:13], v[14:15]
	v_rcp_f64_e32 v[18:19], v[16:17]
	v_fma_f64 v[20:21], -v[16:17], v[18:19], 1.0
	v_fma_f64 v[18:19], v[18:19], v[20:21], v[18:19]
	v_div_scale_f64 v[20:21], vcc, v[14:15], v[12:13], v[14:15]
	v_fma_f64 v[22:23], -v[16:17], v[18:19], 1.0
	v_fma_f64 v[18:19], v[18:19], v[22:23], v[18:19]
	v_mul_f64 v[22:23], v[20:21], v[18:19]
	v_fma_f64 v[16:17], -v[16:17], v[22:23], v[20:21]
	v_mad_u64_u32 v[20:21], s[0:1], v6, s16, 0
	v_add3_u32 v21, v21, v29, v28
	v_lshlrev_b64 v[20:21], 3, v[20:21]
	v_div_fmas_f64 v[16:17], v[16:17], v[18:19], v[22:23]
	v_add_co_u32_e32 v18, vcc, v20, v24
	v_addc_co_u32_e32 v19, vcc, v21, v25, vcc
	v_mul_lo_u32 v22, s14, v19
	v_mul_lo_u32 v23, s15, v18
	v_mad_u64_u32 v[18:19], s[0:1], s14, v18, v[26:27]
	v_lshlrev_b64 v[20:21], 3, v[8:9]
	v_add3_u32 v19, v23, v19, v22
	v_sub_co_u32_e32 v18, vcc, v18, v20
	v_subb_co_u32_e32 v19, vcc, v19, v21, vcc
	v_div_fixup_f64 v[12:13], v[16:17], v[12:13], v[14:15]
	v_mov_b32_e32 v15, s37
	v_add_co_u32_e32 v14, vcc, s36, v18
	v_mov_b32_e32 v17, v1
	v_addc_co_u32_e32 v15, vcc, v15, v19, vcc
	v_mov_b32_e32 v16, v0
.LBB4_38:                               ; =>This Inner Loop Header: Depth=1
	v_add_co_u32_e32 v16, vcc, 1, v16
	v_addc_co_u32_e32 v17, vcc, 0, v17, vcc
	v_cmp_ge_i64_e64 s[0:1], v[16:17], v[2:3]
	global_store_dwordx2 v[14:15], v[12:13], off
	v_mov_b32_e32 v18, s5
	v_add_co_u32_e32 v14, vcc, s4, v14
	s_or_b64 s[6:7], s[0:1], s[6:7]
	v_addc_co_u32_e32 v15, vcc, v15, v18, vcc
	s_andn2_b64 exec, exec, s[6:7]
	s_cbranch_execnz .LBB4_38
.LBB4_39:
	s_or_b64 exec, exec, s[2:3]
.LBB4_40:
	s_branch .LBB4_54
.LBB4_41:
	s_waitcnt vmcnt(0)
	v_cmp_ge_i64_e32 vcc, v[0:1], v[2:3]
	v_cmp_lt_i64_e64 s[0:1], v[0:1], v[2:3]
	v_mov_b32_e32 v12, 0
	v_mov_b32_e32 v13, 0
	s_and_saveexec_b64 s[2:3], s[0:1]
	s_cbranch_execz .LBB4_49
; %bb.42:
	v_mad_u64_u32 v[14:15], s[0:1], v6, s16, v[0:1]
	v_mul_lo_u32 v16, v6, s17
	v_mul_lo_u32 v17, v7, s16
	v_lshlrev_b64 v[12:13], 3, v[10:11]
	v_mov_b32_e32 v11, s41
	v_add_co_u32_e64 v10, s[0:1], s40, v12
	v_add3_u32 v15, v17, v15, v16
	v_addc_co_u32_e64 v11, s[0:1], v11, v13, s[0:1]
	v_mul_lo_u32 v19, s15, v14
	v_mul_lo_u32 v20, s14, v15
	v_mad_u64_u32 v[16:17], s[0:1], s14, v14, v[4:5]
	v_mov_b32_e32 v18, s39
	v_add_co_u32_e64 v14, s[0:1], s38, v12
	v_addc_co_u32_e64 v15, s[0:1], v18, v13, s[0:1]
	v_add3_u32 v13, v19, v17, v20
	v_sub_co_u32_e64 v12, s[0:1], v16, v8
	v_subb_co_u32_e64 v13, s[0:1], v13, v9, s[0:1]
	v_lshlrev_b64 v[16:17], 3, v[12:13]
	v_mov_b32_e32 v12, 0
	v_mov_b32_e32 v19, v1
	s_lshl_b64 s[6:7], s[14:15], 3
	s_mov_b64 s[4:5], 0
	v_mov_b32_e32 v13, 0
	v_mov_b32_e32 v22, s43
	;; [unrolled: 1-line block ×3, first 2 shown]
	s_branch .LBB4_44
.LBB4_43:                               ;   in Loop: Header=BB4_44 Depth=1
	s_or_b64 exec, exec, s[8:9]
	v_add_co_u32_e64 v18, s[0:1], 1, v18
	v_addc_co_u32_e64 v19, s[0:1], 0, v19, s[0:1]
	v_cmp_ge_i64_e64 s[0:1], v[18:19], v[2:3]
	v_mov_b32_e32 v20, s7
	s_or_b64 s[4:5], s[0:1], s[4:5]
	v_add_co_u32_e64 v16, s[0:1], s6, v16
	v_addc_co_u32_e64 v17, s[0:1], v17, v20, s[0:1]
	s_andn2_b64 exec, exec, s[4:5]
	s_cbranch_execz .LBB4_48
.LBB4_44:                               ; =>This Inner Loop Header: Depth=1
	v_add_co_u32_e64 v20, s[0:1], s42, v16
	v_addc_co_u32_e64 v21, s[0:1], v22, v17, s[0:1]
	global_load_dwordx2 v[20:21], v[20:21], off
	s_waitcnt vmcnt(0)
	v_cmp_u_f64_e64 s[10:11], v[20:21], v[20:21]
	v_cmp_o_f64_e64 s[0:1], v[20:21], v[20:21]
	s_and_saveexec_b64 s[8:9], s[0:1]
	s_cbranch_execz .LBB4_46
; %bb.45:                               ;   in Loop: Header=BB4_44 Depth=1
	global_load_dwordx2 v[23:24], v[10:11], off
	s_andn2_b64 s[10:11], s[10:11], exec
	s_waitcnt vmcnt(0)
	v_cmp_eq_f64_e64 s[0:1], v[20:21], v[23:24]
	s_and_b64 s[0:1], s[0:1], exec
	s_or_b64 s[10:11], s[10:11], s[0:1]
.LBB4_46:                               ;   in Loop: Header=BB4_44 Depth=1
	s_or_b64 exec, exec, s[8:9]
	s_and_saveexec_b64 s[8:9], s[10:11]
	s_cbranch_execz .LBB4_43
; %bb.47:                               ;   in Loop: Header=BB4_44 Depth=1
	global_load_dwordx2 v[20:21], v[14:15], off
	v_mov_b32_e32 v24, s37
	v_add_co_u32_e64 v23, s[0:1], s36, v16
	v_addc_co_u32_e64 v24, s[0:1], v24, v17, s[0:1]
	v_add_co_u32_e64 v12, s[0:1], 1, v12
	v_addc_co_u32_e64 v13, s[0:1], 0, v13, s[0:1]
	s_waitcnt vmcnt(0)
	global_store_dwordx2 v[23:24], v[20:21], off
	s_branch .LBB4_43
.LBB4_48:
	s_or_b64 exec, exec, s[4:5]
.LBB4_49:
	s_or_b64 exec, exec, s[2:3]
	v_cmp_lt_i64_e64 s[0:1], 1, v[12:13]
	s_xor_b64 s[2:3], vcc, -1
	s_and_b64 s[0:1], s[0:1], s[2:3]
	s_and_b64 exec, exec, s[0:1]
	s_cbranch_execz .LBB4_54
; %bb.50:
	v_cvt_f64_u32_e32 v[10:11], v13
	v_mul_lo_u32 v14, v7, s16
	v_mul_lo_u32 v15, v6, s17
	v_mad_u64_u32 v[6:7], s[0:1], v6, s16, 0
	v_ldexp_f64 v[10:11], v[10:11], 32
	v_cvt_f64_u32_e32 v[12:13], v12
	v_add3_u32 v7, v7, v15, v14
	v_lshlrev_b64 v[6:7], 3, v[6:7]
	v_lshlrev_b64 v[14:15], 3, v[0:1]
	;; [unrolled: 1-line block ×3, first 2 shown]
	v_add_co_u32_e32 v6, vcc, v6, v14
	v_addc_co_u32_e32 v7, vcc, v7, v15, vcc
	v_mul_lo_u32 v14, s14, v7
	v_mul_lo_u32 v15, s15, v6
	v_mad_u64_u32 v[6:7], s[0:1], s14, v6, v[4:5]
	v_add_f64 v[4:5], v[10:11], v[12:13]
	s_lshl_b64 s[0:1], s[14:15], 3
	v_add3_u32 v10, v15, v7, v14
	v_lshlrev_b64 v[7:8], 3, v[8:9]
	s_mov_b64 s[2:3], 0
	v_sub_co_u32_e32 v6, vcc, v6, v7
	v_subb_co_u32_e32 v7, vcc, v10, v8, vcc
	v_mov_b32_e32 v8, s37
	v_add_co_u32_e32 v6, vcc, s36, v6
	v_addc_co_u32_e32 v7, vcc, v8, v7, vcc
	s_branch .LBB4_52
.LBB4_51:                               ;   in Loop: Header=BB4_52 Depth=1
	s_or_b64 exec, exec, s[4:5]
	v_add_co_u32_e32 v0, vcc, 1, v0
	v_addc_co_u32_e32 v1, vcc, 0, v1, vcc
	v_cmp_ge_i64_e32 vcc, v[0:1], v[2:3]
	v_mov_b32_e32 v8, s1
	s_or_b64 s[2:3], vcc, s[2:3]
	v_add_co_u32_e32 v6, vcc, s0, v6
	v_addc_co_u32_e32 v7, vcc, v7, v8, vcc
	s_andn2_b64 exec, exec, s[2:3]
	s_cbranch_execz .LBB4_54
.LBB4_52:                               ; =>This Inner Loop Header: Depth=1
	global_load_dwordx2 v[8:9], v[6:7], off
	s_waitcnt vmcnt(0)
	v_cmp_lt_f64_e32 vcc, 0, v[8:9]
	s_and_saveexec_b64 s[4:5], vcc
	s_cbranch_execz .LBB4_51
; %bb.53:                               ;   in Loop: Header=BB4_52 Depth=1
	v_div_scale_f64 v[10:11], s[6:7], v[4:5], v[4:5], v[8:9]
	v_div_scale_f64 v[16:17], vcc, v[8:9], v[4:5], v[8:9]
	v_rcp_f64_e32 v[12:13], v[10:11]
	v_fma_f64 v[14:15], -v[10:11], v[12:13], 1.0
	v_fma_f64 v[12:13], v[12:13], v[14:15], v[12:13]
	v_fma_f64 v[14:15], -v[10:11], v[12:13], 1.0
	v_fma_f64 v[12:13], v[12:13], v[14:15], v[12:13]
	v_mul_f64 v[14:15], v[16:17], v[12:13]
	v_fma_f64 v[10:11], -v[10:11], v[14:15], v[16:17]
	v_div_fmas_f64 v[10:11], v[10:11], v[12:13], v[14:15]
	v_div_fixup_f64 v[8:9], v[10:11], v[4:5], v[8:9]
	global_store_dwordx2 v[6:7], v[8:9], off
	s_branch .LBB4_51
.LBB4_54:
	s_endpgm
	.section	.rodata,"a",@progbits
	.p2align	6, 0x0
	.amdhsa_kernel _ZN2at6native12_GLOBAL__N_130segment_reduce_backward_kernelIdlEEvNS0_13ReductionTypeEPT_PKS4_S7_S7_PKT0_SA_llS4_lllllll
		.amdhsa_group_segment_fixed_size 0
		.amdhsa_private_segment_fixed_size 0
		.amdhsa_kernarg_size 392
		.amdhsa_user_sgpr_count 6
		.amdhsa_user_sgpr_private_segment_buffer 1
		.amdhsa_user_sgpr_dispatch_ptr 0
		.amdhsa_user_sgpr_queue_ptr 0
		.amdhsa_user_sgpr_kernarg_segment_ptr 1
		.amdhsa_user_sgpr_dispatch_id 0
		.amdhsa_user_sgpr_flat_scratch_init 0
		.amdhsa_user_sgpr_private_segment_size 0
		.amdhsa_uses_dynamic_stack 0
		.amdhsa_system_sgpr_private_segment_wavefront_offset 0
		.amdhsa_system_sgpr_workgroup_id_x 1
		.amdhsa_system_sgpr_workgroup_id_y 0
		.amdhsa_system_sgpr_workgroup_id_z 0
		.amdhsa_system_sgpr_workgroup_info 0
		.amdhsa_system_vgpr_workitem_id 0
		.amdhsa_next_free_vgpr 36
		.amdhsa_next_free_sgpr 52
		.amdhsa_reserve_vcc 1
		.amdhsa_reserve_flat_scratch 0
		.amdhsa_float_round_mode_32 0
		.amdhsa_float_round_mode_16_64 0
		.amdhsa_float_denorm_mode_32 3
		.amdhsa_float_denorm_mode_16_64 3
		.amdhsa_dx10_clamp 1
		.amdhsa_ieee_mode 1
		.amdhsa_fp16_overflow 0
		.amdhsa_exception_fp_ieee_invalid_op 0
		.amdhsa_exception_fp_denorm_src 0
		.amdhsa_exception_fp_ieee_div_zero 0
		.amdhsa_exception_fp_ieee_overflow 0
		.amdhsa_exception_fp_ieee_underflow 0
		.amdhsa_exception_fp_ieee_inexact 0
		.amdhsa_exception_int_div_zero 0
	.end_amdhsa_kernel
	.section	.text._ZN2at6native12_GLOBAL__N_130segment_reduce_backward_kernelIdlEEvNS0_13ReductionTypeEPT_PKS4_S7_S7_PKT0_SA_llS4_lllllll,"axG",@progbits,_ZN2at6native12_GLOBAL__N_130segment_reduce_backward_kernelIdlEEvNS0_13ReductionTypeEPT_PKS4_S7_S7_PKT0_SA_llS4_lllllll,comdat
.Lfunc_end4:
	.size	_ZN2at6native12_GLOBAL__N_130segment_reduce_backward_kernelIdlEEvNS0_13ReductionTypeEPT_PKS4_S7_S7_PKT0_SA_llS4_lllllll, .Lfunc_end4-_ZN2at6native12_GLOBAL__N_130segment_reduce_backward_kernelIdlEEvNS0_13ReductionTypeEPT_PKS4_S7_S7_PKT0_SA_llS4_lllllll
                                        ; -- End function
	.set _ZN2at6native12_GLOBAL__N_130segment_reduce_backward_kernelIdlEEvNS0_13ReductionTypeEPT_PKS4_S7_S7_PKT0_SA_llS4_lllllll.num_vgpr, 36
	.set _ZN2at6native12_GLOBAL__N_130segment_reduce_backward_kernelIdlEEvNS0_13ReductionTypeEPT_PKS4_S7_S7_PKT0_SA_llS4_lllllll.num_agpr, 0
	.set _ZN2at6native12_GLOBAL__N_130segment_reduce_backward_kernelIdlEEvNS0_13ReductionTypeEPT_PKS4_S7_S7_PKT0_SA_llS4_lllllll.numbered_sgpr, 52
	.set _ZN2at6native12_GLOBAL__N_130segment_reduce_backward_kernelIdlEEvNS0_13ReductionTypeEPT_PKS4_S7_S7_PKT0_SA_llS4_lllllll.num_named_barrier, 0
	.set _ZN2at6native12_GLOBAL__N_130segment_reduce_backward_kernelIdlEEvNS0_13ReductionTypeEPT_PKS4_S7_S7_PKT0_SA_llS4_lllllll.private_seg_size, 0
	.set _ZN2at6native12_GLOBAL__N_130segment_reduce_backward_kernelIdlEEvNS0_13ReductionTypeEPT_PKS4_S7_S7_PKT0_SA_llS4_lllllll.uses_vcc, 1
	.set _ZN2at6native12_GLOBAL__N_130segment_reduce_backward_kernelIdlEEvNS0_13ReductionTypeEPT_PKS4_S7_S7_PKT0_SA_llS4_lllllll.uses_flat_scratch, 0
	.set _ZN2at6native12_GLOBAL__N_130segment_reduce_backward_kernelIdlEEvNS0_13ReductionTypeEPT_PKS4_S7_S7_PKT0_SA_llS4_lllllll.has_dyn_sized_stack, 0
	.set _ZN2at6native12_GLOBAL__N_130segment_reduce_backward_kernelIdlEEvNS0_13ReductionTypeEPT_PKS4_S7_S7_PKT0_SA_llS4_lllllll.has_recursion, 0
	.set _ZN2at6native12_GLOBAL__N_130segment_reduce_backward_kernelIdlEEvNS0_13ReductionTypeEPT_PKS4_S7_S7_PKT0_SA_llS4_lllllll.has_indirect_call, 0
	.section	.AMDGPU.csdata,"",@progbits
; Kernel info:
; codeLenInByte = 4024
; TotalNumSgprs: 56
; NumVgprs: 36
; ScratchSize: 0
; MemoryBound: 1
; FloatMode: 240
; IeeeMode: 1
; LDSByteSize: 0 bytes/workgroup (compile time only)
; SGPRBlocks: 6
; VGPRBlocks: 8
; NumSGPRsForWavesPerEU: 56
; NumVGPRsForWavesPerEU: 36
; Occupancy: 7
; WaveLimiterHint : 0
; COMPUTE_PGM_RSRC2:SCRATCH_EN: 0
; COMPUTE_PGM_RSRC2:USER_SGPR: 6
; COMPUTE_PGM_RSRC2:TRAP_HANDLER: 0
; COMPUTE_PGM_RSRC2:TGID_X_EN: 1
; COMPUTE_PGM_RSRC2:TGID_Y_EN: 0
; COMPUTE_PGM_RSRC2:TGID_Z_EN: 0
; COMPUTE_PGM_RSRC2:TIDIG_COMP_CNT: 0
	.section	.text._ZN2at6native12_GLOBAL__N_130segment_reduce_backward_kernelIflEEvNS0_13ReductionTypeEPT_PKS4_S7_S7_PKT0_SA_llS4_lllllll,"axG",@progbits,_ZN2at6native12_GLOBAL__N_130segment_reduce_backward_kernelIflEEvNS0_13ReductionTypeEPT_PKS4_S7_S7_PKT0_SA_llS4_lllllll,comdat
	.globl	_ZN2at6native12_GLOBAL__N_130segment_reduce_backward_kernelIflEEvNS0_13ReductionTypeEPT_PKS4_S7_S7_PKT0_SA_llS4_lllllll ; -- Begin function _ZN2at6native12_GLOBAL__N_130segment_reduce_backward_kernelIflEEvNS0_13ReductionTypeEPT_PKS4_S7_S7_PKT0_SA_llS4_lllllll
	.p2align	8
	.type	_ZN2at6native12_GLOBAL__N_130segment_reduce_backward_kernelIflEEvNS0_13ReductionTypeEPT_PKS4_S7_S7_PKT0_SA_llS4_lllllll,@function
_ZN2at6native12_GLOBAL__N_130segment_reduce_backward_kernelIflEEvNS0_13ReductionTypeEPT_PKS4_S7_S7_PKT0_SA_llS4_lllllll: ; @_ZN2at6native12_GLOBAL__N_130segment_reduce_backward_kernelIflEEvNS0_13ReductionTypeEPT_PKS4_S7_S7_PKT0_SA_llS4_lllllll
; %bb.0:
	s_load_dword s0, s[4:5], 0x94
	s_load_dwordx16 s[8:23], s[4:5], 0x8
	s_load_dwordx8 s[24:31], s[4:5], 0x50
	v_mov_b32_e32 v2, 0
	v_mov_b32_e32 v1, v2
	s_waitcnt lgkmcnt(0)
	s_and_b32 s0, s0, 0xffff
	v_mov_b32_e32 v3, s6
	v_mad_u64_u32 v[4:5], s[0:1], s0, v3, v[0:1]
	s_mul_i32 s0, s24, s21
	s_mul_hi_u32 s1, s24, s20
	s_add_i32 s0, s1, s0
	s_mul_i32 s1, s25, s20
	s_mul_i32 s2, s24, s20
	s_add_i32 s0, s0, s1
	s_mul_i32 s1, s2, s27
	s_mul_hi_u32 s3, s2, s26
	s_add_i32 s1, s3, s1
	s_mul_i32 s0, s0, s26
	s_add_i32 s1, s1, s0
	s_mul_i32 s0, s2, s26
	v_cmp_gt_i64_e32 vcc, s[0:1], v[4:5]
	s_and_saveexec_b64 s[0:1], vcc
	s_cbranch_execz .LBB5_54
; %bb.1:
	v_or_b32_e32 v3, s27, v5
	v_cmp_ne_u64_e32 vcc, 0, v[2:3]
                                        ; implicit-def: $vgpr8_vgpr9
	s_and_saveexec_b64 s[0:1], vcc
	s_xor_b64 s[2:3], exec, s[0:1]
	s_cbranch_execz .LBB5_3
; %bb.2:
	s_ashr_i32 s6, s27, 31
	s_add_u32 s0, s26, s6
	s_mov_b32 s7, s6
	s_addc_u32 s1, s27, s6
	s_xor_b64 s[24:25], s[0:1], s[6:7]
	v_cvt_f32_u32_e32 v0, s24
	v_cvt_f32_u32_e32 v1, s25
	s_sub_u32 s7, 0, s24
	s_subb_u32 s33, 0, s25
	v_ashrrev_i32_e32 v6, 31, v5
	v_madmk_f32 v0, v1, 0x4f800000, v0
	v_rcp_f32_e32 v0, v0
	v_mul_f32_e32 v0, 0x5f7ffffc, v0
	v_mul_f32_e32 v1, 0x2f800000, v0
	v_trunc_f32_e32 v1, v1
	v_madmk_f32 v0, v1, 0xcf800000, v0
	v_cvt_u32_f32_e32 v1, v1
	v_cvt_u32_f32_e32 v0, v0
	v_readfirstlane_b32 s34, v1
	v_readfirstlane_b32 s0, v0
	s_mul_i32 s1, s7, s34
	s_mul_hi_u32 s36, s7, s0
	s_mul_i32 s35, s33, s0
	s_add_i32 s1, s36, s1
	s_add_i32 s1, s1, s35
	s_mul_i32 s37, s7, s0
	s_mul_i32 s36, s0, s1
	s_mul_hi_u32 s38, s0, s37
	s_mul_hi_u32 s35, s0, s1
	s_add_u32 s36, s38, s36
	s_addc_u32 s35, 0, s35
	s_mul_hi_u32 s39, s34, s37
	s_mul_i32 s37, s34, s37
	s_add_u32 s36, s36, s37
	s_mul_hi_u32 s38, s34, s1
	s_addc_u32 s35, s35, s39
	s_addc_u32 s36, s38, 0
	s_mul_i32 s1, s34, s1
	s_add_u32 s1, s35, s1
	s_addc_u32 s35, 0, s36
	s_add_u32 s36, s0, s1
	s_cselect_b64 s[0:1], -1, 0
	s_cmp_lg_u64 s[0:1], 0
	s_addc_u32 s34, s34, s35
	s_mul_i32 s0, s7, s34
	s_mul_hi_u32 s1, s7, s36
	s_add_i32 s0, s1, s0
	s_mul_i32 s33, s33, s36
	s_add_i32 s0, s0, s33
	s_mul_i32 s7, s7, s36
	s_mul_hi_u32 s33, s34, s7
	s_mul_i32 s35, s34, s7
	s_mul_i32 s38, s36, s0
	s_mul_hi_u32 s7, s36, s7
	s_mul_hi_u32 s37, s36, s0
	s_add_u32 s7, s7, s38
	s_addc_u32 s37, 0, s37
	s_add_u32 s7, s7, s35
	s_mul_hi_u32 s1, s34, s0
	s_addc_u32 s7, s37, s33
	s_addc_u32 s1, s1, 0
	s_mul_i32 s0, s34, s0
	s_add_u32 s0, s7, s0
	s_addc_u32 s7, 0, s1
	s_add_u32 s33, s36, s0
	s_cselect_b64 s[0:1], -1, 0
	s_cmp_lg_u64 s[0:1], 0
	v_add_co_u32_e32 v0, vcc, v4, v6
	s_addc_u32 s7, s34, s7
	v_xor_b32_e32 v7, v0, v6
	v_mad_u64_u32 v[0:1], s[0:1], v7, s7, 0
	v_mul_hi_u32 v3, v7, s33
	v_addc_co_u32_e32 v2, vcc, v5, v6, vcc
	v_xor_b32_e32 v8, v2, v6
	v_add_co_u32_e32 v9, vcc, v3, v0
	v_addc_co_u32_e32 v10, vcc, 0, v1, vcc
	v_mad_u64_u32 v[0:1], s[0:1], v8, s33, 0
	v_mad_u64_u32 v[2:3], s[0:1], v8, s7, 0
	v_add_co_u32_e32 v0, vcc, v9, v0
	v_addc_co_u32_e32 v0, vcc, v10, v1, vcc
	v_addc_co_u32_e32 v1, vcc, 0, v3, vcc
	v_add_co_u32_e32 v2, vcc, v0, v2
	v_addc_co_u32_e32 v3, vcc, 0, v1, vcc
	v_mul_lo_u32 v9, s25, v2
	v_mul_lo_u32 v10, s24, v3
	v_mad_u64_u32 v[0:1], s[0:1], s24, v2, 0
	v_add3_u32 v1, v1, v10, v9
	v_sub_u32_e32 v9, v8, v1
	v_mov_b32_e32 v10, s25
	v_sub_co_u32_e32 v0, vcc, v7, v0
	v_subb_co_u32_e64 v7, s[0:1], v9, v10, vcc
	v_subrev_co_u32_e64 v9, s[0:1], s24, v0
	v_subbrev_co_u32_e64 v7, s[0:1], 0, v7, s[0:1]
	v_cmp_le_u32_e64 s[0:1], s25, v7
	v_cndmask_b32_e64 v10, 0, -1, s[0:1]
	v_cmp_le_u32_e64 s[0:1], s24, v9
	v_cndmask_b32_e64 v9, 0, -1, s[0:1]
	v_cmp_eq_u32_e64 s[0:1], s25, v7
	v_cndmask_b32_e64 v7, v10, v9, s[0:1]
	v_add_co_u32_e64 v9, s[0:1], 2, v2
	v_subb_co_u32_e32 v1, vcc, v8, v1, vcc
	v_addc_co_u32_e64 v10, s[0:1], 0, v3, s[0:1]
	v_cmp_le_u32_e32 vcc, s25, v1
	v_add_co_u32_e64 v11, s[0:1], 1, v2
	v_cndmask_b32_e64 v8, 0, -1, vcc
	v_cmp_le_u32_e32 vcc, s24, v0
	v_addc_co_u32_e64 v12, s[0:1], 0, v3, s[0:1]
	v_cndmask_b32_e64 v0, 0, -1, vcc
	v_cmp_eq_u32_e32 vcc, s25, v1
	v_cmp_ne_u32_e64 s[0:1], 0, v7
	v_cndmask_b32_e32 v0, v8, v0, vcc
	v_cmp_ne_u32_e32 vcc, 0, v0
	v_cndmask_b32_e64 v1, v11, v9, s[0:1]
	v_cndmask_b32_e64 v7, v12, v10, s[0:1]
	v_cndmask_b32_e32 v1, v2, v1, vcc
	v_xor_b32_e32 v2, s6, v6
	v_cndmask_b32_e32 v0, v3, v7, vcc
	v_xor_b32_e32 v1, v1, v2
	v_xor_b32_e32 v0, v0, v2
	v_sub_co_u32_e32 v8, vcc, v1, v2
	v_subb_co_u32_e32 v9, vcc, v0, v2, vcc
.LBB5_3:
	s_andn2_saveexec_b64 s[0:1], s[2:3]
	s_cbranch_execz .LBB5_5
; %bb.4:
	v_cvt_f32_u32_e32 v0, s26
	s_sub_i32 s2, 0, s26
	v_mov_b32_e32 v9, 0
	v_rcp_iflag_f32_e32 v0, v0
	v_mul_f32_e32 v0, 0x4f7ffffe, v0
	v_cvt_u32_f32_e32 v0, v0
	v_mul_lo_u32 v1, s2, v0
	v_mul_hi_u32 v1, v0, v1
	v_add_u32_e32 v0, v0, v1
	v_mul_hi_u32 v0, v4, v0
	v_mul_lo_u32 v1, v0, s26
	v_add_u32_e32 v2, 1, v0
	v_sub_u32_e32 v1, v4, v1
	v_subrev_u32_e32 v3, s26, v1
	v_cmp_le_u32_e32 vcc, s26, v1
	v_cndmask_b32_e32 v1, v1, v3, vcc
	v_cndmask_b32_e32 v0, v0, v2, vcc
	v_add_u32_e32 v2, 1, v0
	v_cmp_le_u32_e32 vcc, s26, v1
	v_cndmask_b32_e32 v8, v0, v2, vcc
.LBB5_5:
	s_or_b64 exec, exec, s[0:1]
	v_or_b32_e32 v1, s21, v9
	v_mov_b32_e32 v0, 0
	v_cmp_ne_u64_e32 vcc, 0, v[0:1]
                                        ; implicit-def: $vgpr6_vgpr7
	s_and_saveexec_b64 s[0:1], vcc
	s_xor_b64 s[2:3], exec, s[0:1]
	s_cbranch_execz .LBB5_7
; %bb.6:
	s_ashr_i32 s6, s21, 31
	s_add_u32 s0, s20, s6
	s_mov_b32 s7, s6
	s_addc_u32 s1, s21, s6
	s_xor_b64 s[24:25], s[0:1], s[6:7]
	v_cvt_f32_u32_e32 v0, s24
	v_cvt_f32_u32_e32 v1, s25
	s_sub_u32 s7, 0, s24
	s_subb_u32 s33, 0, s25
	v_ashrrev_i32_e32 v6, 31, v9
	v_madmk_f32 v0, v1, 0x4f800000, v0
	v_rcp_f32_e32 v0, v0
	v_mul_f32_e32 v0, 0x5f7ffffc, v0
	v_mul_f32_e32 v1, 0x2f800000, v0
	v_trunc_f32_e32 v1, v1
	v_madmk_f32 v0, v1, 0xcf800000, v0
	v_cvt_u32_f32_e32 v1, v1
	v_cvt_u32_f32_e32 v0, v0
	v_readfirstlane_b32 s34, v1
	v_readfirstlane_b32 s0, v0
	s_mul_i32 s1, s7, s34
	s_mul_hi_u32 s36, s7, s0
	s_mul_i32 s35, s33, s0
	s_add_i32 s1, s36, s1
	s_add_i32 s1, s1, s35
	s_mul_i32 s37, s7, s0
	s_mul_i32 s36, s0, s1
	s_mul_hi_u32 s38, s0, s37
	s_mul_hi_u32 s35, s0, s1
	s_add_u32 s36, s38, s36
	s_addc_u32 s35, 0, s35
	s_mul_hi_u32 s39, s34, s37
	s_mul_i32 s37, s34, s37
	s_add_u32 s36, s36, s37
	s_mul_hi_u32 s38, s34, s1
	s_addc_u32 s35, s35, s39
	s_addc_u32 s36, s38, 0
	s_mul_i32 s1, s34, s1
	s_add_u32 s1, s35, s1
	s_addc_u32 s35, 0, s36
	s_add_u32 s36, s0, s1
	s_cselect_b64 s[0:1], -1, 0
	s_cmp_lg_u64 s[0:1], 0
	s_addc_u32 s34, s34, s35
	s_mul_i32 s0, s7, s34
	s_mul_hi_u32 s1, s7, s36
	s_add_i32 s0, s1, s0
	s_mul_i32 s33, s33, s36
	s_add_i32 s0, s0, s33
	s_mul_i32 s7, s7, s36
	s_mul_hi_u32 s33, s34, s7
	s_mul_i32 s35, s34, s7
	s_mul_i32 s38, s36, s0
	s_mul_hi_u32 s7, s36, s7
	s_mul_hi_u32 s37, s36, s0
	s_add_u32 s7, s7, s38
	s_addc_u32 s37, 0, s37
	s_add_u32 s7, s7, s35
	s_mul_hi_u32 s1, s34, s0
	s_addc_u32 s7, s37, s33
	s_addc_u32 s1, s1, 0
	s_mul_i32 s0, s34, s0
	s_add_u32 s0, s7, s0
	s_addc_u32 s7, 0, s1
	s_add_u32 s33, s36, s0
	s_cselect_b64 s[0:1], -1, 0
	s_cmp_lg_u64 s[0:1], 0
	v_add_co_u32_e32 v0, vcc, v8, v6
	s_addc_u32 s7, s34, s7
	v_xor_b32_e32 v7, v0, v6
	v_mad_u64_u32 v[0:1], s[0:1], v7, s7, 0
	v_mul_hi_u32 v3, v7, s33
	v_addc_co_u32_e32 v2, vcc, v9, v6, vcc
	v_xor_b32_e32 v10, v2, v6
	v_add_co_u32_e32 v11, vcc, v3, v0
	v_addc_co_u32_e32 v12, vcc, 0, v1, vcc
	v_mad_u64_u32 v[0:1], s[0:1], v10, s33, 0
	v_mad_u64_u32 v[2:3], s[0:1], v10, s7, 0
	v_add_co_u32_e32 v0, vcc, v11, v0
	v_addc_co_u32_e32 v0, vcc, v12, v1, vcc
	v_addc_co_u32_e32 v1, vcc, 0, v3, vcc
	v_add_co_u32_e32 v2, vcc, v0, v2
	v_addc_co_u32_e32 v3, vcc, 0, v1, vcc
	v_mul_lo_u32 v11, s25, v2
	v_mul_lo_u32 v12, s24, v3
	v_mad_u64_u32 v[0:1], s[0:1], s24, v2, 0
	v_add3_u32 v1, v1, v12, v11
	v_sub_u32_e32 v11, v10, v1
	v_mov_b32_e32 v12, s25
	v_sub_co_u32_e32 v0, vcc, v7, v0
	v_subb_co_u32_e64 v7, s[0:1], v11, v12, vcc
	v_subrev_co_u32_e64 v11, s[0:1], s24, v0
	v_subbrev_co_u32_e64 v7, s[0:1], 0, v7, s[0:1]
	v_cmp_le_u32_e64 s[0:1], s25, v7
	v_cndmask_b32_e64 v12, 0, -1, s[0:1]
	v_cmp_le_u32_e64 s[0:1], s24, v11
	v_cndmask_b32_e64 v11, 0, -1, s[0:1]
	v_cmp_eq_u32_e64 s[0:1], s25, v7
	v_cndmask_b32_e64 v7, v12, v11, s[0:1]
	v_add_co_u32_e64 v11, s[0:1], 2, v2
	v_subb_co_u32_e32 v1, vcc, v10, v1, vcc
	v_addc_co_u32_e64 v12, s[0:1], 0, v3, s[0:1]
	v_cmp_le_u32_e32 vcc, s25, v1
	v_add_co_u32_e64 v13, s[0:1], 1, v2
	v_cndmask_b32_e64 v10, 0, -1, vcc
	v_cmp_le_u32_e32 vcc, s24, v0
	v_addc_co_u32_e64 v14, s[0:1], 0, v3, s[0:1]
	v_cndmask_b32_e64 v0, 0, -1, vcc
	v_cmp_eq_u32_e32 vcc, s25, v1
	v_cmp_ne_u32_e64 s[0:1], 0, v7
	v_cndmask_b32_e32 v0, v10, v0, vcc
	v_cmp_ne_u32_e32 vcc, 0, v0
	v_cndmask_b32_e64 v1, v13, v11, s[0:1]
	v_cndmask_b32_e64 v7, v14, v12, s[0:1]
	v_cndmask_b32_e32 v1, v2, v1, vcc
	v_xor_b32_e32 v2, s6, v6
	v_cndmask_b32_e32 v0, v3, v7, vcc
	v_xor_b32_e32 v1, v1, v2
	v_xor_b32_e32 v0, v0, v2
	v_sub_co_u32_e32 v6, vcc, v1, v2
	v_subb_co_u32_e32 v7, vcc, v0, v2, vcc
.LBB5_7:
	s_andn2_saveexec_b64 s[0:1], s[2:3]
	s_cbranch_execz .LBB5_9
; %bb.8:
	v_cvt_f32_u32_e32 v0, s20
	s_sub_i32 s2, 0, s20
	v_mov_b32_e32 v7, 0
	v_rcp_iflag_f32_e32 v0, v0
	v_mul_f32_e32 v0, 0x4f7ffffe, v0
	v_cvt_u32_f32_e32 v0, v0
	v_mul_lo_u32 v1, s2, v0
	v_mul_hi_u32 v1, v0, v1
	v_add_u32_e32 v0, v0, v1
	v_mul_hi_u32 v0, v8, v0
	v_mul_lo_u32 v1, v0, s20
	v_add_u32_e32 v2, 1, v0
	v_sub_u32_e32 v1, v8, v1
	v_subrev_u32_e32 v3, s20, v1
	v_cmp_le_u32_e32 vcc, s20, v1
	v_cndmask_b32_e32 v1, v1, v3, vcc
	v_cndmask_b32_e32 v0, v0, v2, vcc
	v_add_u32_e32 v2, 1, v0
	v_cmp_le_u32_e32 vcc, s20, v1
	v_cndmask_b32_e32 v6, v0, v2, vcc
.LBB5_9:
	s_or_b64 exec, exec, s[0:1]
	v_mul_lo_u32 v2, v7, s20
	v_mul_lo_u32 v3, v6, s21
	v_mad_u64_u32 v[0:1], s[0:1], v6, s20, 0
	v_add3_u32 v3, v1, v3, v2
	v_mul_lo_u32 v12, v3, s22
	v_mul_lo_u32 v13, v0, s23
	v_mad_u64_u32 v[1:2], s[0:1], v0, s22, 0
	v_sub_co_u32_e32 v10, vcc, v8, v0
	v_add3_u32 v2, v2, v13, v12
	v_lshlrev_b64 v[0:1], 3, v[1:2]
	v_subb_co_u32_e32 v11, vcc, v9, v3, vcc
	v_mov_b32_e32 v2, s17
	v_add_co_u32_e32 v3, vcc, s16, v0
	v_addc_co_u32_e32 v12, vcc, v2, v1, vcc
	v_lshlrev_b64 v[0:1], 3, v[10:11]
	v_add_co_u32_e32 v2, vcc, v3, v0
	v_addc_co_u32_e32 v3, vcc, v12, v1, vcc
	global_load_dwordx2 v[12:13], v[2:3], off
	s_waitcnt vmcnt(0)
	v_cmp_ne_u64_e32 vcc, 0, v[12:13]
	s_and_b64 exec, exec, vcc
	s_cbranch_execz .LBB5_54
; %bb.10:
	s_load_dwordx8 s[36:43], s[4:5], 0x70
	s_add_u32 s0, s20, 1
	s_addc_u32 s1, s21, 0
	s_load_dword s22, s[4:5], 0x0
	s_waitcnt lgkmcnt(0)
	s_mul_i32 s1, s40, s1
	s_mul_hi_u32 s2, s40, s0
	s_mul_i32 s3, s41, s0
	s_add_i32 s1, s2, s1
	s_add_i32 s1, s1, s3
	s_mul_i32 s0, s40, s0
	v_mul_lo_u32 v14, s1, v6
	v_mul_lo_u32 v15, s0, v7
	v_mad_u64_u32 v[2:3], s[0:1], s0, v6, 0
	v_add3_u32 v3, v3, v15, v14
	v_lshlrev_b64 v[2:3], 3, v[2:3]
	v_mov_b32_e32 v14, s19
	v_add_co_u32_e32 v2, vcc, s18, v2
	v_addc_co_u32_e32 v3, vcc, v14, v3, vcc
	v_add_co_u32_e32 v0, vcc, v2, v0
	v_addc_co_u32_e32 v1, vcc, v3, v1, vcc
	global_load_dwordx4 v[0:3], v[0:1], off
	v_mul_lo_u32 v14, v9, s26
	v_mul_lo_u32 v15, v8, s27
	v_mad_u64_u32 v[8:9], s[0:1], v8, s26, 0
	v_add3_u32 v9, v9, v15, v14
	v_mad_u64_u32 v[14:15], s[0:1], v6, s38, v[10:11]
	v_mul_lo_u32 v10, v6, s39
	v_mul_lo_u32 v11, v7, s38
	v_sub_co_u32_e32 v16, vcc, v4, v8
	v_subb_co_u32_e32 v17, vcc, v5, v9, vcc
	v_add3_u32 v15, v11, v15, v10
	v_mad_u64_u32 v[10:11], s[0:1], v14, s36, v[16:17]
	v_mul_lo_u32 v14, v14, s37
	v_mul_lo_u32 v15, v15, s36
	s_and_b32 s0, s22, -3
	s_cmp_lg_u32 s0, 0
	v_add3_u32 v11, v15, v11, v14
	s_cbranch_scc0 .LBB5_25
; %bb.11:
	s_cmp_lt_i32 s22, 3
	s_mov_b64 s[0:1], -1
	s_cbranch_scc1 .LBB5_34
; %bb.12:
	s_cmp_lt_i32 s22, 4
	s_cbranch_scc1 .LBB5_28
; %bb.13:
	s_cmp_eq_u32 s22, 4
	s_cbranch_scc0 .LBB5_27
; %bb.14:
	s_waitcnt vmcnt(0)
	v_cmp_lt_i64_e32 vcc, v[0:1], v[2:3]
	s_and_saveexec_b64 s[0:1], vcc
	s_cbranch_execz .LBB5_26
; %bb.15:
	v_lshlrev_b64 v[18:19], 2, v[10:11]
	v_mov_b32_e32 v15, s11
	v_add_co_u32_e32 v14, vcc, s10, v18
	v_addc_co_u32_e32 v15, vcc, v15, v19, vcc
	v_mov_b32_e32 v20, s13
	v_add_co_u32_e32 v18, vcc, s12, v18
	v_addc_co_u32_e32 v19, vcc, v20, v19, vcc
	global_load_dword v26, v[14:15], off
	global_load_dword v27, v[18:19], off
	v_mul_lo_u32 v24, s31, v6
	v_mul_lo_u32 v25, s30, v7
	v_mad_u64_u32 v[18:19], s[2:3], s30, v6, 0
	v_lshlrev_b64 v[20:21], 2, v[0:1]
	v_lshlrev_b64 v[22:23], 2, v[4:5]
	v_add3_u32 v19, v19, v25, v24
	v_lshlrev_b64 v[24:25], 2, v[18:19]
	s_load_dword s23, s[4:5], 0x48
	v_add_co_u32_e32 v24, vcc, v24, v20
	v_addc_co_u32_e32 v25, vcc, v25, v21, vcc
	v_mul_lo_u32 v29, v18, s29
	v_mad_u64_u32 v[16:17], s[4:5], v18, s28, v[16:17]
	v_mul_lo_u32 v30, v19, s28
	v_mul_lo_u32 v25, s28, v25
	v_mad_u64_u32 v[18:19], s[4:5], s28, v24, v[22:23]
	v_mul_lo_u32 v22, s29, v24
	v_lshlrev_b64 v[20:21], 2, v[8:9]
	v_mov_b32_e32 v28, s15
	v_sub_co_u32_e32 v18, vcc, v18, v20
	v_add3_u32 v19, v22, v19, v25
	v_subb_co_u32_e32 v19, vcc, v19, v21, vcc
	v_add_co_u32_e32 v18, vcc, s14, v18
	v_mov_b32_e32 v21, v1
	s_lshl_b64 s[2:3], s[28:29], 2
	s_mov_b64 s[4:5], 0
	s_mov_b64 s[6:7], 0
	v_add3_u32 v17, v30, v17, v29
	v_addc_co_u32_e32 v19, vcc, v28, v19, vcc
	v_mov_b32_e32 v20, v0
	s_waitcnt vmcnt(0)
	v_mul_f32_e32 v28, v26, v27
	s_branch .LBB5_18
.LBB5_16:                               ;   in Loop: Header=BB5_18 Depth=1
	s_or_b64 exec, exec, s[18:19]
	global_load_dword v24, v[14:15], off
	s_waitcnt vmcnt(0)
	v_mul_f32_e32 v24, v29, v24
.LBB5_17:                               ;   in Loop: Header=BB5_18 Depth=1
	s_or_b64 exec, exec, s[16:17]
	v_mov_b32_e32 v25, s9
	v_add_co_u32_e32 v22, vcc, s8, v22
	v_addc_co_u32_e32 v23, vcc, v25, v23, vcc
	v_add_co_u32_e32 v20, vcc, 1, v20
	v_addc_co_u32_e32 v21, vcc, 0, v21, vcc
	s_add_u32 s6, s6, 1
	v_cmp_ge_i64_e32 vcc, v[20:21], v[2:3]
	s_addc_u32 s7, s7, 0
	s_or_b64 s[4:5], vcc, s[4:5]
	global_store_dword v[22:23], v24, off
	s_andn2_b64 exec, exec, s[4:5]
	s_cbranch_execz .LBB5_26
.LBB5_18:                               ; =>This Loop Header: Depth=1
                                        ;     Child Loop BB5_23 Depth 2
	v_mad_u64_u32 v[22:23], s[16:17], v20, s28, v[16:17]
	v_mul_lo_u32 v24, v20, s29
	v_mul_lo_u32 v25, v21, s28
	v_add3_u32 v23, v25, v23, v24
	v_lshlrev_b64 v[22:23], 2, v[22:23]
	v_mov_b32_e32 v25, s15
	v_add_co_u32_e32 v24, vcc, s14, v22
	v_addc_co_u32_e32 v25, vcc, v25, v23, vcc
	global_load_dword v25, v[24:25], off
                                        ; implicit-def: $vgpr24
	s_waitcnt vmcnt(0)
	v_cmp_lg_f32_e32 vcc, 0, v25
	s_and_saveexec_b64 s[16:17], vcc
	s_xor_b64 s[16:17], exec, s[16:17]
	s_cbranch_execz .LBB5_20
; %bb.19:                               ;   in Loop: Header=BB5_18 Depth=1
	v_div_scale_f32 v24, s[18:19], v25, v25, v28
	v_div_scale_f32 v26, vcc, v28, v25, v28
	v_rcp_f32_e32 v27, v24
	v_fma_f32 v29, -v24, v27, 1.0
	v_fmac_f32_e32 v27, v29, v27
	v_mul_f32_e32 v29, v26, v27
	v_fma_f32 v30, -v24, v29, v26
	v_fmac_f32_e32 v29, v30, v27
	v_fma_f32 v24, -v24, v29, v26
	v_div_fmas_f32 v24, v24, v27, v29
	v_div_fixup_f32 v24, v24, v25, v28
.LBB5_20:                               ;   in Loop: Header=BB5_18 Depth=1
	s_andn2_saveexec_b64 s[16:17], s[16:17]
	s_cbranch_execz .LBB5_17
; %bb.21:                               ;   in Loop: Header=BB5_18 Depth=1
	v_mov_b32_e32 v25, v19
	v_mov_b32_e32 v27, v1
	s_mov_b64 s[18:19], 0
	s_waitcnt lgkmcnt(0)
	v_mov_b32_e32 v29, s23
	s_mov_b64 s[20:21], s[6:7]
	v_mov_b32_e32 v24, v18
	v_mov_b32_e32 v26, v0
	s_branch .LBB5_23
.LBB5_22:                               ;   in Loop: Header=BB5_23 Depth=2
	v_add_co_u32_e32 v26, vcc, 1, v26
	v_addc_co_u32_e32 v27, vcc, 0, v27, vcc
	s_add_u32 s20, s20, -1
	v_cmp_ge_i64_e32 vcc, v[26:27], v[2:3]
	s_addc_u32 s21, s21, -1
	v_mov_b32_e32 v30, s3
	s_or_b64 s[18:19], vcc, s[18:19]
	v_add_co_u32_e32 v24, vcc, s2, v24
	v_addc_co_u32_e32 v25, vcc, v25, v30, vcc
	s_andn2_b64 exec, exec, s[18:19]
	s_cbranch_execz .LBB5_16
.LBB5_23:                               ;   Parent Loop BB5_18 Depth=1
                                        ; =>  This Inner Loop Header: Depth=2
	s_cmp_eq_u64 s[20:21], 0
	s_cbranch_scc1 .LBB5_22
; %bb.24:                               ;   in Loop: Header=BB5_23 Depth=2
	global_load_dword v30, v[24:25], off
	s_waitcnt vmcnt(0)
	v_mul_f32_e32 v29, v29, v30
	s_branch .LBB5_22
.LBB5_25:
	s_cbranch_execnz .LBB5_41
	s_branch .LBB5_54
.LBB5_26:
	s_or_b64 exec, exec, s[0:1]
.LBB5_27:
	s_mov_b64 s[0:1], 0
.LBB5_28:
	s_andn2_b64 vcc, exec, s[0:1]
	s_cbranch_vccnz .LBB5_33
; %bb.29:
	s_waitcnt vmcnt(0)
	v_cmp_lt_i64_e32 vcc, v[0:1], v[2:3]
	s_and_saveexec_b64 s[2:3], vcc
	s_cbranch_execz .LBB5_32
; %bb.30:
	v_lshlrev_b64 v[14:15], 2, v[10:11]
	v_mov_b32_e32 v16, s11
	v_add_co_u32_e32 v14, vcc, s10, v14
	v_addc_co_u32_e32 v15, vcc, v16, v15, vcc
	global_load_dword v18, v[14:15], off
	v_mul_lo_u32 v16, v7, s30
	v_mul_lo_u32 v17, v6, s31
	v_mad_u64_u32 v[14:15], s[0:1], v6, s30, 0
	s_lshl_b64 s[4:5], s[28:29], 2
	s_mov_b64 s[6:7], 0
	v_add3_u32 v15, v15, v17, v16
	v_lshlrev_b64 v[14:15], 2, v[14:15]
	v_lshlrev_b64 v[16:17], 2, v[0:1]
	v_add_co_u32_e32 v16, vcc, v14, v16
	v_addc_co_u32_e32 v17, vcc, v15, v17, vcc
	v_lshlrev_b64 v[14:15], 2, v[4:5]
	v_mul_lo_u32 v17, s28, v17
	v_mul_lo_u32 v19, s29, v16
	v_mad_u64_u32 v[14:15], s[0:1], s28, v16, v[14:15]
	v_add3_u32 v17, v19, v15, v17
	v_lshlrev_b64 v[15:16], 2, v[8:9]
	v_mov_b32_e32 v19, s5
	v_sub_co_u32_e32 v14, vcc, v14, v15
	v_subb_co_u32_e32 v15, vcc, v17, v16, vcc
	v_mov_b32_e32 v16, s9
	v_add_co_u32_e32 v14, vcc, s8, v14
	v_addc_co_u32_e32 v15, vcc, v16, v15, vcc
	v_mov_b32_e32 v17, v1
	v_mov_b32_e32 v16, v0
	s_waitcnt vmcnt(0)
.LBB5_31:                               ; =>This Inner Loop Header: Depth=1
	v_add_co_u32_e32 v16, vcc, 1, v16
	v_addc_co_u32_e32 v17, vcc, 0, v17, vcc
	v_cmp_ge_i64_e64 s[0:1], v[16:17], v[2:3]
	global_store_dword v[14:15], v18, off
	v_add_co_u32_e32 v14, vcc, s4, v14
	s_or_b64 s[6:7], s[0:1], s[6:7]
	v_addc_co_u32_e32 v15, vcc, v15, v19, vcc
	s_andn2_b64 exec, exec, s[6:7]
	s_cbranch_execnz .LBB5_31
.LBB5_32:
	s_or_b64 exec, exec, s[2:3]
.LBB5_33:
	s_mov_b64 s[0:1], 0
.LBB5_34:
	s_andn2_b64 vcc, exec, s[0:1]
	s_cbranch_vccnz .LBB5_40
; %bb.35:
	s_cmp_lg_u32 s22, 1
	s_cbranch_scc1 .LBB5_40
; %bb.36:
	s_waitcnt vmcnt(0)
	v_cmp_lt_i64_e32 vcc, v[0:1], v[2:3]
	s_and_saveexec_b64 s[2:3], vcc
	s_cbranch_execz .LBB5_39
; %bb.37:
	v_lshlrev_b64 v[14:15], 2, v[10:11]
	v_mov_b32_e32 v16, s11
	v_add_co_u32_e32 v14, vcc, s10, v14
	v_addc_co_u32_e32 v15, vcc, v16, v15, vcc
	global_load_dword v20, v[14:15], off
	v_xor_b32_e32 v15, v12, v13
	v_ffbh_i32_e32 v14, v13
	v_ashrrev_i32_e32 v15, 31, v15
	v_add_u32_e32 v14, -1, v14
	v_add_u32_e32 v15, 32, v15
	v_min_u32_e32 v14, v14, v15
	v_lshlrev_b64 v[12:13], v14, v[12:13]
	v_mul_lo_u32 v23, v7, s30
	v_min_u32_e32 v12, 1, v12
	v_or_b32_e32 v12, v13, v12
	v_cvt_f32_i32_e32 v12, v12
	v_sub_u32_e32 v13, 32, v14
	v_mul_lo_u32 v24, v6, s31
	v_lshlrev_b64 v[14:15], 2, v[0:1]
	v_ldexp_f32 v21, v12, v13
	v_mad_u64_u32 v[12:13], s[0:1], v6, s30, 0
	v_lshlrev_b64 v[16:17], 2, v[4:5]
	v_lshlrev_b64 v[18:19], 2, v[8:9]
	v_add3_u32 v13, v13, v24, v23
	v_lshlrev_b64 v[12:13], 2, v[12:13]
	s_lshl_b64 s[4:5], s[28:29], 2
	s_mov_b64 s[6:7], 0
	s_waitcnt vmcnt(0)
	v_div_scale_f32 v22, s[0:1], v21, v21, v20
	v_div_scale_f32 v25, vcc, v20, v21, v20
	v_add_co_u32_e64 v12, s[0:1], v12, v14
	v_addc_co_u32_e64 v13, s[0:1], v13, v15, s[0:1]
	v_mul_lo_u32 v14, s28, v13
	v_rcp_f32_e32 v23, v22
	v_fma_f32 v13, -v22, v23, 1.0
	v_fmac_f32_e32 v23, v13, v23
	v_mul_f32_e32 v13, v25, v23
	v_fma_f32 v15, -v22, v13, v25
	v_fmac_f32_e32 v13, v15, v23
	v_fma_f32 v15, -v22, v13, v25
	v_div_fmas_f32 v15, v15, v23, v13
	v_mul_lo_u32 v22, s29, v12
	v_mad_u64_u32 v[12:13], s[0:1], s28, v12, v[16:17]
	v_mov_b32_e32 v16, s9
	v_add3_u32 v13, v22, v13, v14
	v_sub_co_u32_e32 v12, vcc, v12, v18
	v_subb_co_u32_e32 v13, vcc, v13, v19, vcc
	v_add_co_u32_e32 v12, vcc, s8, v12
	v_addc_co_u32_e32 v13, vcc, v16, v13, vcc
	v_div_fixup_f32 v16, v15, v21, v20
	v_mov_b32_e32 v15, v1
	v_mov_b32_e32 v14, v0
.LBB5_38:                               ; =>This Inner Loop Header: Depth=1
	v_add_co_u32_e32 v14, vcc, 1, v14
	v_addc_co_u32_e32 v15, vcc, 0, v15, vcc
	v_cmp_ge_i64_e64 s[0:1], v[14:15], v[2:3]
	global_store_dword v[12:13], v16, off
	v_mov_b32_e32 v17, s5
	v_add_co_u32_e32 v12, vcc, s4, v12
	s_or_b64 s[6:7], s[0:1], s[6:7]
	v_addc_co_u32_e32 v13, vcc, v13, v17, vcc
	s_andn2_b64 exec, exec, s[6:7]
	s_cbranch_execnz .LBB5_38
.LBB5_39:
	s_or_b64 exec, exec, s[2:3]
.LBB5_40:
	s_branch .LBB5_54
.LBB5_41:
	s_waitcnt vmcnt(0)
	v_cmp_ge_i64_e32 vcc, v[0:1], v[2:3]
	v_cmp_lt_i64_e64 s[0:1], v[0:1], v[2:3]
	v_mov_b32_e32 v12, 0
	v_mov_b32_e32 v13, 0
	s_and_saveexec_b64 s[2:3], s[0:1]
	s_cbranch_execz .LBB5_49
; %bb.42:
	v_mad_u64_u32 v[14:15], s[0:1], v6, s30, v[0:1]
	v_mul_lo_u32 v16, v6, s31
	v_mul_lo_u32 v17, v7, s30
	v_lshlrev_b64 v[12:13], 2, v[10:11]
	v_mov_b32_e32 v11, s13
	v_add_co_u32_e64 v10, s[0:1], s12, v12
	v_add3_u32 v15, v17, v15, v16
	v_addc_co_u32_e64 v11, s[0:1], v11, v13, s[0:1]
	v_mul_lo_u32 v19, s29, v14
	v_mul_lo_u32 v20, s28, v15
	v_mad_u64_u32 v[16:17], s[0:1], s28, v14, v[4:5]
	v_mov_b32_e32 v18, s11
	v_add_co_u32_e64 v14, s[0:1], s10, v12
	v_addc_co_u32_e64 v15, s[0:1], v18, v13, s[0:1]
	v_add3_u32 v13, v19, v17, v20
	v_sub_co_u32_e64 v12, s[0:1], v16, v8
	v_subb_co_u32_e64 v13, s[0:1], v13, v9, s[0:1]
	v_lshlrev_b64 v[16:17], 2, v[12:13]
	v_mov_b32_e32 v12, 0
	v_mov_b32_e32 v19, v1
	s_lshl_b64 s[6:7], s[28:29], 2
	s_mov_b64 s[4:5], 0
	v_mov_b32_e32 v13, 0
	v_mov_b32_e32 v20, s15
	;; [unrolled: 1-line block ×3, first 2 shown]
	s_branch .LBB5_44
.LBB5_43:                               ;   in Loop: Header=BB5_44 Depth=1
	s_or_b64 exec, exec, s[10:11]
	v_add_co_u32_e64 v18, s[0:1], 1, v18
	v_addc_co_u32_e64 v19, s[0:1], 0, v19, s[0:1]
	v_cmp_ge_i64_e64 s[0:1], v[18:19], v[2:3]
	v_mov_b32_e32 v21, s7
	s_or_b64 s[4:5], s[0:1], s[4:5]
	v_add_co_u32_e64 v16, s[0:1], s6, v16
	v_addc_co_u32_e64 v17, s[0:1], v17, v21, s[0:1]
	s_andn2_b64 exec, exec, s[4:5]
	s_cbranch_execz .LBB5_48
.LBB5_44:                               ; =>This Inner Loop Header: Depth=1
	v_add_co_u32_e64 v21, s[0:1], s14, v16
	v_addc_co_u32_e64 v22, s[0:1], v20, v17, s[0:1]
	global_load_dword v21, v[21:22], off
	s_waitcnt vmcnt(0)
	v_cmp_u_f32_e64 s[12:13], v21, v21
	v_cmp_o_f32_e64 s[0:1], v21, v21
	s_and_saveexec_b64 s[10:11], s[0:1]
	s_cbranch_execz .LBB5_46
; %bb.45:                               ;   in Loop: Header=BB5_44 Depth=1
	global_load_dword v22, v[10:11], off
	s_andn2_b64 s[12:13], s[12:13], exec
	s_waitcnt vmcnt(0)
	v_cmp_eq_f32_e64 s[0:1], v21, v22
	s_and_b64 s[0:1], s[0:1], exec
	s_or_b64 s[12:13], s[12:13], s[0:1]
.LBB5_46:                               ;   in Loop: Header=BB5_44 Depth=1
	s_or_b64 exec, exec, s[10:11]
	s_and_saveexec_b64 s[10:11], s[12:13]
	s_cbranch_execz .LBB5_43
; %bb.47:                               ;   in Loop: Header=BB5_44 Depth=1
	global_load_dword v23, v[14:15], off
	v_mov_b32_e32 v22, s9
	v_add_co_u32_e64 v21, s[0:1], s8, v16
	v_addc_co_u32_e64 v22, s[0:1], v22, v17, s[0:1]
	v_add_co_u32_e64 v12, s[0:1], 1, v12
	v_addc_co_u32_e64 v13, s[0:1], 0, v13, s[0:1]
	s_waitcnt vmcnt(0)
	global_store_dword v[21:22], v23, off
	s_branch .LBB5_43
.LBB5_48:
	s_or_b64 exec, exec, s[4:5]
.LBB5_49:
	s_or_b64 exec, exec, s[2:3]
	v_cmp_lt_i64_e64 s[0:1], 1, v[12:13]
	s_xor_b64 s[2:3], vcc, -1
	s_and_b64 s[0:1], s[0:1], s[2:3]
	s_and_b64 exec, exec, s[0:1]
	s_cbranch_execz .LBB5_54
; %bb.50:
	v_ffbh_u32_e32 v10, v13
	v_min_u32_e32 v14, 32, v10
	v_lshlrev_b64 v[10:11], v14, v[12:13]
	v_mul_lo_u32 v12, v7, s30
	v_mul_lo_u32 v13, v6, s31
	v_mad_u64_u32 v[6:7], s[0:1], v6, s30, 0
	v_min_u32_e32 v10, 1, v10
	v_or_b32_e32 v10, v11, v10
	v_add3_u32 v7, v7, v13, v12
	v_cvt_f32_u32_e32 v15, v10
	v_lshlrev_b64 v[6:7], 2, v[6:7]
	v_lshlrev_b64 v[10:11], 2, v[0:1]
	;; [unrolled: 1-line block ×3, first 2 shown]
	v_add_co_u32_e32 v6, vcc, v6, v10
	v_addc_co_u32_e32 v7, vcc, v7, v11, vcc
	v_mul_lo_u32 v7, s28, v7
	v_mul_lo_u32 v10, s29, v6
	v_mad_u64_u32 v[4:5], s[0:1], s28, v6, v[4:5]
	v_sub_u32_e32 v6, 32, v14
	v_ldexp_f32 v6, v15, v6
	v_add3_u32 v5, v10, v5, v7
	v_lshlrev_b64 v[7:8], 2, v[8:9]
	s_lshl_b64 s[0:1], s[28:29], 2
	v_sub_co_u32_e32 v4, vcc, v4, v7
	v_subb_co_u32_e32 v5, vcc, v5, v8, vcc
	v_mov_b32_e32 v7, s9
	v_add_co_u32_e32 v4, vcc, s8, v4
	v_addc_co_u32_e32 v5, vcc, v7, v5, vcc
	s_mov_b64 s[2:3], 0
	s_branch .LBB5_52
.LBB5_51:                               ;   in Loop: Header=BB5_52 Depth=1
	s_or_b64 exec, exec, s[4:5]
	v_add_co_u32_e32 v0, vcc, 1, v0
	v_addc_co_u32_e32 v1, vcc, 0, v1, vcc
	v_cmp_ge_i64_e32 vcc, v[0:1], v[2:3]
	v_mov_b32_e32 v7, s1
	s_or_b64 s[2:3], vcc, s[2:3]
	v_add_co_u32_e32 v4, vcc, s0, v4
	v_addc_co_u32_e32 v5, vcc, v5, v7, vcc
	s_andn2_b64 exec, exec, s[2:3]
	s_cbranch_execz .LBB5_54
.LBB5_52:                               ; =>This Inner Loop Header: Depth=1
	global_load_dword v7, v[4:5], off
	s_waitcnt vmcnt(0)
	v_cmp_lt_f32_e32 vcc, 0, v7
	s_and_saveexec_b64 s[4:5], vcc
	s_cbranch_execz .LBB5_51
; %bb.53:                               ;   in Loop: Header=BB5_52 Depth=1
	v_div_scale_f32 v8, s[6:7], v6, v6, v7
	v_div_scale_f32 v9, vcc, v7, v6, v7
	v_rcp_f32_e32 v10, v8
	v_fma_f32 v11, -v8, v10, 1.0
	v_fmac_f32_e32 v10, v11, v10
	v_mul_f32_e32 v11, v9, v10
	v_fma_f32 v12, -v8, v11, v9
	v_fmac_f32_e32 v11, v12, v10
	v_fma_f32 v8, -v8, v11, v9
	v_div_fmas_f32 v8, v8, v10, v11
	v_div_fixup_f32 v7, v8, v6, v7
	global_store_dword v[4:5], v7, off
	s_branch .LBB5_51
.LBB5_54:
	s_endpgm
	.section	.rodata,"a",@progbits
	.p2align	6, 0x0
	.amdhsa_kernel _ZN2at6native12_GLOBAL__N_130segment_reduce_backward_kernelIflEEvNS0_13ReductionTypeEPT_PKS4_S7_S7_PKT0_SA_llS4_lllllll
		.amdhsa_group_segment_fixed_size 0
		.amdhsa_private_segment_fixed_size 0
		.amdhsa_kernarg_size 392
		.amdhsa_user_sgpr_count 6
		.amdhsa_user_sgpr_private_segment_buffer 1
		.amdhsa_user_sgpr_dispatch_ptr 0
		.amdhsa_user_sgpr_queue_ptr 0
		.amdhsa_user_sgpr_kernarg_segment_ptr 1
		.amdhsa_user_sgpr_dispatch_id 0
		.amdhsa_user_sgpr_flat_scratch_init 0
		.amdhsa_user_sgpr_private_segment_size 0
		.amdhsa_uses_dynamic_stack 0
		.amdhsa_system_sgpr_private_segment_wavefront_offset 0
		.amdhsa_system_sgpr_workgroup_id_x 1
		.amdhsa_system_sgpr_workgroup_id_y 0
		.amdhsa_system_sgpr_workgroup_id_z 0
		.amdhsa_system_sgpr_workgroup_info 0
		.amdhsa_system_vgpr_workitem_id 0
		.amdhsa_next_free_vgpr 31
		.amdhsa_next_free_sgpr 44
		.amdhsa_reserve_vcc 1
		.amdhsa_reserve_flat_scratch 0
		.amdhsa_float_round_mode_32 0
		.amdhsa_float_round_mode_16_64 0
		.amdhsa_float_denorm_mode_32 3
		.amdhsa_float_denorm_mode_16_64 3
		.amdhsa_dx10_clamp 1
		.amdhsa_ieee_mode 1
		.amdhsa_fp16_overflow 0
		.amdhsa_exception_fp_ieee_invalid_op 0
		.amdhsa_exception_fp_denorm_src 0
		.amdhsa_exception_fp_ieee_div_zero 0
		.amdhsa_exception_fp_ieee_overflow 0
		.amdhsa_exception_fp_ieee_underflow 0
		.amdhsa_exception_fp_ieee_inexact 0
		.amdhsa_exception_int_div_zero 0
	.end_amdhsa_kernel
	.section	.text._ZN2at6native12_GLOBAL__N_130segment_reduce_backward_kernelIflEEvNS0_13ReductionTypeEPT_PKS4_S7_S7_PKT0_SA_llS4_lllllll,"axG",@progbits,_ZN2at6native12_GLOBAL__N_130segment_reduce_backward_kernelIflEEvNS0_13ReductionTypeEPT_PKS4_S7_S7_PKT0_SA_llS4_lllllll,comdat
.Lfunc_end5:
	.size	_ZN2at6native12_GLOBAL__N_130segment_reduce_backward_kernelIflEEvNS0_13ReductionTypeEPT_PKS4_S7_S7_PKT0_SA_llS4_lllllll, .Lfunc_end5-_ZN2at6native12_GLOBAL__N_130segment_reduce_backward_kernelIflEEvNS0_13ReductionTypeEPT_PKS4_S7_S7_PKT0_SA_llS4_lllllll
                                        ; -- End function
	.set _ZN2at6native12_GLOBAL__N_130segment_reduce_backward_kernelIflEEvNS0_13ReductionTypeEPT_PKS4_S7_S7_PKT0_SA_llS4_lllllll.num_vgpr, 31
	.set _ZN2at6native12_GLOBAL__N_130segment_reduce_backward_kernelIflEEvNS0_13ReductionTypeEPT_PKS4_S7_S7_PKT0_SA_llS4_lllllll.num_agpr, 0
	.set _ZN2at6native12_GLOBAL__N_130segment_reduce_backward_kernelIflEEvNS0_13ReductionTypeEPT_PKS4_S7_S7_PKT0_SA_llS4_lllllll.numbered_sgpr, 44
	.set _ZN2at6native12_GLOBAL__N_130segment_reduce_backward_kernelIflEEvNS0_13ReductionTypeEPT_PKS4_S7_S7_PKT0_SA_llS4_lllllll.num_named_barrier, 0
	.set _ZN2at6native12_GLOBAL__N_130segment_reduce_backward_kernelIflEEvNS0_13ReductionTypeEPT_PKS4_S7_S7_PKT0_SA_llS4_lllllll.private_seg_size, 0
	.set _ZN2at6native12_GLOBAL__N_130segment_reduce_backward_kernelIflEEvNS0_13ReductionTypeEPT_PKS4_S7_S7_PKT0_SA_llS4_lllllll.uses_vcc, 1
	.set _ZN2at6native12_GLOBAL__N_130segment_reduce_backward_kernelIflEEvNS0_13ReductionTypeEPT_PKS4_S7_S7_PKT0_SA_llS4_lllllll.uses_flat_scratch, 0
	.set _ZN2at6native12_GLOBAL__N_130segment_reduce_backward_kernelIflEEvNS0_13ReductionTypeEPT_PKS4_S7_S7_PKT0_SA_llS4_lllllll.has_dyn_sized_stack, 0
	.set _ZN2at6native12_GLOBAL__N_130segment_reduce_backward_kernelIflEEvNS0_13ReductionTypeEPT_PKS4_S7_S7_PKT0_SA_llS4_lllllll.has_recursion, 0
	.set _ZN2at6native12_GLOBAL__N_130segment_reduce_backward_kernelIflEEvNS0_13ReductionTypeEPT_PKS4_S7_S7_PKT0_SA_llS4_lllllll.has_indirect_call, 0
	.section	.AMDGPU.csdata,"",@progbits
; Kernel info:
; codeLenInByte = 4048
; TotalNumSgprs: 48
; NumVgprs: 31
; ScratchSize: 0
; MemoryBound: 0
; FloatMode: 240
; IeeeMode: 1
; LDSByteSize: 0 bytes/workgroup (compile time only)
; SGPRBlocks: 5
; VGPRBlocks: 7
; NumSGPRsForWavesPerEU: 48
; NumVGPRsForWavesPerEU: 31
; Occupancy: 8
; WaveLimiterHint : 1
; COMPUTE_PGM_RSRC2:SCRATCH_EN: 0
; COMPUTE_PGM_RSRC2:USER_SGPR: 6
; COMPUTE_PGM_RSRC2:TRAP_HANDLER: 0
; COMPUTE_PGM_RSRC2:TGID_X_EN: 1
; COMPUTE_PGM_RSRC2:TGID_Y_EN: 0
; COMPUTE_PGM_RSRC2:TGID_Z_EN: 0
; COMPUTE_PGM_RSRC2:TIDIG_COMP_CNT: 0
	.section	.text._ZN2at6native12_GLOBAL__N_130segment_reduce_backward_kernelIN3c108BFloat16ElEEvNS0_13ReductionTypeEPT_PKS6_S9_S9_PKT0_SC_llS6_lllllll,"axG",@progbits,_ZN2at6native12_GLOBAL__N_130segment_reduce_backward_kernelIN3c108BFloat16ElEEvNS0_13ReductionTypeEPT_PKS6_S9_S9_PKT0_SC_llS6_lllllll,comdat
	.globl	_ZN2at6native12_GLOBAL__N_130segment_reduce_backward_kernelIN3c108BFloat16ElEEvNS0_13ReductionTypeEPT_PKS6_S9_S9_PKT0_SC_llS6_lllllll ; -- Begin function _ZN2at6native12_GLOBAL__N_130segment_reduce_backward_kernelIN3c108BFloat16ElEEvNS0_13ReductionTypeEPT_PKS6_S9_S9_PKT0_SC_llS6_lllllll
	.p2align	8
	.type	_ZN2at6native12_GLOBAL__N_130segment_reduce_backward_kernelIN3c108BFloat16ElEEvNS0_13ReductionTypeEPT_PKS6_S9_S9_PKT0_SC_llS6_lllllll,@function
_ZN2at6native12_GLOBAL__N_130segment_reduce_backward_kernelIN3c108BFloat16ElEEvNS0_13ReductionTypeEPT_PKS6_S9_S9_PKT0_SC_llS6_lllllll: ; @_ZN2at6native12_GLOBAL__N_130segment_reduce_backward_kernelIN3c108BFloat16ElEEvNS0_13ReductionTypeEPT_PKS6_S9_S9_PKT0_SC_llS6_lllllll
; %bb.0:
	s_load_dword s0, s[4:5], 0x94
	s_load_dwordx16 s[8:23], s[4:5], 0x8
	s_load_dwordx8 s[24:31], s[4:5], 0x50
	v_mov_b32_e32 v2, 0
	v_mov_b32_e32 v1, v2
	s_waitcnt lgkmcnt(0)
	s_and_b32 s0, s0, 0xffff
	v_mov_b32_e32 v3, s6
	v_mad_u64_u32 v[4:5], s[0:1], s0, v3, v[0:1]
	s_mul_i32 s0, s24, s21
	s_mul_hi_u32 s1, s24, s20
	s_add_i32 s0, s1, s0
	s_mul_i32 s1, s25, s20
	s_mul_i32 s2, s24, s20
	s_add_i32 s0, s0, s1
	s_mul_i32 s1, s2, s27
	s_mul_hi_u32 s3, s2, s26
	s_add_i32 s1, s3, s1
	s_mul_i32 s0, s0, s26
	s_add_i32 s1, s1, s0
	s_mul_i32 s0, s2, s26
	v_cmp_gt_i64_e32 vcc, s[0:1], v[4:5]
	s_and_saveexec_b64 s[0:1], vcc
	s_cbranch_execz .LBB6_75
; %bb.1:
	v_or_b32_e32 v3, s27, v5
	v_cmp_ne_u64_e32 vcc, 0, v[2:3]
                                        ; implicit-def: $vgpr6_vgpr7
	s_and_saveexec_b64 s[0:1], vcc
	s_xor_b64 s[2:3], exec, s[0:1]
	s_cbranch_execz .LBB6_3
; %bb.2:
	s_ashr_i32 s6, s27, 31
	s_add_u32 s0, s26, s6
	s_mov_b32 s7, s6
	s_addc_u32 s1, s27, s6
	s_xor_b64 s[24:25], s[0:1], s[6:7]
	v_cvt_f32_u32_e32 v0, s24
	v_cvt_f32_u32_e32 v1, s25
	s_sub_u32 s7, 0, s24
	s_subb_u32 s33, 0, s25
	v_ashrrev_i32_e32 v6, 31, v5
	v_madmk_f32 v0, v1, 0x4f800000, v0
	v_rcp_f32_e32 v0, v0
	v_mul_f32_e32 v0, 0x5f7ffffc, v0
	v_mul_f32_e32 v1, 0x2f800000, v0
	v_trunc_f32_e32 v1, v1
	v_madmk_f32 v0, v1, 0xcf800000, v0
	v_cvt_u32_f32_e32 v1, v1
	v_cvt_u32_f32_e32 v0, v0
	v_readfirstlane_b32 s34, v1
	v_readfirstlane_b32 s0, v0
	s_mul_i32 s1, s7, s34
	s_mul_hi_u32 s36, s7, s0
	s_mul_i32 s35, s33, s0
	s_add_i32 s1, s36, s1
	s_add_i32 s1, s1, s35
	s_mul_i32 s37, s7, s0
	s_mul_i32 s36, s0, s1
	s_mul_hi_u32 s38, s0, s37
	s_mul_hi_u32 s35, s0, s1
	s_add_u32 s36, s38, s36
	s_addc_u32 s35, 0, s35
	s_mul_hi_u32 s39, s34, s37
	s_mul_i32 s37, s34, s37
	s_add_u32 s36, s36, s37
	s_mul_hi_u32 s38, s34, s1
	s_addc_u32 s35, s35, s39
	s_addc_u32 s36, s38, 0
	s_mul_i32 s1, s34, s1
	s_add_u32 s1, s35, s1
	s_addc_u32 s35, 0, s36
	s_add_u32 s36, s0, s1
	s_cselect_b64 s[0:1], -1, 0
	s_cmp_lg_u64 s[0:1], 0
	s_addc_u32 s34, s34, s35
	s_mul_i32 s0, s7, s34
	s_mul_hi_u32 s1, s7, s36
	s_add_i32 s0, s1, s0
	s_mul_i32 s33, s33, s36
	s_add_i32 s0, s0, s33
	s_mul_i32 s7, s7, s36
	s_mul_hi_u32 s33, s34, s7
	s_mul_i32 s35, s34, s7
	s_mul_i32 s38, s36, s0
	s_mul_hi_u32 s7, s36, s7
	s_mul_hi_u32 s37, s36, s0
	s_add_u32 s7, s7, s38
	s_addc_u32 s37, 0, s37
	s_add_u32 s7, s7, s35
	s_mul_hi_u32 s1, s34, s0
	s_addc_u32 s7, s37, s33
	s_addc_u32 s1, s1, 0
	s_mul_i32 s0, s34, s0
	s_add_u32 s0, s7, s0
	s_addc_u32 s7, 0, s1
	s_add_u32 s33, s36, s0
	s_cselect_b64 s[0:1], -1, 0
	s_cmp_lg_u64 s[0:1], 0
	v_add_co_u32_e32 v0, vcc, v4, v6
	s_addc_u32 s7, s34, s7
	v_xor_b32_e32 v7, v0, v6
	v_mad_u64_u32 v[0:1], s[0:1], v7, s7, 0
	v_mul_hi_u32 v3, v7, s33
	v_addc_co_u32_e32 v2, vcc, v5, v6, vcc
	v_xor_b32_e32 v8, v2, v6
	v_add_co_u32_e32 v9, vcc, v3, v0
	v_addc_co_u32_e32 v10, vcc, 0, v1, vcc
	v_mad_u64_u32 v[0:1], s[0:1], v8, s33, 0
	v_mad_u64_u32 v[2:3], s[0:1], v8, s7, 0
	v_add_co_u32_e32 v0, vcc, v9, v0
	v_addc_co_u32_e32 v0, vcc, v10, v1, vcc
	v_addc_co_u32_e32 v1, vcc, 0, v3, vcc
	v_add_co_u32_e32 v2, vcc, v0, v2
	v_addc_co_u32_e32 v3, vcc, 0, v1, vcc
	v_mul_lo_u32 v9, s25, v2
	v_mul_lo_u32 v10, s24, v3
	v_mad_u64_u32 v[0:1], s[0:1], s24, v2, 0
	v_add3_u32 v1, v1, v10, v9
	v_sub_u32_e32 v9, v8, v1
	v_mov_b32_e32 v10, s25
	v_sub_co_u32_e32 v0, vcc, v7, v0
	v_subb_co_u32_e64 v7, s[0:1], v9, v10, vcc
	v_subrev_co_u32_e64 v9, s[0:1], s24, v0
	v_subbrev_co_u32_e64 v7, s[0:1], 0, v7, s[0:1]
	v_cmp_le_u32_e64 s[0:1], s25, v7
	v_cndmask_b32_e64 v10, 0, -1, s[0:1]
	v_cmp_le_u32_e64 s[0:1], s24, v9
	v_cndmask_b32_e64 v9, 0, -1, s[0:1]
	v_cmp_eq_u32_e64 s[0:1], s25, v7
	v_cndmask_b32_e64 v7, v10, v9, s[0:1]
	v_add_co_u32_e64 v9, s[0:1], 2, v2
	v_subb_co_u32_e32 v1, vcc, v8, v1, vcc
	v_addc_co_u32_e64 v10, s[0:1], 0, v3, s[0:1]
	v_cmp_le_u32_e32 vcc, s25, v1
	v_add_co_u32_e64 v11, s[0:1], 1, v2
	v_cndmask_b32_e64 v8, 0, -1, vcc
	v_cmp_le_u32_e32 vcc, s24, v0
	v_addc_co_u32_e64 v12, s[0:1], 0, v3, s[0:1]
	v_cndmask_b32_e64 v0, 0, -1, vcc
	v_cmp_eq_u32_e32 vcc, s25, v1
	v_cmp_ne_u32_e64 s[0:1], 0, v7
	v_cndmask_b32_e32 v0, v8, v0, vcc
	v_cmp_ne_u32_e32 vcc, 0, v0
	v_cndmask_b32_e64 v1, v11, v9, s[0:1]
	v_cndmask_b32_e64 v7, v12, v10, s[0:1]
	v_cndmask_b32_e32 v1, v2, v1, vcc
	v_xor_b32_e32 v2, s6, v6
	v_cndmask_b32_e32 v0, v3, v7, vcc
	v_xor_b32_e32 v1, v1, v2
	v_xor_b32_e32 v0, v0, v2
	v_sub_co_u32_e32 v6, vcc, v1, v2
	v_subb_co_u32_e32 v7, vcc, v0, v2, vcc
.LBB6_3:
	s_andn2_saveexec_b64 s[0:1], s[2:3]
	s_cbranch_execz .LBB6_5
; %bb.4:
	v_cvt_f32_u32_e32 v0, s26
	s_sub_i32 s2, 0, s26
	v_mov_b32_e32 v7, 0
	v_rcp_iflag_f32_e32 v0, v0
	v_mul_f32_e32 v0, 0x4f7ffffe, v0
	v_cvt_u32_f32_e32 v0, v0
	v_mul_lo_u32 v1, s2, v0
	v_mul_hi_u32 v1, v0, v1
	v_add_u32_e32 v0, v0, v1
	v_mul_hi_u32 v0, v4, v0
	v_mul_lo_u32 v1, v0, s26
	v_add_u32_e32 v2, 1, v0
	v_sub_u32_e32 v1, v4, v1
	v_subrev_u32_e32 v3, s26, v1
	v_cmp_le_u32_e32 vcc, s26, v1
	v_cndmask_b32_e32 v1, v1, v3, vcc
	v_cndmask_b32_e32 v0, v0, v2, vcc
	v_add_u32_e32 v2, 1, v0
	v_cmp_le_u32_e32 vcc, s26, v1
	v_cndmask_b32_e32 v6, v0, v2, vcc
.LBB6_5:
	s_or_b64 exec, exec, s[0:1]
	v_or_b32_e32 v1, s21, v7
	v_mov_b32_e32 v0, 0
	v_cmp_ne_u64_e32 vcc, 0, v[0:1]
                                        ; implicit-def: $vgpr8_vgpr9
	s_and_saveexec_b64 s[0:1], vcc
	s_xor_b64 s[2:3], exec, s[0:1]
	s_cbranch_execz .LBB6_7
; %bb.6:
	s_ashr_i32 s6, s21, 31
	s_add_u32 s0, s20, s6
	s_mov_b32 s7, s6
	s_addc_u32 s1, s21, s6
	s_xor_b64 s[24:25], s[0:1], s[6:7]
	v_cvt_f32_u32_e32 v0, s24
	v_cvt_f32_u32_e32 v1, s25
	s_sub_u32 s7, 0, s24
	s_subb_u32 s33, 0, s25
	v_ashrrev_i32_e32 v8, 31, v7
	v_madmk_f32 v0, v1, 0x4f800000, v0
	v_rcp_f32_e32 v0, v0
	v_mul_f32_e32 v0, 0x5f7ffffc, v0
	v_mul_f32_e32 v1, 0x2f800000, v0
	v_trunc_f32_e32 v1, v1
	v_madmk_f32 v0, v1, 0xcf800000, v0
	v_cvt_u32_f32_e32 v1, v1
	v_cvt_u32_f32_e32 v0, v0
	v_readfirstlane_b32 s34, v1
	v_readfirstlane_b32 s0, v0
	s_mul_i32 s1, s7, s34
	s_mul_hi_u32 s36, s7, s0
	s_mul_i32 s35, s33, s0
	s_add_i32 s1, s36, s1
	s_add_i32 s1, s1, s35
	s_mul_i32 s37, s7, s0
	s_mul_i32 s36, s0, s1
	s_mul_hi_u32 s38, s0, s37
	s_mul_hi_u32 s35, s0, s1
	s_add_u32 s36, s38, s36
	s_addc_u32 s35, 0, s35
	s_mul_hi_u32 s39, s34, s37
	s_mul_i32 s37, s34, s37
	s_add_u32 s36, s36, s37
	s_mul_hi_u32 s38, s34, s1
	s_addc_u32 s35, s35, s39
	s_addc_u32 s36, s38, 0
	s_mul_i32 s1, s34, s1
	s_add_u32 s1, s35, s1
	s_addc_u32 s35, 0, s36
	s_add_u32 s36, s0, s1
	s_cselect_b64 s[0:1], -1, 0
	s_cmp_lg_u64 s[0:1], 0
	s_addc_u32 s34, s34, s35
	s_mul_i32 s0, s7, s34
	s_mul_hi_u32 s1, s7, s36
	s_add_i32 s0, s1, s0
	s_mul_i32 s33, s33, s36
	s_add_i32 s0, s0, s33
	s_mul_i32 s7, s7, s36
	s_mul_hi_u32 s33, s34, s7
	s_mul_i32 s35, s34, s7
	s_mul_i32 s38, s36, s0
	s_mul_hi_u32 s7, s36, s7
	s_mul_hi_u32 s37, s36, s0
	s_add_u32 s7, s7, s38
	s_addc_u32 s37, 0, s37
	s_add_u32 s7, s7, s35
	s_mul_hi_u32 s1, s34, s0
	s_addc_u32 s7, s37, s33
	s_addc_u32 s1, s1, 0
	s_mul_i32 s0, s34, s0
	s_add_u32 s0, s7, s0
	s_addc_u32 s7, 0, s1
	s_add_u32 s33, s36, s0
	s_cselect_b64 s[0:1], -1, 0
	s_cmp_lg_u64 s[0:1], 0
	v_add_co_u32_e32 v0, vcc, v6, v8
	s_addc_u32 s7, s34, s7
	v_xor_b32_e32 v9, v0, v8
	v_mad_u64_u32 v[0:1], s[0:1], v9, s7, 0
	v_mul_hi_u32 v3, v9, s33
	v_addc_co_u32_e32 v2, vcc, v7, v8, vcc
	v_xor_b32_e32 v10, v2, v8
	v_add_co_u32_e32 v11, vcc, v3, v0
	v_addc_co_u32_e32 v12, vcc, 0, v1, vcc
	v_mad_u64_u32 v[0:1], s[0:1], v10, s33, 0
	v_mad_u64_u32 v[2:3], s[0:1], v10, s7, 0
	v_add_co_u32_e32 v0, vcc, v11, v0
	v_addc_co_u32_e32 v0, vcc, v12, v1, vcc
	v_addc_co_u32_e32 v1, vcc, 0, v3, vcc
	v_add_co_u32_e32 v2, vcc, v0, v2
	v_addc_co_u32_e32 v3, vcc, 0, v1, vcc
	v_mul_lo_u32 v11, s25, v2
	v_mul_lo_u32 v12, s24, v3
	v_mad_u64_u32 v[0:1], s[0:1], s24, v2, 0
	v_add3_u32 v1, v1, v12, v11
	v_sub_u32_e32 v11, v10, v1
	v_mov_b32_e32 v12, s25
	v_sub_co_u32_e32 v0, vcc, v9, v0
	v_subb_co_u32_e64 v9, s[0:1], v11, v12, vcc
	v_subrev_co_u32_e64 v11, s[0:1], s24, v0
	v_subbrev_co_u32_e64 v9, s[0:1], 0, v9, s[0:1]
	v_cmp_le_u32_e64 s[0:1], s25, v9
	v_cndmask_b32_e64 v12, 0, -1, s[0:1]
	v_cmp_le_u32_e64 s[0:1], s24, v11
	v_cndmask_b32_e64 v11, 0, -1, s[0:1]
	v_cmp_eq_u32_e64 s[0:1], s25, v9
	v_cndmask_b32_e64 v9, v12, v11, s[0:1]
	v_add_co_u32_e64 v11, s[0:1], 2, v2
	v_subb_co_u32_e32 v1, vcc, v10, v1, vcc
	v_addc_co_u32_e64 v12, s[0:1], 0, v3, s[0:1]
	v_cmp_le_u32_e32 vcc, s25, v1
	v_add_co_u32_e64 v13, s[0:1], 1, v2
	v_cndmask_b32_e64 v10, 0, -1, vcc
	v_cmp_le_u32_e32 vcc, s24, v0
	v_addc_co_u32_e64 v14, s[0:1], 0, v3, s[0:1]
	v_cndmask_b32_e64 v0, 0, -1, vcc
	v_cmp_eq_u32_e32 vcc, s25, v1
	v_cmp_ne_u32_e64 s[0:1], 0, v9
	v_cndmask_b32_e32 v0, v10, v0, vcc
	v_cmp_ne_u32_e32 vcc, 0, v0
	v_cndmask_b32_e64 v1, v13, v11, s[0:1]
	v_cndmask_b32_e64 v9, v14, v12, s[0:1]
	v_cndmask_b32_e32 v1, v2, v1, vcc
	v_xor_b32_e32 v2, s6, v8
	v_cndmask_b32_e32 v0, v3, v9, vcc
	v_xor_b32_e32 v1, v1, v2
	v_xor_b32_e32 v0, v0, v2
	v_sub_co_u32_e32 v8, vcc, v1, v2
	v_subb_co_u32_e32 v9, vcc, v0, v2, vcc
.LBB6_7:
	s_andn2_saveexec_b64 s[0:1], s[2:3]
	s_cbranch_execz .LBB6_9
; %bb.8:
	v_cvt_f32_u32_e32 v0, s20
	s_sub_i32 s2, 0, s20
	v_mov_b32_e32 v9, 0
	v_rcp_iflag_f32_e32 v0, v0
	v_mul_f32_e32 v0, 0x4f7ffffe, v0
	v_cvt_u32_f32_e32 v0, v0
	v_mul_lo_u32 v1, s2, v0
	v_mul_hi_u32 v1, v0, v1
	v_add_u32_e32 v0, v0, v1
	v_mul_hi_u32 v0, v6, v0
	v_mul_lo_u32 v1, v0, s20
	v_add_u32_e32 v2, 1, v0
	v_sub_u32_e32 v1, v6, v1
	v_subrev_u32_e32 v3, s20, v1
	v_cmp_le_u32_e32 vcc, s20, v1
	v_cndmask_b32_e32 v1, v1, v3, vcc
	v_cndmask_b32_e32 v0, v0, v2, vcc
	v_add_u32_e32 v2, 1, v0
	v_cmp_le_u32_e32 vcc, s20, v1
	v_cndmask_b32_e32 v8, v0, v2, vcc
.LBB6_9:
	s_or_b64 exec, exec, s[0:1]
	v_mul_lo_u32 v2, v9, s20
	v_mul_lo_u32 v3, v8, s21
	v_mad_u64_u32 v[0:1], s[0:1], v8, s20, 0
	v_add3_u32 v3, v1, v3, v2
	v_mul_lo_u32 v12, v3, s22
	v_mul_lo_u32 v13, v0, s23
	v_mad_u64_u32 v[1:2], s[0:1], v0, s22, 0
	v_sub_co_u32_e32 v10, vcc, v6, v0
	v_add3_u32 v2, v2, v13, v12
	v_lshlrev_b64 v[0:1], 3, v[1:2]
	v_subb_co_u32_e32 v11, vcc, v7, v3, vcc
	v_mov_b32_e32 v2, s17
	v_add_co_u32_e32 v3, vcc, s16, v0
	v_addc_co_u32_e32 v12, vcc, v2, v1, vcc
	v_lshlrev_b64 v[0:1], 3, v[10:11]
	v_add_co_u32_e32 v2, vcc, v3, v0
	v_addc_co_u32_e32 v3, vcc, v12, v1, vcc
	global_load_dwordx2 v[14:15], v[2:3], off
	s_waitcnt vmcnt(0)
	v_cmp_ne_u64_e32 vcc, 0, v[14:15]
	s_and_b64 exec, exec, vcc
	s_cbranch_execz .LBB6_75
; %bb.10:
	s_load_dwordx8 s[36:43], s[4:5], 0x70
	s_add_u32 s0, s20, 1
	s_addc_u32 s1, s21, 0
	s_load_dword s22, s[4:5], 0x0
	s_waitcnt lgkmcnt(0)
	s_mul_i32 s1, s40, s1
	s_mul_hi_u32 s2, s40, s0
	s_mul_i32 s3, s41, s0
	s_add_i32 s1, s2, s1
	s_add_i32 s1, s1, s3
	s_mul_i32 s0, s40, s0
	v_mul_lo_u32 v12, s1, v8
	v_mul_lo_u32 v13, s0, v9
	v_mad_u64_u32 v[2:3], s[0:1], s0, v8, 0
	v_mad_u64_u32 v[16:17], s[0:1], v8, s38, v[10:11]
	v_add3_u32 v3, v3, v13, v12
	v_lshlrev_b64 v[2:3], 3, v[2:3]
	v_mov_b32_e32 v12, s19
	v_add_co_u32_e32 v2, vcc, s18, v2
	v_addc_co_u32_e32 v3, vcc, v12, v3, vcc
	v_add_co_u32_e32 v0, vcc, v2, v0
	v_addc_co_u32_e32 v1, vcc, v3, v1, vcc
	global_load_dwordx4 v[0:3], v[0:1], off
	v_mul_lo_u32 v12, v7, s26
	v_mul_lo_u32 v13, v6, s27
	v_mad_u64_u32 v[6:7], s[0:1], v6, s26, 0
	v_add3_u32 v7, v7, v13, v12
	v_mul_lo_u32 v12, v8, s39
	v_mul_lo_u32 v13, v9, s38
	v_sub_co_u32_e32 v10, vcc, v4, v6
	v_subb_co_u32_e32 v11, vcc, v5, v7, vcc
	v_add3_u32 v17, v13, v17, v12
	v_mad_u64_u32 v[12:13], s[0:1], v16, s36, v[10:11]
	v_mul_lo_u32 v16, v16, s37
	v_mul_lo_u32 v17, v17, s36
	s_and_b32 s0, s22, -3
	s_cmp_lg_u32 s0, 0
	v_add3_u32 v13, v17, v13, v16
	s_cbranch_scc0 .LBB6_25
; %bb.11:
	s_cmp_lt_i32 s22, 3
	s_mov_b64 s[0:1], -1
	s_cbranch_scc1 .LBB6_39
; %bb.12:
	s_cmp_lt_i32 s22, 4
	s_cbranch_scc1 .LBB6_28
; %bb.13:
	s_cmp_eq_u32 s22, 4
	s_cbranch_scc0 .LBB6_27
; %bb.14:
	s_waitcnt vmcnt(0)
	v_cmp_gt_i64_e32 vcc, v[2:3], v[0:1]
	s_and_saveexec_b64 s[0:1], vcc
	s_cbranch_execz .LBB6_26
; %bb.15:
	v_lshlrev_b64 v[18:19], 1, v[12:13]
	v_mov_b32_e32 v17, s11
	v_add_co_u32_e32 v16, vcc, s10, v18
	v_addc_co_u32_e32 v17, vcc, v17, v19, vcc
	v_mov_b32_e32 v20, s13
	v_add_co_u32_e32 v18, vcc, s12, v18
	v_addc_co_u32_e32 v19, vcc, v20, v19, vcc
	global_load_ushort v29, v[18:19], off
	global_load_ushort v31, v[16:17], off
	v_mul_lo_u32 v18, s31, v8
	v_mul_lo_u32 v27, s30, v9
	v_mad_u64_u32 v[19:20], s[2:3], s30, v8, 0
	v_lshlrev_b64 v[21:22], 1, v[0:1]
	v_lshlrev_b64 v[23:24], 1, v[4:5]
	v_add3_u32 v20, v20, v27, v18
	v_lshlrev_b64 v[27:28], 1, v[19:20]
	v_lshlrev_b64 v[25:26], 1, v[6:7]
	v_add_co_u32_e32 v21, vcc, v27, v21
	v_addc_co_u32_e32 v22, vcc, v28, v22, vcc
	v_mul_lo_u32 v27, v20, s28
	v_mul_lo_u32 v22, s28, v22
	;; [unrolled: 1-line block ×3, first 2 shown]
	v_mad_u64_u32 v[20:21], s[6:7], s28, v21, v[23:24]
	s_load_dword s23, s[4:5], 0x48
	s_movk_i32 s24, 0x7fff
	v_add3_u32 v21, v28, v21, v22
	v_sub_co_u32_e32 v20, vcc, v20, v25
	v_subb_co_u32_e32 v21, vcc, v21, v26, vcc
	v_mov_b32_e32 v33, s15
	v_mul_lo_u32 v34, v19, s29
	v_mad_u64_u32 v[18:19], s[6:7], v19, s28, v[10:11]
	v_add_co_u32_e32 v20, vcc, s14, v20
	v_addc_co_u32_e32 v21, vcc, v33, v21, vcc
	v_mov_b32_e32 v32, 0x7fc00000
	s_lshl_b64 s[2:3], s[28:29], 1
	s_mov_b64 s[4:5], 0
	v_mov_b32_e32 v30, 0x7fc0
	s_mov_b64 s[6:7], 0
	v_add3_u32 v19, v27, v19, v34
	s_waitcnt vmcnt(1)
	v_lshlrev_b32_e32 v22, 16, v29
	s_waitcnt vmcnt(0)
	v_lshlrev_b32_e32 v23, 16, v31
	v_mul_f32_e32 v22, v23, v22
	v_bfe_u32 v23, v22, 16, 1
	v_add3_u32 v23, v22, v23, s24
	v_and_b32_e32 v23, 0xffff0000, v23
	v_cmp_o_f32_e32 vcc, v22, v22
	v_cndmask_b32_e32 v31, v32, v23, vcc
	v_mov_b32_e32 v23, v1
	v_mov_b32_e32 v22, v0
	s_branch .LBB6_18
.LBB6_16:                               ;   in Loop: Header=BB6_18 Depth=1
	s_or_b64 exec, exec, s[18:19]
	global_load_ushort v26, v[16:17], off
	v_lshlrev_b32_e32 v27, 16, v32
	s_waitcnt vmcnt(0)
	v_lshlrev_b32_e32 v26, 16, v26
	v_mul_f32_e32 v26, v27, v26
.LBB6_17:                               ;   in Loop: Header=BB6_18 Depth=1
	s_or_b64 exec, exec, s[16:17]
	v_bfe_u32 v27, v26, 16, 1
	v_add3_u32 v27, v26, v27, s24
	v_cmp_o_f32_e32 vcc, v26, v26
	v_cndmask_b32_sdwa v26, v30, v27, vcc dst_sel:DWORD dst_unused:UNUSED_PAD src0_sel:DWORD src1_sel:WORD_1
	v_mov_b32_e32 v27, s9
	v_add_co_u32_e32 v24, vcc, s8, v24
	v_addc_co_u32_e32 v25, vcc, v27, v25, vcc
	v_add_co_u32_e32 v22, vcc, 1, v22
	v_addc_co_u32_e32 v23, vcc, 0, v23, vcc
	s_add_u32 s6, s6, 1
	v_cmp_ge_i64_e32 vcc, v[22:23], v[2:3]
	s_addc_u32 s7, s7, 0
	s_or_b64 s[4:5], vcc, s[4:5]
	global_store_short v[24:25], v26, off
	s_andn2_b64 exec, exec, s[4:5]
	s_cbranch_execz .LBB6_26
.LBB6_18:                               ; =>This Loop Header: Depth=1
                                        ;     Child Loop BB6_23 Depth 2
	v_mad_u64_u32 v[24:25], s[16:17], v22, s28, v[18:19]
	v_mul_lo_u32 v26, v22, s29
	v_mul_lo_u32 v27, v23, s28
	v_add3_u32 v25, v27, v25, v26
	v_lshlrev_b64 v[24:25], 1, v[24:25]
	v_mov_b32_e32 v27, s15
	v_add_co_u32_e32 v26, vcc, s14, v24
	v_addc_co_u32_e32 v27, vcc, v27, v25, vcc
	global_load_ushort v26, v[26:27], off
	s_waitcnt vmcnt(0)
	v_lshlrev_b32_e32 v27, 16, v26
	v_cmp_lg_f32_e32 vcc, 0, v27
                                        ; implicit-def: $vgpr26
	s_and_saveexec_b64 s[16:17], vcc
	s_xor_b64 s[16:17], exec, s[16:17]
	s_cbranch_execz .LBB6_20
; %bb.19:                               ;   in Loop: Header=BB6_18 Depth=1
	v_div_scale_f32 v26, s[18:19], v27, v27, v31
	v_div_scale_f32 v28, vcc, v31, v27, v31
	v_rcp_f32_e32 v29, v26
	v_fma_f32 v32, -v26, v29, 1.0
	v_fmac_f32_e32 v29, v32, v29
	v_mul_f32_e32 v32, v28, v29
	v_fma_f32 v33, -v26, v32, v28
	v_fmac_f32_e32 v32, v33, v29
	v_fma_f32 v26, -v26, v32, v28
	v_div_fmas_f32 v26, v26, v29, v32
	v_div_fixup_f32 v26, v26, v27, v31
.LBB6_20:                               ;   in Loop: Header=BB6_18 Depth=1
	s_andn2_saveexec_b64 s[16:17], s[16:17]
	s_cbranch_execz .LBB6_17
; %bb.21:                               ;   in Loop: Header=BB6_18 Depth=1
	v_mov_b32_e32 v27, v21
	v_mov_b32_e32 v29, v1
	s_mov_b64 s[18:19], 0
	s_waitcnt lgkmcnt(0)
	v_mov_b32_e32 v32, s23
	s_mov_b64 s[20:21], s[6:7]
	v_mov_b32_e32 v26, v20
	v_mov_b32_e32 v28, v0
	s_branch .LBB6_23
.LBB6_22:                               ;   in Loop: Header=BB6_23 Depth=2
	v_add_co_u32_e32 v28, vcc, 1, v28
	v_addc_co_u32_e32 v29, vcc, 0, v29, vcc
	s_add_u32 s20, s20, -1
	v_cmp_ge_i64_e32 vcc, v[28:29], v[2:3]
	s_addc_u32 s21, s21, -1
	v_mov_b32_e32 v33, s3
	s_or_b64 s[18:19], vcc, s[18:19]
	v_add_co_u32_e32 v26, vcc, s2, v26
	v_addc_co_u32_e32 v27, vcc, v27, v33, vcc
	s_andn2_b64 exec, exec, s[18:19]
	s_cbranch_execz .LBB6_16
.LBB6_23:                               ;   Parent Loop BB6_18 Depth=1
                                        ; =>  This Inner Loop Header: Depth=2
	s_cmp_eq_u64 s[20:21], 0
	s_cbranch_scc1 .LBB6_22
; %bb.24:                               ;   in Loop: Header=BB6_23 Depth=2
	global_load_ushort v33, v[26:27], off
	v_lshlrev_b32_e32 v32, 16, v32
	s_waitcnt vmcnt(0)
	v_lshlrev_b32_e32 v33, 16, v33
	v_mul_f32_e32 v32, v32, v33
	v_bfe_u32 v33, v32, 16, 1
	v_cmp_o_f32_e32 vcc, v32, v32
	v_add3_u32 v32, v32, v33, s24
	v_cndmask_b32_sdwa v32, v30, v32, vcc dst_sel:DWORD dst_unused:UNUSED_PAD src0_sel:DWORD src1_sel:WORD_1
	s_branch .LBB6_22
.LBB6_25:
	s_cbranch_execnz .LBB6_51
	s_branch .LBB6_75
.LBB6_26:
	s_or_b64 exec, exec, s[0:1]
.LBB6_27:
	s_mov_b64 s[0:1], 0
.LBB6_28:
	s_andn2_b64 vcc, exec, s[0:1]
	s_cbranch_vccnz .LBB6_38
; %bb.29:
	s_waitcnt vmcnt(0)
	v_cmp_gt_i64_e32 vcc, v[2:3], v[0:1]
	s_and_saveexec_b64 s[2:3], vcc
	s_cbranch_execz .LBB6_37
; %bb.30:
	v_lshlrev_b64 v[16:17], 1, v[12:13]
	v_mov_b32_e32 v18, s11
	v_add_co_u32_e32 v16, vcc, s10, v16
	v_addc_co_u32_e32 v17, vcc, v18, v17, vcc
	global_load_ushort v26, v[16:17], off
	v_mul_lo_u32 v18, s31, v8
	v_mul_lo_u32 v19, s30, v9
	v_mad_u64_u32 v[16:17], s[0:1], s30, v8, 0
	s_cmp_eq_u64 s[28:29], 1
	s_cselect_b64 s[0:1], -1, 0
	v_add3_u32 v17, v17, v19, v18
	v_sub_co_u32_e32 v18, vcc, v2, v0
	v_subb_co_u32_e32 v19, vcc, v3, v1, vcc
	v_cmp_lt_u64_e32 vcc, 1, v[18:19]
	v_mov_b32_e32 v21, v1
	s_and_b64 s[6:7], vcc, s[0:1]
	s_mov_b64 s[0:1], -1
	v_mov_b32_e32 v20, v0
	s_and_saveexec_b64 s[4:5], s[6:7]
	s_cbranch_execz .LBB6_34
; %bb.31:
	v_mul_lo_u32 v22, v17, s28
	v_mul_lo_u32 v23, v16, s29
	v_mad_u64_u32 v[20:21], s[0:1], v16, s28, 0
	s_mov_b32 s0, 0x5040100
	s_waitcnt vmcnt(0)
	v_perm_b32 v27, v26, v26, s0
	v_add3_u32 v21, v21, v23, v22
	v_lshlrev_b64 v[20:21], 1, v[20:21]
	v_mov_b32_e32 v22, s9
	v_add_co_u32_e32 v23, vcc, s8, v20
	v_addc_co_u32_e32 v22, vcc, v22, v21, vcc
	v_lshlrev_b64 v[20:21], 1, v[10:11]
	s_mov_b64 s[6:7], 0
	v_add_co_u32_e32 v24, vcc, v23, v20
	v_addc_co_u32_e32 v25, vcc, v22, v21, vcc
	v_lshlrev_b64 v[22:23], 1, v[0:1]
	v_mov_b32_e32 v21, v19
	v_add_co_u32_e32 v22, vcc, v24, v22
	v_and_b32_e32 v20, -2, v18
	v_addc_co_u32_e32 v23, vcc, v25, v23, vcc
	v_mov_b32_e32 v25, v21
	v_mov_b32_e32 v24, v20
.LBB6_32:                               ; =>This Inner Loop Header: Depth=1
	v_add_co_u32_e64 v24, s[0:1], -2, v24
	v_addc_co_u32_e64 v25, s[0:1], -1, v25, s[0:1]
	v_cmp_eq_u64_e64 s[0:1], 0, v[24:25]
	global_store_dword v[22:23], v27, off
	v_add_co_u32_e32 v22, vcc, 4, v22
	s_or_b64 s[6:7], s[0:1], s[6:7]
	v_addc_co_u32_e32 v23, vcc, 0, v23, vcc
	s_andn2_b64 exec, exec, s[6:7]
	s_cbranch_execnz .LBB6_32
; %bb.33:
	s_or_b64 exec, exec, s[6:7]
	v_cmp_ne_u64_e32 vcc, v[18:19], v[20:21]
	v_add_co_u32_e64 v20, s[0:1], v0, v20
	v_addc_co_u32_e64 v21, s[0:1], v1, v21, s[0:1]
	s_orn2_b64 s[0:1], vcc, exec
.LBB6_34:
	s_or_b64 exec, exec, s[4:5]
	s_and_b64 exec, exec, s[0:1]
	s_cbranch_execz .LBB6_37
; %bb.35:
	v_lshlrev_b64 v[16:17], 1, v[16:17]
	v_lshlrev_b64 v[18:19], 1, v[20:21]
	s_lshl_b64 s[4:5], s[28:29], 1
	v_add_co_u32_e32 v18, vcc, v16, v18
	v_addc_co_u32_e32 v19, vcc, v17, v19, vcc
	v_lshlrev_b64 v[16:17], 1, v[4:5]
	v_mul_lo_u32 v19, s28, v19
	v_mul_lo_u32 v22, s29, v18
	v_mad_u64_u32 v[16:17], s[0:1], s28, v18, v[16:17]
	s_mov_b64 s[6:7], 0
	v_add3_u32 v19, v22, v17, v19
	v_lshlrev_b64 v[17:18], 1, v[6:7]
	v_sub_co_u32_e32 v16, vcc, v16, v17
	v_subb_co_u32_e32 v17, vcc, v19, v18, vcc
	v_mov_b32_e32 v18, s9
	v_add_co_u32_e32 v16, vcc, s8, v16
	v_addc_co_u32_e32 v17, vcc, v18, v17, vcc
	v_mov_b32_e32 v18, s5
	s_waitcnt vmcnt(0)
.LBB6_36:                               ; =>This Inner Loop Header: Depth=1
	v_add_co_u32_e32 v20, vcc, 1, v20
	v_addc_co_u32_e32 v21, vcc, 0, v21, vcc
	v_cmp_ge_i64_e64 s[0:1], v[20:21], v[2:3]
	global_store_short v[16:17], v26, off
	v_add_co_u32_e32 v16, vcc, s4, v16
	s_or_b64 s[6:7], s[0:1], s[6:7]
	v_addc_co_u32_e32 v17, vcc, v17, v18, vcc
	s_andn2_b64 exec, exec, s[6:7]
	s_cbranch_execnz .LBB6_36
.LBB6_37:
	s_or_b64 exec, exec, s[2:3]
.LBB6_38:
	s_mov_b64 s[0:1], 0
.LBB6_39:
	s_andn2_b64 vcc, exec, s[0:1]
	s_cbranch_vccnz .LBB6_50
; %bb.40:
	s_cmp_lg_u32 s22, 1
	s_cbranch_scc1 .LBB6_50
; %bb.41:
	s_waitcnt vmcnt(0)
	v_cmp_gt_i64_e32 vcc, v[2:3], v[0:1]
	s_and_saveexec_b64 s[2:3], vcc
	s_cbranch_execz .LBB6_49
; %bb.42:
	v_lshlrev_b64 v[16:17], 1, v[12:13]
	v_mov_b32_e32 v18, s11
	v_add_co_u32_e32 v16, vcc, s10, v16
	v_addc_co_u32_e32 v17, vcc, v18, v17, vcc
	global_load_ushort v16, v[16:17], off
	v_xor_b32_e32 v18, v14, v15
	v_ffbh_i32_e32 v17, v15
	v_ashrrev_i32_e32 v18, 31, v18
	v_add_u32_e32 v17, -1, v17
	v_add_u32_e32 v18, 32, v18
	v_min_u32_e32 v17, v17, v18
	v_lshlrev_b64 v[14:15], v17, v[14:15]
	s_movk_i32 s16, 0x7fff
	v_min_u32_e32 v14, 1, v14
	v_or_b32_e32 v14, v15, v14
	v_cvt_f32_i32_e32 v14, v14
	v_sub_u32_e32 v15, 32, v17
	v_mul_lo_u32 v22, s31, v8
	v_mul_lo_u32 v23, s30, v9
	v_ldexp_f32 v14, v14, v15
	v_bfe_u32 v15, v14, 16, 1
	v_add3_u32 v14, v14, v15, s16
	v_and_b32_e32 v18, 0xffff0000, v14
	s_cmp_eq_u64 s[28:29], 1
	s_cselect_b64 s[4:5], -1, 0
	v_mov_b32_e32 v21, 0x7fc0
	s_waitcnt vmcnt(0)
	v_lshlrev_b32_e32 v19, 16, v16
	v_div_scale_f32 v14, s[0:1], v18, v18, v19
	v_div_scale_f32 v15, vcc, v19, v18, v19
	v_rcp_f32_e32 v16, v14
	v_fma_f32 v17, -v14, v16, 1.0
	v_fmac_f32_e32 v16, v17, v16
	v_mul_f32_e32 v17, v15, v16
	v_fma_f32 v20, -v14, v17, v15
	v_fmac_f32_e32 v17, v20, v16
	v_fma_f32 v14, -v14, v17, v15
	v_div_fmas_f32 v20, v14, v16, v17
	v_sub_co_u32_e32 v16, vcc, v2, v0
	v_subb_co_u32_e32 v17, vcc, v3, v1, vcc
	v_mad_u64_u32 v[14:15], s[0:1], s30, v8, 0
	v_cmp_lt_u64_e32 vcc, 1, v[16:17]
	s_mov_b64 s[0:1], -1
	s_and_b64 s[6:7], vcc, s[4:5]
	v_add3_u32 v15, v15, v23, v22
	v_div_fixup_f32 v18, v20, v18, v19
	v_bfe_u32 v19, v18, 16, 1
	v_add3_u32 v19, v18, v19, s16
	v_lshrrev_b32_e32 v19, 16, v19
	v_cmp_o_f32_e32 vcc, v18, v18
	v_cndmask_b32_e32 v24, v21, v19, vcc
	v_mov_b32_e32 v19, v1
	v_mov_b32_e32 v18, v0
	s_and_saveexec_b64 s[4:5], s[6:7]
	s_cbranch_execz .LBB6_46
; %bb.43:
	v_mul_lo_u32 v20, v15, s28
	v_mul_lo_u32 v21, v14, s29
	v_mad_u64_u32 v[18:19], s[0:1], v14, s28, 0
	s_mov_b32 s0, 0x5040100
	v_perm_b32 v25, v24, v24, s0
	v_add3_u32 v19, v19, v21, v20
	v_lshlrev_b64 v[18:19], 1, v[18:19]
	v_mov_b32_e32 v20, s9
	v_add_co_u32_e32 v21, vcc, s8, v18
	v_addc_co_u32_e32 v20, vcc, v20, v19, vcc
	v_lshlrev_b64 v[18:19], 1, v[10:11]
	s_mov_b64 s[6:7], 0
	v_add_co_u32_e32 v22, vcc, v21, v18
	v_addc_co_u32_e32 v23, vcc, v20, v19, vcc
	v_lshlrev_b64 v[20:21], 1, v[0:1]
	v_mov_b32_e32 v19, v17
	v_add_co_u32_e32 v20, vcc, v22, v20
	v_and_b32_e32 v18, -2, v16
	v_addc_co_u32_e32 v21, vcc, v23, v21, vcc
	v_mov_b32_e32 v23, v19
	v_mov_b32_e32 v22, v18
.LBB6_44:                               ; =>This Inner Loop Header: Depth=1
	v_add_co_u32_e64 v22, s[0:1], -2, v22
	v_addc_co_u32_e64 v23, s[0:1], -1, v23, s[0:1]
	v_cmp_eq_u64_e64 s[0:1], 0, v[22:23]
	global_store_dword v[20:21], v25, off
	v_add_co_u32_e32 v20, vcc, 4, v20
	s_or_b64 s[6:7], s[0:1], s[6:7]
	v_addc_co_u32_e32 v21, vcc, 0, v21, vcc
	s_andn2_b64 exec, exec, s[6:7]
	s_cbranch_execnz .LBB6_44
; %bb.45:
	s_or_b64 exec, exec, s[6:7]
	v_cmp_ne_u64_e32 vcc, v[16:17], v[18:19]
	v_add_co_u32_e64 v18, s[0:1], v0, v18
	v_addc_co_u32_e64 v19, s[0:1], v1, v19, s[0:1]
	s_orn2_b64 s[0:1], vcc, exec
.LBB6_46:
	s_or_b64 exec, exec, s[4:5]
	s_and_b64 exec, exec, s[0:1]
	s_cbranch_execz .LBB6_49
; %bb.47:
	v_lshlrev_b64 v[14:15], 1, v[14:15]
	v_lshlrev_b64 v[16:17], 1, v[18:19]
	s_lshl_b64 s[4:5], s[28:29], 1
	v_add_co_u32_e32 v16, vcc, v14, v16
	v_addc_co_u32_e32 v17, vcc, v15, v17, vcc
	v_lshlrev_b64 v[14:15], 1, v[4:5]
	v_mul_lo_u32 v17, s28, v17
	v_mul_lo_u32 v20, s29, v16
	v_mad_u64_u32 v[14:15], s[0:1], s28, v16, v[14:15]
	s_mov_b64 s[6:7], 0
	v_add3_u32 v17, v20, v15, v17
	v_lshlrev_b64 v[15:16], 1, v[6:7]
	v_sub_co_u32_e32 v14, vcc, v14, v15
	v_subb_co_u32_e32 v15, vcc, v17, v16, vcc
	v_mov_b32_e32 v16, s9
	v_add_co_u32_e32 v14, vcc, s8, v14
	v_addc_co_u32_e32 v15, vcc, v16, v15, vcc
	v_mov_b32_e32 v16, s5
.LBB6_48:                               ; =>This Inner Loop Header: Depth=1
	v_add_co_u32_e32 v18, vcc, 1, v18
	v_addc_co_u32_e32 v19, vcc, 0, v19, vcc
	v_cmp_ge_i64_e64 s[0:1], v[18:19], v[2:3]
	global_store_short v[14:15], v24, off
	v_add_co_u32_e32 v14, vcc, s4, v14
	s_or_b64 s[6:7], s[0:1], s[6:7]
	v_addc_co_u32_e32 v15, vcc, v15, v16, vcc
	s_andn2_b64 exec, exec, s[6:7]
	s_cbranch_execnz .LBB6_48
.LBB6_49:
	s_or_b64 exec, exec, s[2:3]
.LBB6_50:
	s_branch .LBB6_75
.LBB6_51:
	s_waitcnt vmcnt(0)
	v_cmp_le_i64_e32 vcc, v[2:3], v[0:1]
	v_cmp_gt_i64_e64 s[0:1], v[2:3], v[0:1]
	v_mov_b32_e32 v14, 0
	v_mov_b32_e32 v15, 0
	s_and_saveexec_b64 s[2:3], s[0:1]
	s_cbranch_execz .LBB6_59
; %bb.52:
	v_mad_u64_u32 v[16:17], s[0:1], v8, s30, v[0:1]
	v_mul_lo_u32 v18, v8, s31
	v_mul_lo_u32 v19, v9, s30
	v_lshlrev_b64 v[14:15], 1, v[12:13]
	v_mov_b32_e32 v13, s13
	v_add_co_u32_e64 v12, s[0:1], s12, v14
	v_add3_u32 v17, v19, v17, v18
	v_addc_co_u32_e64 v13, s[0:1], v13, v15, s[0:1]
	v_mul_lo_u32 v21, s29, v16
	v_mul_lo_u32 v22, s28, v17
	v_mad_u64_u32 v[18:19], s[0:1], s28, v16, v[4:5]
	v_mov_b32_e32 v20, s11
	v_add_co_u32_e64 v16, s[0:1], s10, v14
	v_addc_co_u32_e64 v17, s[0:1], v20, v15, s[0:1]
	v_add3_u32 v15, v21, v19, v22
	v_sub_co_u32_e64 v14, s[0:1], v18, v6
	v_subb_co_u32_e64 v15, s[0:1], v15, v7, s[0:1]
	v_lshlrev_b64 v[18:19], 1, v[14:15]
	v_mov_b32_e32 v14, 0
	v_mov_b32_e32 v21, v1
	s_lshl_b64 s[6:7], s[28:29], 1
	s_mov_b64 s[4:5], 0
	v_mov_b32_e32 v15, 0
	v_mov_b32_e32 v22, s15
	;; [unrolled: 1-line block ×3, first 2 shown]
	s_branch .LBB6_54
.LBB6_53:                               ;   in Loop: Header=BB6_54 Depth=1
	s_or_b64 exec, exec, s[10:11]
	v_add_co_u32_e64 v20, s[0:1], 1, v20
	v_addc_co_u32_e64 v21, s[0:1], 0, v21, s[0:1]
	v_cmp_ge_i64_e64 s[0:1], v[20:21], v[2:3]
	v_mov_b32_e32 v23, s7
	s_or_b64 s[4:5], s[0:1], s[4:5]
	v_add_co_u32_e64 v18, s[0:1], s6, v18
	v_addc_co_u32_e64 v19, s[0:1], v19, v23, s[0:1]
	s_andn2_b64 exec, exec, s[4:5]
	s_cbranch_execz .LBB6_58
.LBB6_54:                               ; =>This Inner Loop Header: Depth=1
	v_add_co_u32_e64 v23, s[0:1], s14, v18
	v_addc_co_u32_e64 v24, s[0:1], v22, v19, s[0:1]
	global_load_ushort v23, v[23:24], off
	s_waitcnt vmcnt(0)
	v_lshlrev_b32_e32 v23, 16, v23
	v_cmp_u_f32_e64 s[12:13], v23, v23
	v_cmp_o_f32_e64 s[0:1], v23, v23
	s_and_saveexec_b64 s[10:11], s[0:1]
	s_cbranch_execz .LBB6_56
; %bb.55:                               ;   in Loop: Header=BB6_54 Depth=1
	global_load_ushort v24, v[12:13], off
	s_andn2_b64 s[12:13], s[12:13], exec
	s_waitcnt vmcnt(0)
	v_lshlrev_b32_e32 v24, 16, v24
	v_cmp_eq_f32_e64 s[0:1], v23, v24
	s_and_b64 s[0:1], s[0:1], exec
	s_or_b64 s[12:13], s[12:13], s[0:1]
.LBB6_56:                               ;   in Loop: Header=BB6_54 Depth=1
	s_or_b64 exec, exec, s[10:11]
	s_and_saveexec_b64 s[10:11], s[12:13]
	s_cbranch_execz .LBB6_53
; %bb.57:                               ;   in Loop: Header=BB6_54 Depth=1
	global_load_ushort v25, v[16:17], off
	v_mov_b32_e32 v24, s9
	v_add_co_u32_e64 v23, s[0:1], s8, v18
	v_addc_co_u32_e64 v24, s[0:1], v24, v19, s[0:1]
	v_add_co_u32_e64 v14, s[0:1], 1, v14
	v_addc_co_u32_e64 v15, s[0:1], 0, v15, s[0:1]
	s_waitcnt vmcnt(0)
	global_store_short v[23:24], v25, off
	s_branch .LBB6_53
.LBB6_58:
	s_or_b64 exec, exec, s[4:5]
.LBB6_59:
	s_or_b64 exec, exec, s[2:3]
	v_cmp_lt_i64_e64 s[0:1], 1, v[14:15]
	s_xor_b64 s[2:3], vcc, -1
	s_and_b64 s[0:1], s[0:1], s[2:3]
	s_and_b64 exec, exec, s[0:1]
	s_cbranch_execz .LBB6_75
; %bb.60:
	v_mul_lo_u32 v17, s30, v9
	v_ffbh_u32_e32 v9, v15
	v_min_u32_e32 v18, 32, v9
	v_lshlrev_b64 v[12:13], v18, v[14:15]
	v_mul_lo_u32 v16, s31, v8
	v_min_u32_e32 v12, 1, v12
	v_or_b32_e32 v12, v13, v12
	v_cvt_f32_u32_e32 v12, v12
	v_sub_u32_e32 v13, 32, v18
	v_mad_u64_u32 v[8:9], s[0:1], s30, v8, 0
	v_ldexp_f32 v12, v12, v13
	v_bfe_u32 v13, v12, 16, 1
	s_movk_i32 s0, 0x7fff
	v_add3_u32 v14, v12, v13, s0
	v_sub_co_u32_e32 v12, vcc, v2, v0
	v_subb_co_u32_e32 v13, vcc, v3, v1, vcc
	v_cmp_gt_u64_e64 s[2:3], 28, v[12:13]
	v_cmp_lt_u64_e32 vcc, 27, v[12:13]
	v_add3_u32 v9, v9, v17, v16
	v_and_b32_e32 v18, 0xffff0000, v14
	s_and_saveexec_b64 s[4:5], vcc
	s_cbranch_execz .LBB6_70
; %bb.61:
	v_not_b32_e32 v14, v0
	v_not_b32_e32 v15, v1
	v_add_co_u32_e32 v14, vcc, v2, v14
	v_addc_co_u32_e32 v15, vcc, v3, v15, vcc
	v_add_co_u32_e32 v16, vcc, v8, v0
	v_addc_co_u32_e32 v17, vcc, v9, v1, vcc
	;; [unrolled: 2-line block ×3, first 2 shown]
	v_lshlrev_b64 v[10:11], 1, v[10:11]
	v_mov_b32_e32 v16, s9
	v_add_co_u32_e32 v10, vcc, s8, v10
	v_addc_co_u32_e32 v11, vcc, v16, v11, vcc
	v_lshlrev_b64 v[16:17], 1, v[14:15]
	v_cmp_lt_i64_e32 vcc, -1, v[14:15]
	v_add_co_u32_e64 v14, s[0:1], v10, v16
	v_addc_co_u32_e64 v15, s[0:1], v11, v17, s[0:1]
	v_cmp_ge_u64_e64 s[0:1], v[14:15], v[10:11]
	s_cmp_eq_u64 s[28:29], 1
	s_cselect_b64 s[6:7], -1, 0
	s_and_b64 s[0:1], s[0:1], vcc
	s_mov_b64 s[10:11], -1
	s_and_b64 s[0:1], s[6:7], s[0:1]
	s_and_saveexec_b64 s[6:7], s[0:1]
	s_cbranch_execz .LBB6_69
; %bb.62:
	v_lshlrev_b64 v[14:15], 1, v[8:9]
	v_lshlrev_b64 v[16:17], 1, v[4:5]
	v_mov_b32_e32 v11, v13
	v_add_co_u32_e32 v16, vcc, v14, v16
	v_addc_co_u32_e32 v17, vcc, v15, v17, vcc
	v_lshlrev_b64 v[14:15], 1, v[0:1]
	v_and_b32_e32 v10, -2, v12
	v_add_co_u32_e32 v16, vcc, v16, v14
	v_addc_co_u32_e32 v17, vcc, v17, v15, vcc
	v_lshlrev_b64 v[14:15], 1, v[6:7]
	v_mov_b32_e32 v19, v18
	v_sub_co_u32_e32 v14, vcc, v16, v14
	v_subb_co_u32_e32 v15, vcc, v17, v15, vcc
	v_mov_b32_e32 v16, s9
	v_add_co_u32_e32 v14, vcc, s8, v14
	v_addc_co_u32_e32 v15, vcc, v16, v15, vcc
	v_add_co_u32_e32 v14, vcc, 2, v14
	v_mov_b32_e32 v17, v11
	v_addc_co_u32_e32 v15, vcc, 0, v15, vcc
	s_mov_b64 s[10:11], 0
	s_movk_i32 s14, 0x7fff
	v_mov_b32_e32 v20, 0x7fc0
	v_mov_b32_e32 v16, v10
	s_branch .LBB6_64
.LBB6_63:                               ;   in Loop: Header=BB6_64 Depth=1
	s_or_b64 exec, exec, s[12:13]
	v_add_co_u32_e32 v16, vcc, -2, v16
	v_addc_co_u32_e32 v17, vcc, -1, v17, vcc
	v_cmp_eq_u64_e32 vcc, 0, v[16:17]
	s_or_b64 s[10:11], vcc, s[10:11]
	v_add_co_u32_e32 v14, vcc, 4, v14
	v_addc_co_u32_e32 v15, vcc, 0, v15, vcc
	s_andn2_b64 exec, exec, s[10:11]
	s_cbranch_execz .LBB6_68
.LBB6_64:                               ; =>This Inner Loop Header: Depth=1
	global_load_dword v21, v[14:15], off offset:-2
	s_waitcnt vmcnt(0)
	v_and_b32_e32 v22, 0xffff0000, v21
	v_lshlrev_b32_e32 v23, 16, v21
	v_div_scale_f32 v21, s[0:1], v19, v19, v22
	v_div_scale_f32 v24, s[0:1], v18, v18, v23
	v_div_scale_f32 v25, vcc, v22, v19, v22
	v_div_scale_f32 v26, s[0:1], v23, v18, v23
	v_rcp_f32_e32 v27, v21
	v_rcp_f32_e32 v28, v24
	v_fma_f32 v29, -v21, v27, 1.0
	v_fmac_f32_e32 v27, v29, v27
	v_fma_f32 v30, -v24, v28, 1.0
	v_fmac_f32_e32 v28, v30, v28
	v_mul_f32_e32 v29, v25, v27
	v_mul_f32_e32 v30, v26, v28
	v_fma_f32 v31, -v21, v29, v25
	v_fma_f32 v32, -v24, v30, v26
	v_fmac_f32_e32 v29, v31, v27
	v_fmac_f32_e32 v30, v32, v28
	v_fma_f32 v21, -v21, v29, v25
	v_fma_f32 v24, -v24, v30, v26
	v_div_fmas_f32 v21, v21, v27, v29
	s_mov_b64 vcc, s[0:1]
	v_div_fmas_f32 v24, v24, v28, v30
	v_cmp_lt_f32_e64 s[0:1], 0, v22
	v_cmp_lt_f32_e32 vcc, 0, v23
	v_div_fixup_f32 v21, v21, v19, v22
	v_div_fixup_f32 v22, v24, v18, v23
	s_and_saveexec_b64 s[12:13], vcc
	s_cbranch_execz .LBB6_66
; %bb.65:                               ;   in Loop: Header=BB6_64 Depth=1
	v_bfe_u32 v23, v22, 16, 1
	v_add3_u32 v23, v22, v23, s14
	v_cmp_o_f32_e32 vcc, v22, v22
	v_cndmask_b32_sdwa v22, v20, v23, vcc dst_sel:DWORD dst_unused:UNUSED_PAD src0_sel:DWORD src1_sel:WORD_1
	global_store_short v[14:15], v22, off offset:-2
.LBB6_66:                               ;   in Loop: Header=BB6_64 Depth=1
	s_or_b64 exec, exec, s[12:13]
	s_and_saveexec_b64 s[12:13], s[0:1]
	s_cbranch_execz .LBB6_63
; %bb.67:                               ;   in Loop: Header=BB6_64 Depth=1
	v_bfe_u32 v22, v21, 16, 1
	v_add3_u32 v22, v21, v22, s14
	v_cmp_o_f32_e32 vcc, v21, v21
	v_cndmask_b32_sdwa v21, v20, v22, vcc dst_sel:DWORD dst_unused:UNUSED_PAD src0_sel:DWORD src1_sel:WORD_1
	global_store_short v[14:15], v21, off
	s_branch .LBB6_63
.LBB6_68:
	s_or_b64 exec, exec, s[10:11]
	v_cmp_ne_u64_e32 vcc, v[12:13], v[10:11]
	v_add_co_u32_e64 v0, s[0:1], v0, v10
	v_addc_co_u32_e64 v1, s[0:1], v1, v11, s[0:1]
	s_orn2_b64 s[10:11], vcc, exec
.LBB6_69:
	s_or_b64 exec, exec, s[6:7]
	s_andn2_b64 s[0:1], s[2:3], exec
	s_and_b64 s[2:3], s[10:11], exec
	s_or_b64 s[2:3], s[0:1], s[2:3]
.LBB6_70:
	s_or_b64 exec, exec, s[4:5]
	s_and_b64 exec, exec, s[2:3]
	s_cbranch_execz .LBB6_75
; %bb.71:
	v_lshlrev_b64 v[8:9], 1, v[8:9]
	v_lshlrev_b64 v[10:11], 1, v[0:1]
	;; [unrolled: 1-line block ×3, first 2 shown]
	v_add_co_u32_e32 v8, vcc, v8, v10
	v_addc_co_u32_e32 v9, vcc, v9, v11, vcc
	v_mul_lo_u32 v9, s28, v9
	v_mul_lo_u32 v10, s29, v8
	v_mad_u64_u32 v[4:5], s[0:1], s28, v8, v[4:5]
	s_lshl_b64 s[0:1], s[28:29], 1
	s_mov_b64 s[2:3], 0
	v_add3_u32 v8, v10, v5, v9
	v_lshlrev_b64 v[5:6], 1, v[6:7]
	s_movk_i32 s6, 0x7fff
	v_sub_co_u32_e32 v4, vcc, v4, v5
	v_subb_co_u32_e32 v5, vcc, v8, v6, vcc
	v_mov_b32_e32 v6, s9
	v_add_co_u32_e32 v4, vcc, s8, v4
	v_addc_co_u32_e32 v5, vcc, v6, v5, vcc
	v_mov_b32_e32 v6, 0x7fc0
	v_mov_b32_e32 v7, s1
	s_branch .LBB6_73
.LBB6_72:                               ;   in Loop: Header=BB6_73 Depth=1
	s_or_b64 exec, exec, s[4:5]
	v_add_co_u32_e32 v0, vcc, 1, v0
	v_addc_co_u32_e32 v1, vcc, 0, v1, vcc
	v_cmp_ge_i64_e32 vcc, v[0:1], v[2:3]
	s_or_b64 s[2:3], vcc, s[2:3]
	v_add_co_u32_e32 v4, vcc, s0, v4
	v_addc_co_u32_e32 v5, vcc, v5, v7, vcc
	s_andn2_b64 exec, exec, s[2:3]
	s_cbranch_execz .LBB6_75
.LBB6_73:                               ; =>This Inner Loop Header: Depth=1
	global_load_ushort v8, v[4:5], off
	s_waitcnt vmcnt(0)
	v_lshlrev_b32_e32 v8, 16, v8
	v_cmp_lt_f32_e32 vcc, 0, v8
	s_and_saveexec_b64 s[4:5], vcc
	s_cbranch_execz .LBB6_72
; %bb.74:                               ;   in Loop: Header=BB6_73 Depth=1
	v_div_scale_f32 v9, s[8:9], v18, v18, v8
	v_div_scale_f32 v10, vcc, v8, v18, v8
	v_rcp_f32_e32 v11, v9
	v_fma_f32 v12, -v9, v11, 1.0
	v_fmac_f32_e32 v11, v12, v11
	v_mul_f32_e32 v12, v10, v11
	v_fma_f32 v13, -v9, v12, v10
	v_fmac_f32_e32 v12, v13, v11
	v_fma_f32 v9, -v9, v12, v10
	v_div_fmas_f32 v9, v9, v11, v12
	v_div_fixup_f32 v8, v9, v18, v8
	v_bfe_u32 v9, v8, 16, 1
	v_cmp_o_f32_e32 vcc, v8, v8
	v_add3_u32 v8, v8, v9, s6
	v_cndmask_b32_sdwa v8, v6, v8, vcc dst_sel:DWORD dst_unused:UNUSED_PAD src0_sel:DWORD src1_sel:WORD_1
	global_store_short v[4:5], v8, off
	s_branch .LBB6_72
.LBB6_75:
	s_endpgm
	.section	.rodata,"a",@progbits
	.p2align	6, 0x0
	.amdhsa_kernel _ZN2at6native12_GLOBAL__N_130segment_reduce_backward_kernelIN3c108BFloat16ElEEvNS0_13ReductionTypeEPT_PKS6_S9_S9_PKT0_SC_llS6_lllllll
		.amdhsa_group_segment_fixed_size 0
		.amdhsa_private_segment_fixed_size 0
		.amdhsa_kernarg_size 392
		.amdhsa_user_sgpr_count 6
		.amdhsa_user_sgpr_private_segment_buffer 1
		.amdhsa_user_sgpr_dispatch_ptr 0
		.amdhsa_user_sgpr_queue_ptr 0
		.amdhsa_user_sgpr_kernarg_segment_ptr 1
		.amdhsa_user_sgpr_dispatch_id 0
		.amdhsa_user_sgpr_flat_scratch_init 0
		.amdhsa_user_sgpr_private_segment_size 0
		.amdhsa_uses_dynamic_stack 0
		.amdhsa_system_sgpr_private_segment_wavefront_offset 0
		.amdhsa_system_sgpr_workgroup_id_x 1
		.amdhsa_system_sgpr_workgroup_id_y 0
		.amdhsa_system_sgpr_workgroup_id_z 0
		.amdhsa_system_sgpr_workgroup_info 0
		.amdhsa_system_vgpr_workitem_id 0
		.amdhsa_next_free_vgpr 35
		.amdhsa_next_free_sgpr 44
		.amdhsa_reserve_vcc 1
		.amdhsa_reserve_flat_scratch 0
		.amdhsa_float_round_mode_32 0
		.amdhsa_float_round_mode_16_64 0
		.amdhsa_float_denorm_mode_32 3
		.amdhsa_float_denorm_mode_16_64 3
		.amdhsa_dx10_clamp 1
		.amdhsa_ieee_mode 1
		.amdhsa_fp16_overflow 0
		.amdhsa_exception_fp_ieee_invalid_op 0
		.amdhsa_exception_fp_denorm_src 0
		.amdhsa_exception_fp_ieee_div_zero 0
		.amdhsa_exception_fp_ieee_overflow 0
		.amdhsa_exception_fp_ieee_underflow 0
		.amdhsa_exception_fp_ieee_inexact 0
		.amdhsa_exception_int_div_zero 0
	.end_amdhsa_kernel
	.section	.text._ZN2at6native12_GLOBAL__N_130segment_reduce_backward_kernelIN3c108BFloat16ElEEvNS0_13ReductionTypeEPT_PKS6_S9_S9_PKT0_SC_llS6_lllllll,"axG",@progbits,_ZN2at6native12_GLOBAL__N_130segment_reduce_backward_kernelIN3c108BFloat16ElEEvNS0_13ReductionTypeEPT_PKS6_S9_S9_PKT0_SC_llS6_lllllll,comdat
.Lfunc_end6:
	.size	_ZN2at6native12_GLOBAL__N_130segment_reduce_backward_kernelIN3c108BFloat16ElEEvNS0_13ReductionTypeEPT_PKS6_S9_S9_PKT0_SC_llS6_lllllll, .Lfunc_end6-_ZN2at6native12_GLOBAL__N_130segment_reduce_backward_kernelIN3c108BFloat16ElEEvNS0_13ReductionTypeEPT_PKS6_S9_S9_PKT0_SC_llS6_lllllll
                                        ; -- End function
	.set _ZN2at6native12_GLOBAL__N_130segment_reduce_backward_kernelIN3c108BFloat16ElEEvNS0_13ReductionTypeEPT_PKS6_S9_S9_PKT0_SC_llS6_lllllll.num_vgpr, 35
	.set _ZN2at6native12_GLOBAL__N_130segment_reduce_backward_kernelIN3c108BFloat16ElEEvNS0_13ReductionTypeEPT_PKS6_S9_S9_PKT0_SC_llS6_lllllll.num_agpr, 0
	.set _ZN2at6native12_GLOBAL__N_130segment_reduce_backward_kernelIN3c108BFloat16ElEEvNS0_13ReductionTypeEPT_PKS6_S9_S9_PKT0_SC_llS6_lllllll.numbered_sgpr, 44
	.set _ZN2at6native12_GLOBAL__N_130segment_reduce_backward_kernelIN3c108BFloat16ElEEvNS0_13ReductionTypeEPT_PKS6_S9_S9_PKT0_SC_llS6_lllllll.num_named_barrier, 0
	.set _ZN2at6native12_GLOBAL__N_130segment_reduce_backward_kernelIN3c108BFloat16ElEEvNS0_13ReductionTypeEPT_PKS6_S9_S9_PKT0_SC_llS6_lllllll.private_seg_size, 0
	.set _ZN2at6native12_GLOBAL__N_130segment_reduce_backward_kernelIN3c108BFloat16ElEEvNS0_13ReductionTypeEPT_PKS6_S9_S9_PKT0_SC_llS6_lllllll.uses_vcc, 1
	.set _ZN2at6native12_GLOBAL__N_130segment_reduce_backward_kernelIN3c108BFloat16ElEEvNS0_13ReductionTypeEPT_PKS6_S9_S9_PKT0_SC_llS6_lllllll.uses_flat_scratch, 0
	.set _ZN2at6native12_GLOBAL__N_130segment_reduce_backward_kernelIN3c108BFloat16ElEEvNS0_13ReductionTypeEPT_PKS6_S9_S9_PKT0_SC_llS6_lllllll.has_dyn_sized_stack, 0
	.set _ZN2at6native12_GLOBAL__N_130segment_reduce_backward_kernelIN3c108BFloat16ElEEvNS0_13ReductionTypeEPT_PKS6_S9_S9_PKT0_SC_llS6_lllllll.has_recursion, 0
	.set _ZN2at6native12_GLOBAL__N_130segment_reduce_backward_kernelIN3c108BFloat16ElEEvNS0_13ReductionTypeEPT_PKS6_S9_S9_PKT0_SC_llS6_lllllll.has_indirect_call, 0
	.section	.AMDGPU.csdata,"",@progbits
; Kernel info:
; codeLenInByte = 5460
; TotalNumSgprs: 48
; NumVgprs: 35
; ScratchSize: 0
; MemoryBound: 0
; FloatMode: 240
; IeeeMode: 1
; LDSByteSize: 0 bytes/workgroup (compile time only)
; SGPRBlocks: 5
; VGPRBlocks: 8
; NumSGPRsForWavesPerEU: 48
; NumVGPRsForWavesPerEU: 35
; Occupancy: 7
; WaveLimiterHint : 1
; COMPUTE_PGM_RSRC2:SCRATCH_EN: 0
; COMPUTE_PGM_RSRC2:USER_SGPR: 6
; COMPUTE_PGM_RSRC2:TRAP_HANDLER: 0
; COMPUTE_PGM_RSRC2:TGID_X_EN: 1
; COMPUTE_PGM_RSRC2:TGID_Y_EN: 0
; COMPUTE_PGM_RSRC2:TGID_Z_EN: 0
; COMPUTE_PGM_RSRC2:TIDIG_COMP_CNT: 0
	.section	.text._ZN2at6native12_GLOBAL__N_130segment_reduce_backward_kernelIN3c104HalfElEEvNS0_13ReductionTypeEPT_PKS6_S9_S9_PKT0_SC_llS6_lllllll,"axG",@progbits,_ZN2at6native12_GLOBAL__N_130segment_reduce_backward_kernelIN3c104HalfElEEvNS0_13ReductionTypeEPT_PKS6_S9_S9_PKT0_SC_llS6_lllllll,comdat
	.globl	_ZN2at6native12_GLOBAL__N_130segment_reduce_backward_kernelIN3c104HalfElEEvNS0_13ReductionTypeEPT_PKS6_S9_S9_PKT0_SC_llS6_lllllll ; -- Begin function _ZN2at6native12_GLOBAL__N_130segment_reduce_backward_kernelIN3c104HalfElEEvNS0_13ReductionTypeEPT_PKS6_S9_S9_PKT0_SC_llS6_lllllll
	.p2align	8
	.type	_ZN2at6native12_GLOBAL__N_130segment_reduce_backward_kernelIN3c104HalfElEEvNS0_13ReductionTypeEPT_PKS6_S9_S9_PKT0_SC_llS6_lllllll,@function
_ZN2at6native12_GLOBAL__N_130segment_reduce_backward_kernelIN3c104HalfElEEvNS0_13ReductionTypeEPT_PKS6_S9_S9_PKT0_SC_llS6_lllllll: ; @_ZN2at6native12_GLOBAL__N_130segment_reduce_backward_kernelIN3c104HalfElEEvNS0_13ReductionTypeEPT_PKS6_S9_S9_PKT0_SC_llS6_lllllll
; %bb.0:
	s_load_dword s0, s[4:5], 0x94
	s_load_dwordx16 s[8:23], s[4:5], 0x8
	s_load_dwordx8 s[24:31], s[4:5], 0x50
	v_mov_b32_e32 v2, 0
	v_mov_b32_e32 v1, v2
	s_waitcnt lgkmcnt(0)
	s_and_b32 s0, s0, 0xffff
	v_mov_b32_e32 v3, s6
	v_mad_u64_u32 v[4:5], s[0:1], s0, v3, v[0:1]
	s_mul_i32 s0, s24, s21
	s_mul_hi_u32 s1, s24, s20
	s_add_i32 s0, s1, s0
	s_mul_i32 s1, s25, s20
	s_mul_i32 s2, s24, s20
	s_add_i32 s0, s0, s1
	s_mul_i32 s1, s2, s27
	s_mul_hi_u32 s3, s2, s26
	s_add_i32 s1, s3, s1
	s_mul_i32 s0, s0, s26
	s_add_i32 s1, s1, s0
	s_mul_i32 s0, s2, s26
	v_cmp_gt_i64_e32 vcc, s[0:1], v[4:5]
	s_and_saveexec_b64 s[0:1], vcc
	s_cbranch_execz .LBB7_75
; %bb.1:
	v_or_b32_e32 v3, s27, v5
	v_cmp_ne_u64_e32 vcc, 0, v[2:3]
                                        ; implicit-def: $vgpr6_vgpr7
	s_and_saveexec_b64 s[0:1], vcc
	s_xor_b64 s[2:3], exec, s[0:1]
	s_cbranch_execz .LBB7_3
; %bb.2:
	s_ashr_i32 s6, s27, 31
	s_add_u32 s0, s26, s6
	s_mov_b32 s7, s6
	s_addc_u32 s1, s27, s6
	s_xor_b64 s[24:25], s[0:1], s[6:7]
	v_cvt_f32_u32_e32 v0, s24
	v_cvt_f32_u32_e32 v1, s25
	s_sub_u32 s7, 0, s24
	s_subb_u32 s33, 0, s25
	v_ashrrev_i32_e32 v6, 31, v5
	v_madmk_f32 v0, v1, 0x4f800000, v0
	v_rcp_f32_e32 v0, v0
	v_mul_f32_e32 v0, 0x5f7ffffc, v0
	v_mul_f32_e32 v1, 0x2f800000, v0
	v_trunc_f32_e32 v1, v1
	v_madmk_f32 v0, v1, 0xcf800000, v0
	v_cvt_u32_f32_e32 v1, v1
	v_cvt_u32_f32_e32 v0, v0
	v_readfirstlane_b32 s34, v1
	v_readfirstlane_b32 s0, v0
	s_mul_i32 s1, s7, s34
	s_mul_hi_u32 s36, s7, s0
	s_mul_i32 s35, s33, s0
	s_add_i32 s1, s36, s1
	s_add_i32 s1, s1, s35
	s_mul_i32 s37, s7, s0
	s_mul_i32 s36, s0, s1
	s_mul_hi_u32 s38, s0, s37
	s_mul_hi_u32 s35, s0, s1
	s_add_u32 s36, s38, s36
	s_addc_u32 s35, 0, s35
	s_mul_hi_u32 s39, s34, s37
	s_mul_i32 s37, s34, s37
	s_add_u32 s36, s36, s37
	s_mul_hi_u32 s38, s34, s1
	s_addc_u32 s35, s35, s39
	s_addc_u32 s36, s38, 0
	s_mul_i32 s1, s34, s1
	s_add_u32 s1, s35, s1
	s_addc_u32 s35, 0, s36
	s_add_u32 s36, s0, s1
	s_cselect_b64 s[0:1], -1, 0
	s_cmp_lg_u64 s[0:1], 0
	s_addc_u32 s34, s34, s35
	s_mul_i32 s0, s7, s34
	s_mul_hi_u32 s1, s7, s36
	s_add_i32 s0, s1, s0
	s_mul_i32 s33, s33, s36
	s_add_i32 s0, s0, s33
	s_mul_i32 s7, s7, s36
	s_mul_hi_u32 s33, s34, s7
	s_mul_i32 s35, s34, s7
	s_mul_i32 s38, s36, s0
	s_mul_hi_u32 s7, s36, s7
	s_mul_hi_u32 s37, s36, s0
	s_add_u32 s7, s7, s38
	s_addc_u32 s37, 0, s37
	s_add_u32 s7, s7, s35
	s_mul_hi_u32 s1, s34, s0
	s_addc_u32 s7, s37, s33
	s_addc_u32 s1, s1, 0
	s_mul_i32 s0, s34, s0
	s_add_u32 s0, s7, s0
	s_addc_u32 s7, 0, s1
	s_add_u32 s33, s36, s0
	s_cselect_b64 s[0:1], -1, 0
	s_cmp_lg_u64 s[0:1], 0
	v_add_co_u32_e32 v0, vcc, v4, v6
	s_addc_u32 s7, s34, s7
	v_xor_b32_e32 v7, v0, v6
	v_mad_u64_u32 v[0:1], s[0:1], v7, s7, 0
	v_mul_hi_u32 v3, v7, s33
	v_addc_co_u32_e32 v2, vcc, v5, v6, vcc
	v_xor_b32_e32 v8, v2, v6
	v_add_co_u32_e32 v9, vcc, v3, v0
	v_addc_co_u32_e32 v10, vcc, 0, v1, vcc
	v_mad_u64_u32 v[0:1], s[0:1], v8, s33, 0
	v_mad_u64_u32 v[2:3], s[0:1], v8, s7, 0
	v_add_co_u32_e32 v0, vcc, v9, v0
	v_addc_co_u32_e32 v0, vcc, v10, v1, vcc
	v_addc_co_u32_e32 v1, vcc, 0, v3, vcc
	v_add_co_u32_e32 v2, vcc, v0, v2
	v_addc_co_u32_e32 v3, vcc, 0, v1, vcc
	v_mul_lo_u32 v9, s25, v2
	v_mul_lo_u32 v10, s24, v3
	v_mad_u64_u32 v[0:1], s[0:1], s24, v2, 0
	v_add3_u32 v1, v1, v10, v9
	v_sub_u32_e32 v9, v8, v1
	v_mov_b32_e32 v10, s25
	v_sub_co_u32_e32 v0, vcc, v7, v0
	v_subb_co_u32_e64 v7, s[0:1], v9, v10, vcc
	v_subrev_co_u32_e64 v9, s[0:1], s24, v0
	v_subbrev_co_u32_e64 v7, s[0:1], 0, v7, s[0:1]
	v_cmp_le_u32_e64 s[0:1], s25, v7
	v_cndmask_b32_e64 v10, 0, -1, s[0:1]
	v_cmp_le_u32_e64 s[0:1], s24, v9
	v_cndmask_b32_e64 v9, 0, -1, s[0:1]
	v_cmp_eq_u32_e64 s[0:1], s25, v7
	v_cndmask_b32_e64 v7, v10, v9, s[0:1]
	v_add_co_u32_e64 v9, s[0:1], 2, v2
	v_subb_co_u32_e32 v1, vcc, v8, v1, vcc
	v_addc_co_u32_e64 v10, s[0:1], 0, v3, s[0:1]
	v_cmp_le_u32_e32 vcc, s25, v1
	v_add_co_u32_e64 v11, s[0:1], 1, v2
	v_cndmask_b32_e64 v8, 0, -1, vcc
	v_cmp_le_u32_e32 vcc, s24, v0
	v_addc_co_u32_e64 v12, s[0:1], 0, v3, s[0:1]
	v_cndmask_b32_e64 v0, 0, -1, vcc
	v_cmp_eq_u32_e32 vcc, s25, v1
	v_cmp_ne_u32_e64 s[0:1], 0, v7
	v_cndmask_b32_e32 v0, v8, v0, vcc
	v_cmp_ne_u32_e32 vcc, 0, v0
	v_cndmask_b32_e64 v1, v11, v9, s[0:1]
	v_cndmask_b32_e64 v7, v12, v10, s[0:1]
	v_cndmask_b32_e32 v1, v2, v1, vcc
	v_xor_b32_e32 v2, s6, v6
	v_cndmask_b32_e32 v0, v3, v7, vcc
	v_xor_b32_e32 v1, v1, v2
	v_xor_b32_e32 v0, v0, v2
	v_sub_co_u32_e32 v6, vcc, v1, v2
	v_subb_co_u32_e32 v7, vcc, v0, v2, vcc
.LBB7_3:
	s_andn2_saveexec_b64 s[0:1], s[2:3]
	s_cbranch_execz .LBB7_5
; %bb.4:
	v_cvt_f32_u32_e32 v0, s26
	s_sub_i32 s2, 0, s26
	v_mov_b32_e32 v7, 0
	v_rcp_iflag_f32_e32 v0, v0
	v_mul_f32_e32 v0, 0x4f7ffffe, v0
	v_cvt_u32_f32_e32 v0, v0
	v_mul_lo_u32 v1, s2, v0
	v_mul_hi_u32 v1, v0, v1
	v_add_u32_e32 v0, v0, v1
	v_mul_hi_u32 v0, v4, v0
	v_mul_lo_u32 v1, v0, s26
	v_add_u32_e32 v2, 1, v0
	v_sub_u32_e32 v1, v4, v1
	v_subrev_u32_e32 v3, s26, v1
	v_cmp_le_u32_e32 vcc, s26, v1
	v_cndmask_b32_e32 v1, v1, v3, vcc
	v_cndmask_b32_e32 v0, v0, v2, vcc
	v_add_u32_e32 v2, 1, v0
	v_cmp_le_u32_e32 vcc, s26, v1
	v_cndmask_b32_e32 v6, v0, v2, vcc
.LBB7_5:
	s_or_b64 exec, exec, s[0:1]
	v_or_b32_e32 v1, s21, v7
	v_mov_b32_e32 v0, 0
	v_cmp_ne_u64_e32 vcc, 0, v[0:1]
                                        ; implicit-def: $vgpr8_vgpr9
	s_and_saveexec_b64 s[0:1], vcc
	s_xor_b64 s[2:3], exec, s[0:1]
	s_cbranch_execz .LBB7_7
; %bb.6:
	s_ashr_i32 s6, s21, 31
	s_add_u32 s0, s20, s6
	s_mov_b32 s7, s6
	s_addc_u32 s1, s21, s6
	s_xor_b64 s[24:25], s[0:1], s[6:7]
	v_cvt_f32_u32_e32 v0, s24
	v_cvt_f32_u32_e32 v1, s25
	s_sub_u32 s7, 0, s24
	s_subb_u32 s33, 0, s25
	v_ashrrev_i32_e32 v8, 31, v7
	v_madmk_f32 v0, v1, 0x4f800000, v0
	v_rcp_f32_e32 v0, v0
	v_mul_f32_e32 v0, 0x5f7ffffc, v0
	v_mul_f32_e32 v1, 0x2f800000, v0
	v_trunc_f32_e32 v1, v1
	v_madmk_f32 v0, v1, 0xcf800000, v0
	v_cvt_u32_f32_e32 v1, v1
	v_cvt_u32_f32_e32 v0, v0
	v_readfirstlane_b32 s34, v1
	v_readfirstlane_b32 s0, v0
	s_mul_i32 s1, s7, s34
	s_mul_hi_u32 s36, s7, s0
	s_mul_i32 s35, s33, s0
	s_add_i32 s1, s36, s1
	s_add_i32 s1, s1, s35
	s_mul_i32 s37, s7, s0
	s_mul_i32 s36, s0, s1
	s_mul_hi_u32 s38, s0, s37
	s_mul_hi_u32 s35, s0, s1
	s_add_u32 s36, s38, s36
	s_addc_u32 s35, 0, s35
	s_mul_hi_u32 s39, s34, s37
	s_mul_i32 s37, s34, s37
	s_add_u32 s36, s36, s37
	s_mul_hi_u32 s38, s34, s1
	s_addc_u32 s35, s35, s39
	s_addc_u32 s36, s38, 0
	s_mul_i32 s1, s34, s1
	s_add_u32 s1, s35, s1
	s_addc_u32 s35, 0, s36
	s_add_u32 s36, s0, s1
	s_cselect_b64 s[0:1], -1, 0
	s_cmp_lg_u64 s[0:1], 0
	s_addc_u32 s34, s34, s35
	s_mul_i32 s0, s7, s34
	s_mul_hi_u32 s1, s7, s36
	s_add_i32 s0, s1, s0
	s_mul_i32 s33, s33, s36
	s_add_i32 s0, s0, s33
	s_mul_i32 s7, s7, s36
	s_mul_hi_u32 s33, s34, s7
	s_mul_i32 s35, s34, s7
	s_mul_i32 s38, s36, s0
	s_mul_hi_u32 s7, s36, s7
	s_mul_hi_u32 s37, s36, s0
	s_add_u32 s7, s7, s38
	s_addc_u32 s37, 0, s37
	s_add_u32 s7, s7, s35
	s_mul_hi_u32 s1, s34, s0
	s_addc_u32 s7, s37, s33
	s_addc_u32 s1, s1, 0
	s_mul_i32 s0, s34, s0
	s_add_u32 s0, s7, s0
	s_addc_u32 s7, 0, s1
	s_add_u32 s33, s36, s0
	s_cselect_b64 s[0:1], -1, 0
	s_cmp_lg_u64 s[0:1], 0
	v_add_co_u32_e32 v0, vcc, v6, v8
	s_addc_u32 s7, s34, s7
	v_xor_b32_e32 v9, v0, v8
	v_mad_u64_u32 v[0:1], s[0:1], v9, s7, 0
	v_mul_hi_u32 v3, v9, s33
	v_addc_co_u32_e32 v2, vcc, v7, v8, vcc
	v_xor_b32_e32 v10, v2, v8
	v_add_co_u32_e32 v11, vcc, v3, v0
	v_addc_co_u32_e32 v12, vcc, 0, v1, vcc
	v_mad_u64_u32 v[0:1], s[0:1], v10, s33, 0
	v_mad_u64_u32 v[2:3], s[0:1], v10, s7, 0
	v_add_co_u32_e32 v0, vcc, v11, v0
	v_addc_co_u32_e32 v0, vcc, v12, v1, vcc
	v_addc_co_u32_e32 v1, vcc, 0, v3, vcc
	v_add_co_u32_e32 v2, vcc, v0, v2
	v_addc_co_u32_e32 v3, vcc, 0, v1, vcc
	v_mul_lo_u32 v11, s25, v2
	v_mul_lo_u32 v12, s24, v3
	v_mad_u64_u32 v[0:1], s[0:1], s24, v2, 0
	v_add3_u32 v1, v1, v12, v11
	v_sub_u32_e32 v11, v10, v1
	v_mov_b32_e32 v12, s25
	v_sub_co_u32_e32 v0, vcc, v9, v0
	v_subb_co_u32_e64 v9, s[0:1], v11, v12, vcc
	v_subrev_co_u32_e64 v11, s[0:1], s24, v0
	v_subbrev_co_u32_e64 v9, s[0:1], 0, v9, s[0:1]
	v_cmp_le_u32_e64 s[0:1], s25, v9
	v_cndmask_b32_e64 v12, 0, -1, s[0:1]
	v_cmp_le_u32_e64 s[0:1], s24, v11
	v_cndmask_b32_e64 v11, 0, -1, s[0:1]
	v_cmp_eq_u32_e64 s[0:1], s25, v9
	v_cndmask_b32_e64 v9, v12, v11, s[0:1]
	v_add_co_u32_e64 v11, s[0:1], 2, v2
	v_subb_co_u32_e32 v1, vcc, v10, v1, vcc
	v_addc_co_u32_e64 v12, s[0:1], 0, v3, s[0:1]
	v_cmp_le_u32_e32 vcc, s25, v1
	v_add_co_u32_e64 v13, s[0:1], 1, v2
	v_cndmask_b32_e64 v10, 0, -1, vcc
	v_cmp_le_u32_e32 vcc, s24, v0
	v_addc_co_u32_e64 v14, s[0:1], 0, v3, s[0:1]
	v_cndmask_b32_e64 v0, 0, -1, vcc
	v_cmp_eq_u32_e32 vcc, s25, v1
	v_cmp_ne_u32_e64 s[0:1], 0, v9
	v_cndmask_b32_e32 v0, v10, v0, vcc
	v_cmp_ne_u32_e32 vcc, 0, v0
	v_cndmask_b32_e64 v1, v13, v11, s[0:1]
	v_cndmask_b32_e64 v9, v14, v12, s[0:1]
	v_cndmask_b32_e32 v1, v2, v1, vcc
	v_xor_b32_e32 v2, s6, v8
	v_cndmask_b32_e32 v0, v3, v9, vcc
	v_xor_b32_e32 v1, v1, v2
	v_xor_b32_e32 v0, v0, v2
	v_sub_co_u32_e32 v8, vcc, v1, v2
	v_subb_co_u32_e32 v9, vcc, v0, v2, vcc
.LBB7_7:
	s_andn2_saveexec_b64 s[0:1], s[2:3]
	s_cbranch_execz .LBB7_9
; %bb.8:
	v_cvt_f32_u32_e32 v0, s20
	s_sub_i32 s2, 0, s20
	v_mov_b32_e32 v9, 0
	v_rcp_iflag_f32_e32 v0, v0
	v_mul_f32_e32 v0, 0x4f7ffffe, v0
	v_cvt_u32_f32_e32 v0, v0
	v_mul_lo_u32 v1, s2, v0
	v_mul_hi_u32 v1, v0, v1
	v_add_u32_e32 v0, v0, v1
	v_mul_hi_u32 v0, v6, v0
	v_mul_lo_u32 v1, v0, s20
	v_add_u32_e32 v2, 1, v0
	v_sub_u32_e32 v1, v6, v1
	v_subrev_u32_e32 v3, s20, v1
	v_cmp_le_u32_e32 vcc, s20, v1
	v_cndmask_b32_e32 v1, v1, v3, vcc
	v_cndmask_b32_e32 v0, v0, v2, vcc
	v_add_u32_e32 v2, 1, v0
	v_cmp_le_u32_e32 vcc, s20, v1
	v_cndmask_b32_e32 v8, v0, v2, vcc
.LBB7_9:
	s_or_b64 exec, exec, s[0:1]
	v_mul_lo_u32 v2, v9, s20
	v_mul_lo_u32 v3, v8, s21
	v_mad_u64_u32 v[0:1], s[0:1], v8, s20, 0
	v_add3_u32 v3, v1, v3, v2
	v_mul_lo_u32 v12, v3, s22
	v_mul_lo_u32 v13, v0, s23
	v_mad_u64_u32 v[1:2], s[0:1], v0, s22, 0
	v_sub_co_u32_e32 v10, vcc, v6, v0
	v_add3_u32 v2, v2, v13, v12
	v_lshlrev_b64 v[0:1], 3, v[1:2]
	v_subb_co_u32_e32 v11, vcc, v7, v3, vcc
	v_mov_b32_e32 v2, s17
	v_add_co_u32_e32 v3, vcc, s16, v0
	v_addc_co_u32_e32 v12, vcc, v2, v1, vcc
	v_lshlrev_b64 v[0:1], 3, v[10:11]
	v_add_co_u32_e32 v2, vcc, v3, v0
	v_addc_co_u32_e32 v3, vcc, v12, v1, vcc
	global_load_dwordx2 v[14:15], v[2:3], off
	s_waitcnt vmcnt(0)
	v_cmp_ne_u64_e32 vcc, 0, v[14:15]
	s_and_b64 exec, exec, vcc
	s_cbranch_execz .LBB7_75
; %bb.10:
	s_load_dwordx8 s[36:43], s[4:5], 0x70
	s_add_u32 s0, s20, 1
	s_addc_u32 s1, s21, 0
	s_load_dword s22, s[4:5], 0x0
	s_waitcnt lgkmcnt(0)
	s_mul_i32 s1, s40, s1
	s_mul_hi_u32 s2, s40, s0
	s_mul_i32 s3, s41, s0
	s_add_i32 s1, s2, s1
	s_add_i32 s1, s1, s3
	s_mul_i32 s0, s40, s0
	v_mul_lo_u32 v12, s1, v8
	v_mul_lo_u32 v13, s0, v9
	v_mad_u64_u32 v[2:3], s[0:1], s0, v8, 0
	v_mad_u64_u32 v[16:17], s[0:1], v8, s38, v[10:11]
	v_add3_u32 v3, v3, v13, v12
	v_lshlrev_b64 v[2:3], 3, v[2:3]
	v_mov_b32_e32 v12, s19
	v_add_co_u32_e32 v2, vcc, s18, v2
	v_addc_co_u32_e32 v3, vcc, v12, v3, vcc
	v_add_co_u32_e32 v0, vcc, v2, v0
	v_addc_co_u32_e32 v1, vcc, v3, v1, vcc
	global_load_dwordx4 v[0:3], v[0:1], off
	v_mul_lo_u32 v12, v7, s26
	v_mul_lo_u32 v13, v6, s27
	v_mad_u64_u32 v[6:7], s[0:1], v6, s26, 0
	v_add3_u32 v7, v7, v13, v12
	v_mul_lo_u32 v12, v8, s39
	v_mul_lo_u32 v13, v9, s38
	v_sub_co_u32_e32 v10, vcc, v4, v6
	v_subb_co_u32_e32 v11, vcc, v5, v7, vcc
	v_add3_u32 v17, v13, v17, v12
	v_mad_u64_u32 v[12:13], s[0:1], v16, s36, v[10:11]
	v_mul_lo_u32 v16, v16, s37
	v_mul_lo_u32 v17, v17, s36
	s_and_b32 s0, s22, -3
	s_cmp_lg_u32 s0, 0
	v_add3_u32 v13, v17, v13, v16
	s_cbranch_scc0 .LBB7_25
; %bb.11:
	s_cmp_lt_i32 s22, 3
	s_mov_b64 s[0:1], -1
	s_cbranch_scc1 .LBB7_39
; %bb.12:
	s_cmp_lt_i32 s22, 4
	s_cbranch_scc1 .LBB7_28
; %bb.13:
	s_cmp_eq_u32 s22, 4
	s_cbranch_scc0 .LBB7_27
; %bb.14:
	s_waitcnt vmcnt(0)
	v_cmp_gt_i64_e32 vcc, v[2:3], v[0:1]
	s_and_saveexec_b64 s[0:1], vcc
	s_cbranch_execz .LBB7_26
; %bb.15:
	v_lshlrev_b64 v[18:19], 1, v[12:13]
	v_mov_b32_e32 v17, s11
	v_add_co_u32_e32 v16, vcc, s10, v18
	v_addc_co_u32_e32 v17, vcc, v17, v19, vcc
	v_mov_b32_e32 v20, s13
	v_add_co_u32_e32 v18, vcc, s12, v18
	v_addc_co_u32_e32 v19, vcc, v20, v19, vcc
	global_load_ushort v28, v[16:17], off
	global_load_ushort v29, v[18:19], off
	v_mul_lo_u32 v18, s31, v8
	v_mul_lo_u32 v19, s30, v9
	v_mad_u64_u32 v[20:21], s[2:3], s30, v8, 0
	s_load_dword s23, s[4:5], 0x48
	v_lshlrev_b64 v[22:23], 1, v[0:1]
	v_add3_u32 v21, v21, v19, v18
	v_mul_lo_u32 v31, v20, s29
	v_mad_u64_u32 v[18:19], s[4:5], v20, s28, v[10:11]
	v_mul_lo_u32 v32, v21, s28
	v_lshlrev_b64 v[20:21], 1, v[20:21]
	v_lshlrev_b64 v[24:25], 1, v[4:5]
	v_add_co_u32_e32 v20, vcc, v20, v22
	v_addc_co_u32_e32 v21, vcc, v21, v23, vcc
	v_mul_lo_u32 v22, s28, v21
	v_mul_lo_u32 v23, s29, v20
	v_mad_u64_u32 v[20:21], s[4:5], s28, v20, v[24:25]
	v_lshlrev_b64 v[26:27], 1, v[6:7]
	v_mov_b32_e32 v30, s15
	v_add3_u32 v21, v23, v21, v22
	v_sub_co_u32_e32 v20, vcc, v20, v26
	v_subb_co_u32_e32 v21, vcc, v21, v27, vcc
	v_add_co_u32_e32 v20, vcc, s14, v20
	v_mov_b32_e32 v23, v1
	s_lshl_b64 s[2:3], s[28:29], 1
	s_mov_b64 s[4:5], 0
	s_mov_b64 s[6:7], 0
	v_add3_u32 v19, v32, v19, v31
	v_addc_co_u32_e32 v21, vcc, v30, v21, vcc
	v_mov_b32_e32 v22, v0
	s_waitcnt vmcnt(0)
	v_mul_f16_e32 v30, v28, v29
	s_branch .LBB7_18
.LBB7_16:                               ;   in Loop: Header=BB7_18 Depth=1
	s_or_b64 exec, exec, s[18:19]
	global_load_ushort v26, v[16:17], off
	s_waitcnt vmcnt(0)
	v_mul_f16_e32 v26, v26, v31
.LBB7_17:                               ;   in Loop: Header=BB7_18 Depth=1
	s_or_b64 exec, exec, s[16:17]
	v_mov_b32_e32 v27, s9
	v_add_co_u32_e32 v24, vcc, s8, v24
	v_addc_co_u32_e32 v25, vcc, v27, v25, vcc
	v_add_co_u32_e32 v22, vcc, 1, v22
	v_addc_co_u32_e32 v23, vcc, 0, v23, vcc
	s_add_u32 s6, s6, 1
	v_cmp_ge_i64_e32 vcc, v[22:23], v[2:3]
	s_addc_u32 s7, s7, 0
	s_or_b64 s[4:5], vcc, s[4:5]
	global_store_short v[24:25], v26, off
	s_andn2_b64 exec, exec, s[4:5]
	s_cbranch_execz .LBB7_26
.LBB7_18:                               ; =>This Loop Header: Depth=1
                                        ;     Child Loop BB7_23 Depth 2
	v_mad_u64_u32 v[24:25], s[16:17], v22, s28, v[18:19]
	v_mul_lo_u32 v26, v22, s29
	v_mul_lo_u32 v27, v23, s28
	v_add3_u32 v25, v27, v25, v26
	v_lshlrev_b64 v[24:25], 1, v[24:25]
	v_mov_b32_e32 v27, s15
	v_add_co_u32_e32 v26, vcc, s14, v24
	v_addc_co_u32_e32 v27, vcc, v27, v25, vcc
	global_load_ushort v27, v[26:27], off
                                        ; implicit-def: $vgpr26
	s_waitcnt vmcnt(0)
	v_cmp_lg_f16_e32 vcc, 0, v27
	s_and_saveexec_b64 s[16:17], vcc
	s_xor_b64 s[16:17], exec, s[16:17]
	s_cbranch_execz .LBB7_20
; %bb.19:                               ;   in Loop: Header=BB7_18 Depth=1
	v_cvt_f32_f16_e32 v26, v27
	v_cvt_f32_f16_e32 v28, v30
	v_rcp_f32_e32 v29, v26
	v_mul_f32_e32 v31, v28, v29
	v_mad_f32 v32, -v26, v31, v28
	v_mac_f32_e32 v31, v32, v29
	v_mad_f32 v26, -v26, v31, v28
	v_mul_f32_e32 v26, v26, v29
	v_and_b32_e32 v26, 0xff800000, v26
	v_add_f32_e32 v26, v26, v31
	v_cvt_f16_f32_e32 v26, v26
	v_div_fixup_f16 v26, v26, v27, v30
.LBB7_20:                               ;   in Loop: Header=BB7_18 Depth=1
	s_andn2_saveexec_b64 s[16:17], s[16:17]
	s_cbranch_execz .LBB7_17
; %bb.21:                               ;   in Loop: Header=BB7_18 Depth=1
	v_mov_b32_e32 v27, v21
	v_mov_b32_e32 v29, v1
	s_mov_b64 s[18:19], 0
	s_waitcnt lgkmcnt(0)
	v_mov_b32_e32 v31, s23
	s_mov_b64 s[20:21], s[6:7]
	v_mov_b32_e32 v26, v20
	v_mov_b32_e32 v28, v0
	s_branch .LBB7_23
.LBB7_22:                               ;   in Loop: Header=BB7_23 Depth=2
	v_add_co_u32_e32 v28, vcc, 1, v28
	v_addc_co_u32_e32 v29, vcc, 0, v29, vcc
	s_add_u32 s20, s20, -1
	v_cmp_ge_i64_e32 vcc, v[28:29], v[2:3]
	s_addc_u32 s21, s21, -1
	v_mov_b32_e32 v32, s3
	s_or_b64 s[18:19], vcc, s[18:19]
	v_add_co_u32_e32 v26, vcc, s2, v26
	v_addc_co_u32_e32 v27, vcc, v27, v32, vcc
	s_andn2_b64 exec, exec, s[18:19]
	s_cbranch_execz .LBB7_16
.LBB7_23:                               ;   Parent Loop BB7_18 Depth=1
                                        ; =>  This Inner Loop Header: Depth=2
	s_cmp_eq_u64 s[20:21], 0
	s_cbranch_scc1 .LBB7_22
; %bb.24:                               ;   in Loop: Header=BB7_23 Depth=2
	global_load_ushort v32, v[26:27], off
	s_waitcnt vmcnt(0)
	v_mul_f16_e32 v31, v32, v31
	s_branch .LBB7_22
.LBB7_25:
	s_cbranch_execnz .LBB7_51
	s_branch .LBB7_75
.LBB7_26:
	s_or_b64 exec, exec, s[0:1]
.LBB7_27:
	s_mov_b64 s[0:1], 0
.LBB7_28:
	s_andn2_b64 vcc, exec, s[0:1]
	s_cbranch_vccnz .LBB7_38
; %bb.29:
	s_waitcnt vmcnt(0)
	v_cmp_gt_i64_e32 vcc, v[2:3], v[0:1]
	s_and_saveexec_b64 s[2:3], vcc
	s_cbranch_execz .LBB7_37
; %bb.30:
	v_lshlrev_b64 v[16:17], 1, v[12:13]
	v_mov_b32_e32 v18, s11
	v_add_co_u32_e32 v16, vcc, s10, v16
	v_addc_co_u32_e32 v17, vcc, v18, v17, vcc
	global_load_ushort v26, v[16:17], off
	v_mul_lo_u32 v18, s31, v8
	v_mul_lo_u32 v19, s30, v9
	v_mad_u64_u32 v[16:17], s[0:1], s30, v8, 0
	s_cmp_eq_u64 s[28:29], 1
	s_cselect_b64 s[0:1], -1, 0
	v_add3_u32 v17, v17, v19, v18
	v_sub_co_u32_e32 v18, vcc, v2, v0
	v_subb_co_u32_e32 v19, vcc, v3, v1, vcc
	v_cmp_lt_u64_e32 vcc, 1, v[18:19]
	v_mov_b32_e32 v21, v1
	s_and_b64 s[6:7], vcc, s[0:1]
	s_mov_b64 s[0:1], -1
	v_mov_b32_e32 v20, v0
	s_and_saveexec_b64 s[4:5], s[6:7]
	s_cbranch_execz .LBB7_34
; %bb.31:
	v_mul_lo_u32 v22, v17, s28
	v_mul_lo_u32 v23, v16, s29
	v_mad_u64_u32 v[20:21], s[0:1], v16, s28, 0
	s_mov_b32 s0, 0x5040100
	s_waitcnt vmcnt(0)
	v_perm_b32 v27, v26, v26, s0
	v_add3_u32 v21, v21, v23, v22
	v_lshlrev_b64 v[20:21], 1, v[20:21]
	v_mov_b32_e32 v22, s9
	v_add_co_u32_e32 v23, vcc, s8, v20
	v_addc_co_u32_e32 v22, vcc, v22, v21, vcc
	v_lshlrev_b64 v[20:21], 1, v[10:11]
	s_mov_b64 s[6:7], 0
	v_add_co_u32_e32 v24, vcc, v23, v20
	v_addc_co_u32_e32 v25, vcc, v22, v21, vcc
	v_lshlrev_b64 v[22:23], 1, v[0:1]
	v_mov_b32_e32 v21, v19
	v_add_co_u32_e32 v22, vcc, v24, v22
	v_and_b32_e32 v20, -2, v18
	v_addc_co_u32_e32 v23, vcc, v25, v23, vcc
	v_mov_b32_e32 v25, v21
	v_mov_b32_e32 v24, v20
.LBB7_32:                               ; =>This Inner Loop Header: Depth=1
	v_add_co_u32_e64 v24, s[0:1], -2, v24
	v_addc_co_u32_e64 v25, s[0:1], -1, v25, s[0:1]
	v_cmp_eq_u64_e64 s[0:1], 0, v[24:25]
	global_store_dword v[22:23], v27, off
	v_add_co_u32_e32 v22, vcc, 4, v22
	s_or_b64 s[6:7], s[0:1], s[6:7]
	v_addc_co_u32_e32 v23, vcc, 0, v23, vcc
	s_andn2_b64 exec, exec, s[6:7]
	s_cbranch_execnz .LBB7_32
; %bb.33:
	s_or_b64 exec, exec, s[6:7]
	v_cmp_ne_u64_e32 vcc, v[18:19], v[20:21]
	v_add_co_u32_e64 v20, s[0:1], v0, v20
	v_addc_co_u32_e64 v21, s[0:1], v1, v21, s[0:1]
	s_orn2_b64 s[0:1], vcc, exec
.LBB7_34:
	s_or_b64 exec, exec, s[4:5]
	s_and_b64 exec, exec, s[0:1]
	s_cbranch_execz .LBB7_37
; %bb.35:
	v_lshlrev_b64 v[16:17], 1, v[16:17]
	v_lshlrev_b64 v[18:19], 1, v[20:21]
	s_lshl_b64 s[4:5], s[28:29], 1
	v_add_co_u32_e32 v18, vcc, v16, v18
	v_addc_co_u32_e32 v19, vcc, v17, v19, vcc
	v_lshlrev_b64 v[16:17], 1, v[4:5]
	v_mul_lo_u32 v19, s28, v19
	v_mul_lo_u32 v22, s29, v18
	v_mad_u64_u32 v[16:17], s[0:1], s28, v18, v[16:17]
	s_mov_b64 s[6:7], 0
	v_add3_u32 v19, v22, v17, v19
	v_lshlrev_b64 v[17:18], 1, v[6:7]
	v_sub_co_u32_e32 v16, vcc, v16, v17
	v_subb_co_u32_e32 v17, vcc, v19, v18, vcc
	v_mov_b32_e32 v18, s9
	v_add_co_u32_e32 v16, vcc, s8, v16
	v_addc_co_u32_e32 v17, vcc, v18, v17, vcc
	v_mov_b32_e32 v18, s5
	s_waitcnt vmcnt(0)
.LBB7_36:                               ; =>This Inner Loop Header: Depth=1
	v_add_co_u32_e32 v20, vcc, 1, v20
	v_addc_co_u32_e32 v21, vcc, 0, v21, vcc
	v_cmp_ge_i64_e64 s[0:1], v[20:21], v[2:3]
	global_store_short v[16:17], v26, off
	v_add_co_u32_e32 v16, vcc, s4, v16
	s_or_b64 s[6:7], s[0:1], s[6:7]
	v_addc_co_u32_e32 v17, vcc, v17, v18, vcc
	s_andn2_b64 exec, exec, s[6:7]
	s_cbranch_execnz .LBB7_36
.LBB7_37:
	s_or_b64 exec, exec, s[2:3]
.LBB7_38:
	s_mov_b64 s[0:1], 0
.LBB7_39:
	s_andn2_b64 vcc, exec, s[0:1]
	s_cbranch_vccnz .LBB7_50
; %bb.40:
	s_cmp_lg_u32 s22, 1
	s_cbranch_scc1 .LBB7_50
; %bb.41:
	s_waitcnt vmcnt(0)
	v_cmp_gt_i64_e32 vcc, v[2:3], v[0:1]
	s_and_saveexec_b64 s[2:3], vcc
	s_cbranch_execz .LBB7_49
; %bb.42:
	v_lshlrev_b64 v[16:17], 1, v[12:13]
	v_mov_b32_e32 v18, s11
	v_add_co_u32_e32 v16, vcc, s10, v16
	v_addc_co_u32_e32 v17, vcc, v18, v17, vcc
	global_load_ushort v18, v[16:17], off
	v_xor_b32_e32 v17, v14, v15
	v_ffbh_i32_e32 v16, v15
	v_ashrrev_i32_e32 v17, 31, v17
	v_add_u32_e32 v16, -1, v16
	v_add_u32_e32 v17, 32, v17
	v_min_u32_e32 v16, v16, v17
	v_lshlrev_b64 v[14:15], v16, v[14:15]
	v_mul_lo_u32 v19, s31, v8
	v_min_u32_e32 v14, 1, v14
	v_or_b32_e32 v14, v15, v14
	v_cvt_f32_i32_e32 v14, v14
	v_sub_u32_e32 v15, 32, v16
	v_mul_lo_u32 v21, s30, v9
	v_sub_co_u32_e32 v16, vcc, v2, v0
	v_ldexp_f32 v14, v14, v15
	v_cvt_f16_f32_e32 v20, v14
	v_mad_u64_u32 v[14:15], s[0:1], s30, v8, 0
	v_subb_co_u32_e32 v17, vcc, v3, v1, vcc
	v_cvt_f32_f16_e32 v22, v20
	s_cmp_eq_u64 s[28:29], 1
	v_cmp_lt_u64_e32 vcc, 1, v[16:17]
	s_cselect_b64 s[4:5], -1, 0
	v_rcp_f32_e32 v23, v22
	v_add3_u32 v15, v15, v21, v19
	s_mov_b64 s[0:1], -1
	s_and_b64 s[6:7], vcc, s[4:5]
	s_waitcnt vmcnt(0)
	v_cvt_f32_f16_e32 v24, v18
	v_mul_f32_e32 v25, v24, v23
	v_mad_f32 v26, -v22, v25, v24
	v_mac_f32_e32 v25, v26, v23
	v_mad_f32 v22, -v22, v25, v24
	v_mul_f32_e32 v22, v22, v23
	v_and_b32_e32 v22, 0xff800000, v22
	v_add_f32_e32 v22, v22, v25
	v_cvt_f16_f32_e32 v22, v22
	v_div_fixup_f16 v24, v22, v20, v18
	v_mov_b32_e32 v19, v1
	v_mov_b32_e32 v18, v0
	s_and_saveexec_b64 s[4:5], s[6:7]
	s_cbranch_execz .LBB7_46
; %bb.43:
	v_mul_lo_u32 v20, v15, s28
	v_mul_lo_u32 v21, v14, s29
	v_mad_u64_u32 v[18:19], s[0:1], v14, s28, 0
	s_mov_b32 s0, 0x5040100
	v_perm_b32 v25, v24, v24, s0
	v_add3_u32 v19, v19, v21, v20
	v_lshlrev_b64 v[18:19], 1, v[18:19]
	v_mov_b32_e32 v20, s9
	v_add_co_u32_e32 v21, vcc, s8, v18
	v_addc_co_u32_e32 v20, vcc, v20, v19, vcc
	v_lshlrev_b64 v[18:19], 1, v[10:11]
	s_mov_b64 s[6:7], 0
	v_add_co_u32_e32 v22, vcc, v21, v18
	v_addc_co_u32_e32 v23, vcc, v20, v19, vcc
	v_lshlrev_b64 v[20:21], 1, v[0:1]
	v_mov_b32_e32 v19, v17
	v_add_co_u32_e32 v20, vcc, v22, v20
	v_and_b32_e32 v18, -2, v16
	v_addc_co_u32_e32 v21, vcc, v23, v21, vcc
	v_mov_b32_e32 v23, v19
	v_mov_b32_e32 v22, v18
.LBB7_44:                               ; =>This Inner Loop Header: Depth=1
	v_add_co_u32_e64 v22, s[0:1], -2, v22
	v_addc_co_u32_e64 v23, s[0:1], -1, v23, s[0:1]
	v_cmp_eq_u64_e64 s[0:1], 0, v[22:23]
	global_store_dword v[20:21], v25, off
	v_add_co_u32_e32 v20, vcc, 4, v20
	s_or_b64 s[6:7], s[0:1], s[6:7]
	v_addc_co_u32_e32 v21, vcc, 0, v21, vcc
	s_andn2_b64 exec, exec, s[6:7]
	s_cbranch_execnz .LBB7_44
; %bb.45:
	s_or_b64 exec, exec, s[6:7]
	v_cmp_ne_u64_e32 vcc, v[16:17], v[18:19]
	v_add_co_u32_e64 v18, s[0:1], v0, v18
	v_addc_co_u32_e64 v19, s[0:1], v1, v19, s[0:1]
	s_orn2_b64 s[0:1], vcc, exec
.LBB7_46:
	s_or_b64 exec, exec, s[4:5]
	s_and_b64 exec, exec, s[0:1]
	s_cbranch_execz .LBB7_49
; %bb.47:
	v_lshlrev_b64 v[14:15], 1, v[14:15]
	v_lshlrev_b64 v[16:17], 1, v[18:19]
	s_lshl_b64 s[4:5], s[28:29], 1
	v_add_co_u32_e32 v16, vcc, v14, v16
	v_addc_co_u32_e32 v17, vcc, v15, v17, vcc
	v_lshlrev_b64 v[14:15], 1, v[4:5]
	v_mul_lo_u32 v17, s28, v17
	v_mul_lo_u32 v20, s29, v16
	v_mad_u64_u32 v[14:15], s[0:1], s28, v16, v[14:15]
	s_mov_b64 s[6:7], 0
	v_add3_u32 v17, v20, v15, v17
	v_lshlrev_b64 v[15:16], 1, v[6:7]
	v_sub_co_u32_e32 v14, vcc, v14, v15
	v_subb_co_u32_e32 v15, vcc, v17, v16, vcc
	v_mov_b32_e32 v16, s9
	v_add_co_u32_e32 v14, vcc, s8, v14
	v_addc_co_u32_e32 v15, vcc, v16, v15, vcc
	v_mov_b32_e32 v16, s5
.LBB7_48:                               ; =>This Inner Loop Header: Depth=1
	v_add_co_u32_e32 v18, vcc, 1, v18
	v_addc_co_u32_e32 v19, vcc, 0, v19, vcc
	v_cmp_ge_i64_e64 s[0:1], v[18:19], v[2:3]
	global_store_short v[14:15], v24, off
	v_add_co_u32_e32 v14, vcc, s4, v14
	s_or_b64 s[6:7], s[0:1], s[6:7]
	v_addc_co_u32_e32 v15, vcc, v15, v16, vcc
	s_andn2_b64 exec, exec, s[6:7]
	s_cbranch_execnz .LBB7_48
.LBB7_49:
	s_or_b64 exec, exec, s[2:3]
.LBB7_50:
	s_branch .LBB7_75
.LBB7_51:
	s_waitcnt vmcnt(0)
	v_cmp_le_i64_e32 vcc, v[2:3], v[0:1]
	v_cmp_gt_i64_e64 s[0:1], v[2:3], v[0:1]
	v_mov_b32_e32 v14, 0
	v_mov_b32_e32 v15, 0
	s_and_saveexec_b64 s[2:3], s[0:1]
	s_cbranch_execz .LBB7_59
; %bb.52:
	v_mad_u64_u32 v[16:17], s[0:1], v8, s30, v[0:1]
	v_mul_lo_u32 v18, v8, s31
	v_mul_lo_u32 v19, v9, s30
	v_lshlrev_b64 v[14:15], 1, v[12:13]
	v_mov_b32_e32 v13, s13
	v_add_co_u32_e64 v12, s[0:1], s12, v14
	v_add3_u32 v17, v19, v17, v18
	v_addc_co_u32_e64 v13, s[0:1], v13, v15, s[0:1]
	v_mul_lo_u32 v21, s29, v16
	v_mul_lo_u32 v22, s28, v17
	v_mad_u64_u32 v[18:19], s[0:1], s28, v16, v[4:5]
	v_mov_b32_e32 v20, s11
	v_add_co_u32_e64 v16, s[0:1], s10, v14
	v_addc_co_u32_e64 v17, s[0:1], v20, v15, s[0:1]
	v_add3_u32 v15, v21, v19, v22
	v_sub_co_u32_e64 v14, s[0:1], v18, v6
	v_subb_co_u32_e64 v15, s[0:1], v15, v7, s[0:1]
	v_lshlrev_b64 v[18:19], 1, v[14:15]
	v_mov_b32_e32 v14, 0
	v_mov_b32_e32 v21, v1
	s_lshl_b64 s[6:7], s[28:29], 1
	s_mov_b64 s[4:5], 0
	v_mov_b32_e32 v15, 0
	v_mov_b32_e32 v22, s15
	v_mov_b32_e32 v20, v0
	s_branch .LBB7_54
.LBB7_53:                               ;   in Loop: Header=BB7_54 Depth=1
	s_or_b64 exec, exec, s[10:11]
	v_add_co_u32_e64 v20, s[0:1], 1, v20
	v_addc_co_u32_e64 v21, s[0:1], 0, v21, s[0:1]
	v_cmp_ge_i64_e64 s[0:1], v[20:21], v[2:3]
	v_mov_b32_e32 v23, s7
	s_or_b64 s[4:5], s[0:1], s[4:5]
	v_add_co_u32_e64 v18, s[0:1], s6, v18
	v_addc_co_u32_e64 v19, s[0:1], v19, v23, s[0:1]
	s_andn2_b64 exec, exec, s[4:5]
	s_cbranch_execz .LBB7_58
.LBB7_54:                               ; =>This Inner Loop Header: Depth=1
	v_add_co_u32_e64 v23, s[0:1], s14, v18
	v_addc_co_u32_e64 v24, s[0:1], v22, v19, s[0:1]
	global_load_ushort v23, v[23:24], off
	s_waitcnt vmcnt(0)
	v_cmp_u_f16_e64 s[12:13], v23, v23
	v_cmp_o_f16_e64 s[0:1], v23, v23
	s_and_saveexec_b64 s[10:11], s[0:1]
	s_cbranch_execz .LBB7_56
; %bb.55:                               ;   in Loop: Header=BB7_54 Depth=1
	global_load_ushort v24, v[12:13], off
	s_andn2_b64 s[12:13], s[12:13], exec
	s_waitcnt vmcnt(0)
	v_cmp_eq_f16_e64 s[0:1], v23, v24
	s_and_b64 s[0:1], s[0:1], exec
	s_or_b64 s[12:13], s[12:13], s[0:1]
.LBB7_56:                               ;   in Loop: Header=BB7_54 Depth=1
	s_or_b64 exec, exec, s[10:11]
	s_and_saveexec_b64 s[10:11], s[12:13]
	s_cbranch_execz .LBB7_53
; %bb.57:                               ;   in Loop: Header=BB7_54 Depth=1
	global_load_ushort v25, v[16:17], off
	v_mov_b32_e32 v24, s9
	v_add_co_u32_e64 v23, s[0:1], s8, v18
	v_addc_co_u32_e64 v24, s[0:1], v24, v19, s[0:1]
	v_add_co_u32_e64 v14, s[0:1], 1, v14
	v_addc_co_u32_e64 v15, s[0:1], 0, v15, s[0:1]
	s_waitcnt vmcnt(0)
	global_store_short v[23:24], v25, off
	s_branch .LBB7_53
.LBB7_58:
	s_or_b64 exec, exec, s[4:5]
.LBB7_59:
	s_or_b64 exec, exec, s[2:3]
	v_cmp_lt_i64_e64 s[0:1], 1, v[14:15]
	s_xor_b64 s[2:3], vcc, -1
	s_and_b64 s[0:1], s[0:1], s[2:3]
	s_and_b64 exec, exec, s[0:1]
	s_cbranch_execz .LBB7_75
; %bb.60:
	v_ffbh_u32_e32 v12, v15
	v_min_u32_e32 v17, 32, v12
	v_lshlrev_b64 v[12:13], v17, v[14:15]
	v_mul_lo_u32 v14, s30, v9
	v_min_u32_e32 v9, 1, v12
	v_or_b32_e32 v9, v13, v9
	v_cvt_f32_u32_e32 v12, v9
	v_sub_u32_e32 v13, 32, v17
	v_mul_lo_u32 v16, s31, v8
	v_mad_u64_u32 v[8:9], s[0:1], s30, v8, 0
	v_ldexp_f32 v12, v12, v13
	v_cvt_f16_f32_e32 v18, v12
	v_sub_co_u32_e32 v12, vcc, v2, v0
	v_subb_co_u32_e32 v13, vcc, v3, v1, vcc
	v_cmp_gt_u64_e64 s[2:3], 14, v[12:13]
	v_cmp_lt_u64_e32 vcc, 13, v[12:13]
	v_add3_u32 v9, v9, v14, v16
	s_and_saveexec_b64 s[4:5], vcc
	s_cbranch_execz .LBB7_70
; %bb.61:
	v_not_b32_e32 v14, v0
	v_not_b32_e32 v15, v1
	v_add_co_u32_e32 v14, vcc, v2, v14
	v_addc_co_u32_e32 v15, vcc, v3, v15, vcc
	v_add_co_u32_e32 v16, vcc, v8, v0
	v_addc_co_u32_e32 v17, vcc, v9, v1, vcc
	;; [unrolled: 2-line block ×3, first 2 shown]
	v_lshlrev_b64 v[10:11], 1, v[10:11]
	v_mov_b32_e32 v16, s9
	v_add_co_u32_e32 v10, vcc, s8, v10
	v_addc_co_u32_e32 v11, vcc, v16, v11, vcc
	v_lshlrev_b64 v[16:17], 1, v[14:15]
	v_cmp_lt_i64_e32 vcc, -1, v[14:15]
	v_add_co_u32_e64 v14, s[0:1], v10, v16
	v_addc_co_u32_e64 v15, s[0:1], v11, v17, s[0:1]
	v_cmp_ge_u64_e64 s[0:1], v[14:15], v[10:11]
	s_cmp_eq_u64 s[28:29], 1
	s_cselect_b64 s[6:7], -1, 0
	s_and_b64 s[0:1], s[0:1], vcc
	s_mov_b64 s[10:11], -1
	s_and_b64 s[0:1], s[6:7], s[0:1]
	s_and_saveexec_b64 s[6:7], s[0:1]
	s_cbranch_execz .LBB7_69
; %bb.62:
	v_lshlrev_b64 v[14:15], 1, v[8:9]
	v_lshlrev_b64 v[16:17], 1, v[4:5]
	v_mov_b32_e32 v11, v13
	v_add_co_u32_e32 v16, vcc, v14, v16
	v_addc_co_u32_e32 v17, vcc, v15, v17, vcc
	v_lshlrev_b64 v[14:15], 1, v[0:1]
	v_and_b32_e32 v10, -2, v12
	v_add_co_u32_e32 v16, vcc, v16, v14
	v_addc_co_u32_e32 v17, vcc, v17, v15, vcc
	v_lshlrev_b64 v[14:15], 1, v[6:7]
	s_mov_b64 s[10:11], 0
	v_sub_co_u32_e32 v14, vcc, v16, v14
	v_subb_co_u32_e32 v15, vcc, v17, v15, vcc
	v_mov_b32_e32 v16, s9
	v_add_co_u32_e32 v14, vcc, s8, v14
	v_addc_co_u32_e32 v15, vcc, v16, v15, vcc
	v_add_co_u32_e32 v14, vcc, 2, v14
	v_mov_b32_e32 v17, v11
	v_addc_co_u32_e32 v15, vcc, 0, v15, vcc
	v_mov_b32_e32 v16, v10
	s_branch .LBB7_64
.LBB7_63:                               ;   in Loop: Header=BB7_64 Depth=1
	s_or_b64 exec, exec, s[0:1]
	v_add_co_u32_e32 v16, vcc, -2, v16
	v_addc_co_u32_e32 v17, vcc, -1, v17, vcc
	v_cmp_eq_u64_e32 vcc, 0, v[16:17]
	s_or_b64 s[10:11], vcc, s[10:11]
	v_add_co_u32_e32 v14, vcc, 4, v14
	v_addc_co_u32_e32 v15, vcc, 0, v15, vcc
	s_andn2_b64 exec, exec, s[10:11]
	s_cbranch_execz .LBB7_68
.LBB7_64:                               ; =>This Inner Loop Header: Depth=1
	global_load_dword v20, v[14:15], off offset:-2
	s_waitcnt vmcnt(0)
	v_lshrrev_b32_e32 v19, 16, v20
	v_cmp_lt_f16_e32 vcc, 0, v19
	v_cmp_lt_f16_e64 s[0:1], 0, v20
	s_and_saveexec_b64 s[12:13], s[0:1]
	s_cbranch_execz .LBB7_66
; %bb.65:                               ;   in Loop: Header=BB7_64 Depth=1
	v_cvt_f32_f16_e32 v21, v18
	v_cvt_f32_f16_e32 v23, v20
	v_rcp_f32_e32 v22, v21
	v_mul_f32_e32 v24, v23, v22
	v_mad_f32 v25, -v21, v24, v23
	v_mac_f32_e32 v24, v25, v22
	v_mad_f32 v21, -v21, v24, v23
	v_mul_f32_e32 v21, v21, v22
	v_and_b32_e32 v21, 0xff800000, v21
	v_add_f32_e32 v21, v21, v24
	v_cvt_f16_f32_e32 v21, v21
	v_div_fixup_f16 v20, v21, v18, v20
	global_store_short v[14:15], v20, off offset:-2
.LBB7_66:                               ;   in Loop: Header=BB7_64 Depth=1
	s_or_b64 exec, exec, s[12:13]
	s_and_saveexec_b64 s[0:1], vcc
	s_cbranch_execz .LBB7_63
; %bb.67:                               ;   in Loop: Header=BB7_64 Depth=1
	v_cvt_f32_f16_e32 v20, v18
	v_cvt_f32_f16_e32 v21, v19
	v_rcp_f32_e32 v22, v20
	v_mul_f32_e32 v23, v21, v22
	v_mad_f32 v24, -v20, v23, v21
	v_mac_f32_e32 v23, v24, v22
	v_mad_f32 v20, -v20, v23, v21
	v_mul_f32_e32 v20, v20, v22
	v_and_b32_e32 v20, 0xff800000, v20
	v_add_f32_e32 v20, v20, v23
	v_cvt_f16_f32_e32 v20, v20
	v_div_fixup_f16 v19, v20, v18, v19
	global_store_short v[14:15], v19, off
	s_branch .LBB7_63
.LBB7_68:
	s_or_b64 exec, exec, s[10:11]
	v_cmp_ne_u64_e32 vcc, v[12:13], v[10:11]
	v_add_co_u32_e64 v0, s[0:1], v0, v10
	v_addc_co_u32_e64 v1, s[0:1], v1, v11, s[0:1]
	s_orn2_b64 s[10:11], vcc, exec
.LBB7_69:
	s_or_b64 exec, exec, s[6:7]
	s_andn2_b64 s[0:1], s[2:3], exec
	s_and_b64 s[2:3], s[10:11], exec
	s_or_b64 s[2:3], s[0:1], s[2:3]
.LBB7_70:
	s_or_b64 exec, exec, s[4:5]
	s_and_b64 exec, exec, s[2:3]
	s_cbranch_execz .LBB7_75
; %bb.71:
	v_lshlrev_b64 v[8:9], 1, v[8:9]
	v_lshlrev_b64 v[10:11], 1, v[0:1]
	;; [unrolled: 1-line block ×3, first 2 shown]
	v_add_co_u32_e32 v8, vcc, v8, v10
	v_addc_co_u32_e32 v9, vcc, v9, v11, vcc
	v_mul_lo_u32 v9, s28, v9
	v_mul_lo_u32 v10, s29, v8
	v_mad_u64_u32 v[4:5], s[0:1], s28, v8, v[4:5]
	s_lshl_b64 s[0:1], s[28:29], 1
	s_mov_b64 s[2:3], 0
	v_add3_u32 v8, v10, v5, v9
	v_lshlrev_b64 v[5:6], 1, v[6:7]
	v_mov_b32_e32 v7, s9
	v_sub_co_u32_e32 v4, vcc, v4, v5
	v_subb_co_u32_e32 v5, vcc, v8, v6, vcc
	v_cvt_f32_f16_e32 v6, v18
	v_add_co_u32_e32 v4, vcc, s8, v4
	v_addc_co_u32_e32 v5, vcc, v7, v5, vcc
	v_rcp_f32_e32 v7, v6
	v_mov_b32_e32 v8, s1
	s_branch .LBB7_73
.LBB7_72:                               ;   in Loop: Header=BB7_73 Depth=1
	s_or_b64 exec, exec, s[4:5]
	v_add_co_u32_e32 v0, vcc, 1, v0
	v_addc_co_u32_e32 v1, vcc, 0, v1, vcc
	v_cmp_ge_i64_e32 vcc, v[0:1], v[2:3]
	s_or_b64 s[2:3], vcc, s[2:3]
	v_add_co_u32_e32 v4, vcc, s0, v4
	v_addc_co_u32_e32 v5, vcc, v5, v8, vcc
	s_andn2_b64 exec, exec, s[2:3]
	s_cbranch_execz .LBB7_75
.LBB7_73:                               ; =>This Inner Loop Header: Depth=1
	global_load_ushort v9, v[4:5], off
	s_waitcnt vmcnt(0)
	v_cmp_lt_f16_e32 vcc, 0, v9
	s_and_saveexec_b64 s[4:5], vcc
	s_cbranch_execz .LBB7_72
; %bb.74:                               ;   in Loop: Header=BB7_73 Depth=1
	v_cvt_f32_f16_e32 v10, v9
	v_mul_f32_e32 v11, v10, v7
	v_mad_f32 v12, -v6, v11, v10
	v_mac_f32_e32 v11, v12, v7
	v_mad_f32 v10, -v6, v11, v10
	v_mul_f32_e32 v10, v10, v7
	v_and_b32_e32 v10, 0xff800000, v10
	v_add_f32_e32 v10, v10, v11
	v_cvt_f16_f32_e32 v10, v10
	v_div_fixup_f16 v9, v10, v18, v9
	global_store_short v[4:5], v9, off
	s_branch .LBB7_72
.LBB7_75:
	s_endpgm
	.section	.rodata,"a",@progbits
	.p2align	6, 0x0
	.amdhsa_kernel _ZN2at6native12_GLOBAL__N_130segment_reduce_backward_kernelIN3c104HalfElEEvNS0_13ReductionTypeEPT_PKS6_S9_S9_PKT0_SC_llS6_lllllll
		.amdhsa_group_segment_fixed_size 0
		.amdhsa_private_segment_fixed_size 0
		.amdhsa_kernarg_size 392
		.amdhsa_user_sgpr_count 6
		.amdhsa_user_sgpr_private_segment_buffer 1
		.amdhsa_user_sgpr_dispatch_ptr 0
		.amdhsa_user_sgpr_queue_ptr 0
		.amdhsa_user_sgpr_kernarg_segment_ptr 1
		.amdhsa_user_sgpr_dispatch_id 0
		.amdhsa_user_sgpr_flat_scratch_init 0
		.amdhsa_user_sgpr_private_segment_size 0
		.amdhsa_uses_dynamic_stack 0
		.amdhsa_system_sgpr_private_segment_wavefront_offset 0
		.amdhsa_system_sgpr_workgroup_id_x 1
		.amdhsa_system_sgpr_workgroup_id_y 0
		.amdhsa_system_sgpr_workgroup_id_z 0
		.amdhsa_system_sgpr_workgroup_info 0
		.amdhsa_system_vgpr_workitem_id 0
		.amdhsa_next_free_vgpr 33
		.amdhsa_next_free_sgpr 44
		.amdhsa_reserve_vcc 1
		.amdhsa_reserve_flat_scratch 0
		.amdhsa_float_round_mode_32 0
		.amdhsa_float_round_mode_16_64 0
		.amdhsa_float_denorm_mode_32 3
		.amdhsa_float_denorm_mode_16_64 3
		.amdhsa_dx10_clamp 1
		.amdhsa_ieee_mode 1
		.amdhsa_fp16_overflow 0
		.amdhsa_exception_fp_ieee_invalid_op 0
		.amdhsa_exception_fp_denorm_src 0
		.amdhsa_exception_fp_ieee_div_zero 0
		.amdhsa_exception_fp_ieee_overflow 0
		.amdhsa_exception_fp_ieee_underflow 0
		.amdhsa_exception_fp_ieee_inexact 0
		.amdhsa_exception_int_div_zero 0
	.end_amdhsa_kernel
	.section	.text._ZN2at6native12_GLOBAL__N_130segment_reduce_backward_kernelIN3c104HalfElEEvNS0_13ReductionTypeEPT_PKS6_S9_S9_PKT0_SC_llS6_lllllll,"axG",@progbits,_ZN2at6native12_GLOBAL__N_130segment_reduce_backward_kernelIN3c104HalfElEEvNS0_13ReductionTypeEPT_PKS6_S9_S9_PKT0_SC_llS6_lllllll,comdat
.Lfunc_end7:
	.size	_ZN2at6native12_GLOBAL__N_130segment_reduce_backward_kernelIN3c104HalfElEEvNS0_13ReductionTypeEPT_PKS6_S9_S9_PKT0_SC_llS6_lllllll, .Lfunc_end7-_ZN2at6native12_GLOBAL__N_130segment_reduce_backward_kernelIN3c104HalfElEEvNS0_13ReductionTypeEPT_PKS6_S9_S9_PKT0_SC_llS6_lllllll
                                        ; -- End function
	.set _ZN2at6native12_GLOBAL__N_130segment_reduce_backward_kernelIN3c104HalfElEEvNS0_13ReductionTypeEPT_PKS6_S9_S9_PKT0_SC_llS6_lllllll.num_vgpr, 33
	.set _ZN2at6native12_GLOBAL__N_130segment_reduce_backward_kernelIN3c104HalfElEEvNS0_13ReductionTypeEPT_PKS6_S9_S9_PKT0_SC_llS6_lllllll.num_agpr, 0
	.set _ZN2at6native12_GLOBAL__N_130segment_reduce_backward_kernelIN3c104HalfElEEvNS0_13ReductionTypeEPT_PKS6_S9_S9_PKT0_SC_llS6_lllllll.numbered_sgpr, 44
	.set _ZN2at6native12_GLOBAL__N_130segment_reduce_backward_kernelIN3c104HalfElEEvNS0_13ReductionTypeEPT_PKS6_S9_S9_PKT0_SC_llS6_lllllll.num_named_barrier, 0
	.set _ZN2at6native12_GLOBAL__N_130segment_reduce_backward_kernelIN3c104HalfElEEvNS0_13ReductionTypeEPT_PKS6_S9_S9_PKT0_SC_llS6_lllllll.private_seg_size, 0
	.set _ZN2at6native12_GLOBAL__N_130segment_reduce_backward_kernelIN3c104HalfElEEvNS0_13ReductionTypeEPT_PKS6_S9_S9_PKT0_SC_llS6_lllllll.uses_vcc, 1
	.set _ZN2at6native12_GLOBAL__N_130segment_reduce_backward_kernelIN3c104HalfElEEvNS0_13ReductionTypeEPT_PKS6_S9_S9_PKT0_SC_llS6_lllllll.uses_flat_scratch, 0
	.set _ZN2at6native12_GLOBAL__N_130segment_reduce_backward_kernelIN3c104HalfElEEvNS0_13ReductionTypeEPT_PKS6_S9_S9_PKT0_SC_llS6_lllllll.has_dyn_sized_stack, 0
	.set _ZN2at6native12_GLOBAL__N_130segment_reduce_backward_kernelIN3c104HalfElEEvNS0_13ReductionTypeEPT_PKS6_S9_S9_PKT0_SC_llS6_lllllll.has_recursion, 0
	.set _ZN2at6native12_GLOBAL__N_130segment_reduce_backward_kernelIN3c104HalfElEEvNS0_13ReductionTypeEPT_PKS6_S9_S9_PKT0_SC_llS6_lllllll.has_indirect_call, 0
	.section	.AMDGPU.csdata,"",@progbits
; Kernel info:
; codeLenInByte = 5056
; TotalNumSgprs: 48
; NumVgprs: 33
; ScratchSize: 0
; MemoryBound: 0
; FloatMode: 240
; IeeeMode: 1
; LDSByteSize: 0 bytes/workgroup (compile time only)
; SGPRBlocks: 5
; VGPRBlocks: 8
; NumSGPRsForWavesPerEU: 48
; NumVGPRsForWavesPerEU: 33
; Occupancy: 7
; WaveLimiterHint : 1
; COMPUTE_PGM_RSRC2:SCRATCH_EN: 0
; COMPUTE_PGM_RSRC2:USER_SGPR: 6
; COMPUTE_PGM_RSRC2:TRAP_HANDLER: 0
; COMPUTE_PGM_RSRC2:TGID_X_EN: 1
; COMPUTE_PGM_RSRC2:TGID_Y_EN: 0
; COMPUTE_PGM_RSRC2:TGID_Z_EN: 0
; COMPUTE_PGM_RSRC2:TIDIG_COMP_CNT: 0
	.section	.text._ZN2at6native12_GLOBAL__N_129segment_reduce_forward_kernelIdiEEvNS0_13ReductionTypeEPT_PKS4_PKT0_SA_llbS4_lllllll,"axG",@progbits,_ZN2at6native12_GLOBAL__N_129segment_reduce_forward_kernelIdiEEvNS0_13ReductionTypeEPT_PKS4_PKT0_SA_llbS4_lllllll,comdat
	.globl	_ZN2at6native12_GLOBAL__N_129segment_reduce_forward_kernelIdiEEvNS0_13ReductionTypeEPT_PKS4_PKT0_SA_llbS4_lllllll ; -- Begin function _ZN2at6native12_GLOBAL__N_129segment_reduce_forward_kernelIdiEEvNS0_13ReductionTypeEPT_PKS4_PKT0_SA_llbS4_lllllll
	.p2align	8
	.type	_ZN2at6native12_GLOBAL__N_129segment_reduce_forward_kernelIdiEEvNS0_13ReductionTypeEPT_PKS4_PKT0_SA_llbS4_lllllll,@function
_ZN2at6native12_GLOBAL__N_129segment_reduce_forward_kernelIdiEEvNS0_13ReductionTypeEPT_PKS4_PKT0_SA_llbS4_lllllll: ; @_ZN2at6native12_GLOBAL__N_129segment_reduce_forward_kernelIdiEEvNS0_13ReductionTypeEPT_PKS4_PKT0_SA_llbS4_lllllll
; %bb.0:
	s_load_dword s0, s[4:5], 0x8c
	s_load_dwordx4 s[36:39], s[4:5], 0x28
	s_load_dwordx16 s[8:23], s[4:5], 0x40
	v_mov_b32_e32 v2, 0
	v_mov_b32_e32 v1, v2
	s_waitcnt lgkmcnt(0)
	s_and_b32 s0, s0, 0xffff
	v_mov_b32_e32 v3, s6
	v_mad_u64_u32 v[0:1], s[0:1], s0, v3, v[0:1]
	s_mul_i32 s0, s10, s37
	s_mul_hi_u32 s1, s10, s36
	s_add_i32 s0, s1, s0
	s_mul_i32 s1, s11, s36
	s_mul_i32 s2, s10, s36
	s_add_i32 s0, s0, s1
	s_mul_i32 s1, s2, s13
	s_mul_hi_u32 s3, s2, s12
	s_add_i32 s1, s3, s1
	s_mul_i32 s0, s0, s12
	s_add_i32 s1, s1, s0
	s_mul_i32 s0, s2, s12
	v_cmp_gt_i64_e32 vcc, s[0:1], v[0:1]
	s_and_saveexec_b64 s[0:1], vcc
	s_cbranch_execz .LBB8_35
; %bb.1:
	v_or_b32_e32 v3, s13, v1
	v_cmp_ne_u64_e32 vcc, 0, v[2:3]
                                        ; implicit-def: $vgpr6_vgpr7
	s_and_saveexec_b64 s[0:1], vcc
	s_xor_b64 s[2:3], exec, s[0:1]
	s_cbranch_execz .LBB8_3
; %bb.2:
	s_ashr_i32 s6, s13, 31
	s_add_u32 s0, s12, s6
	s_mov_b32 s7, s6
	s_addc_u32 s1, s13, s6
	s_xor_b64 s[10:11], s[0:1], s[6:7]
	v_cvt_f32_u32_e32 v2, s10
	v_cvt_f32_u32_e32 v3, s11
	s_sub_u32 s7, 0, s10
	s_subb_u32 s24, 0, s11
	v_ashrrev_i32_e32 v6, 31, v1
	v_madmk_f32 v2, v3, 0x4f800000, v2
	v_rcp_f32_e32 v2, v2
	v_mul_f32_e32 v2, 0x5f7ffffc, v2
	v_mul_f32_e32 v3, 0x2f800000, v2
	v_trunc_f32_e32 v3, v3
	v_madmk_f32 v2, v3, 0xcf800000, v2
	v_cvt_u32_f32_e32 v3, v3
	v_cvt_u32_f32_e32 v2, v2
	v_readfirstlane_b32 s25, v3
	v_readfirstlane_b32 s0, v2
	s_mul_i32 s1, s7, s25
	s_mul_hi_u32 s27, s7, s0
	s_mul_i32 s26, s24, s0
	s_add_i32 s1, s27, s1
	s_add_i32 s1, s1, s26
	s_mul_i32 s28, s7, s0
	s_mul_i32 s27, s0, s1
	s_mul_hi_u32 s29, s0, s28
	s_mul_hi_u32 s26, s0, s1
	s_add_u32 s27, s29, s27
	s_addc_u32 s26, 0, s26
	s_mul_hi_u32 s30, s25, s28
	s_mul_i32 s28, s25, s28
	s_add_u32 s27, s27, s28
	s_mul_hi_u32 s29, s25, s1
	s_addc_u32 s26, s26, s30
	s_addc_u32 s27, s29, 0
	s_mul_i32 s1, s25, s1
	s_add_u32 s1, s26, s1
	s_addc_u32 s26, 0, s27
	s_add_u32 s27, s0, s1
	s_cselect_b64 s[0:1], -1, 0
	s_cmp_lg_u64 s[0:1], 0
	s_addc_u32 s25, s25, s26
	s_mul_i32 s0, s7, s25
	s_mul_hi_u32 s1, s7, s27
	s_add_i32 s0, s1, s0
	s_mul_i32 s24, s24, s27
	s_add_i32 s0, s0, s24
	s_mul_i32 s7, s7, s27
	s_mul_hi_u32 s24, s25, s7
	s_mul_i32 s26, s25, s7
	s_mul_i32 s29, s27, s0
	s_mul_hi_u32 s7, s27, s7
	s_mul_hi_u32 s28, s27, s0
	s_add_u32 s7, s7, s29
	s_addc_u32 s28, 0, s28
	s_add_u32 s7, s7, s26
	s_mul_hi_u32 s1, s25, s0
	s_addc_u32 s7, s28, s24
	s_addc_u32 s1, s1, 0
	s_mul_i32 s0, s25, s0
	s_add_u32 s0, s7, s0
	s_addc_u32 s7, 0, s1
	s_add_u32 s24, s27, s0
	s_cselect_b64 s[0:1], -1, 0
	s_cmp_lg_u64 s[0:1], 0
	v_add_co_u32_e32 v2, vcc, v0, v6
	s_addc_u32 s7, s25, s7
	v_xor_b32_e32 v7, v2, v6
	v_mad_u64_u32 v[2:3], s[0:1], v7, s7, 0
	v_mul_hi_u32 v5, v7, s24
	v_addc_co_u32_e32 v4, vcc, v1, v6, vcc
	v_xor_b32_e32 v8, v4, v6
	v_add_co_u32_e32 v9, vcc, v5, v2
	v_addc_co_u32_e32 v10, vcc, 0, v3, vcc
	v_mad_u64_u32 v[2:3], s[0:1], v8, s24, 0
	v_mad_u64_u32 v[4:5], s[0:1], v8, s7, 0
	v_add_co_u32_e32 v2, vcc, v9, v2
	v_addc_co_u32_e32 v2, vcc, v10, v3, vcc
	v_addc_co_u32_e32 v3, vcc, 0, v5, vcc
	v_add_co_u32_e32 v4, vcc, v2, v4
	v_addc_co_u32_e32 v5, vcc, 0, v3, vcc
	v_mul_lo_u32 v9, s11, v4
	v_mul_lo_u32 v10, s10, v5
	v_mad_u64_u32 v[2:3], s[0:1], s10, v4, 0
	v_add3_u32 v3, v3, v10, v9
	v_sub_u32_e32 v9, v8, v3
	v_mov_b32_e32 v10, s11
	v_sub_co_u32_e32 v2, vcc, v7, v2
	v_subb_co_u32_e64 v7, s[0:1], v9, v10, vcc
	v_subrev_co_u32_e64 v9, s[0:1], s10, v2
	v_subbrev_co_u32_e64 v7, s[0:1], 0, v7, s[0:1]
	v_cmp_le_u32_e64 s[0:1], s11, v7
	v_cndmask_b32_e64 v10, 0, -1, s[0:1]
	v_cmp_le_u32_e64 s[0:1], s10, v9
	v_cndmask_b32_e64 v9, 0, -1, s[0:1]
	v_cmp_eq_u32_e64 s[0:1], s11, v7
	v_cndmask_b32_e64 v7, v10, v9, s[0:1]
	v_add_co_u32_e64 v9, s[0:1], 2, v4
	v_subb_co_u32_e32 v3, vcc, v8, v3, vcc
	v_addc_co_u32_e64 v10, s[0:1], 0, v5, s[0:1]
	v_cmp_le_u32_e32 vcc, s11, v3
	v_add_co_u32_e64 v11, s[0:1], 1, v4
	v_cndmask_b32_e64 v8, 0, -1, vcc
	v_cmp_le_u32_e32 vcc, s10, v2
	v_addc_co_u32_e64 v12, s[0:1], 0, v5, s[0:1]
	v_cndmask_b32_e64 v2, 0, -1, vcc
	v_cmp_eq_u32_e32 vcc, s11, v3
	v_cmp_ne_u32_e64 s[0:1], 0, v7
	v_cndmask_b32_e32 v2, v8, v2, vcc
	v_cmp_ne_u32_e32 vcc, 0, v2
	v_cndmask_b32_e64 v3, v11, v9, s[0:1]
	v_cndmask_b32_e64 v7, v12, v10, s[0:1]
	v_cndmask_b32_e32 v3, v4, v3, vcc
	v_xor_b32_e32 v4, s6, v6
	v_cndmask_b32_e32 v2, v5, v7, vcc
	v_xor_b32_e32 v3, v3, v4
	v_xor_b32_e32 v2, v2, v4
	v_sub_co_u32_e32 v6, vcc, v3, v4
	v_subb_co_u32_e32 v7, vcc, v2, v4, vcc
.LBB8_3:
	s_or_saveexec_b64 s[0:1], s[2:3]
	s_load_dwordx8 s[24:31], s[4:5], 0x8
	s_xor_b64 exec, exec, s[0:1]
	s_cbranch_execz .LBB8_5
; %bb.4:
	v_cvt_f32_u32_e32 v2, s12
	s_sub_i32 s2, 0, s12
	v_mov_b32_e32 v7, 0
	v_rcp_iflag_f32_e32 v2, v2
	v_mul_f32_e32 v2, 0x4f7ffffe, v2
	v_cvt_u32_f32_e32 v2, v2
	v_mul_lo_u32 v3, s2, v2
	v_mul_hi_u32 v3, v2, v3
	v_add_u32_e32 v2, v2, v3
	v_mul_hi_u32 v2, v0, v2
	v_mul_lo_u32 v3, v2, s12
	v_add_u32_e32 v4, 1, v2
	v_sub_u32_e32 v3, v0, v3
	v_subrev_u32_e32 v5, s12, v3
	v_cmp_le_u32_e32 vcc, s12, v3
	v_cndmask_b32_e32 v3, v3, v5, vcc
	v_cndmask_b32_e32 v2, v2, v4, vcc
	v_add_u32_e32 v4, 1, v2
	v_cmp_le_u32_e32 vcc, s12, v3
	v_cndmask_b32_e32 v6, v2, v4, vcc
.LBB8_5:
	s_or_b64 exec, exec, s[0:1]
	v_or_b32_e32 v3, s37, v7
	v_mov_b32_e32 v2, 0
	v_cmp_ne_u64_e32 vcc, 0, v[2:3]
                                        ; implicit-def: $vgpr2_vgpr3
	s_and_saveexec_b64 s[0:1], vcc
	s_xor_b64 s[2:3], exec, s[0:1]
	s_cbranch_execz .LBB8_7
; %bb.6:
	s_ashr_i32 s6, s37, 31
	s_add_u32 s0, s36, s6
	s_mov_b32 s7, s6
	s_addc_u32 s1, s37, s6
	s_xor_b64 s[10:11], s[0:1], s[6:7]
	v_cvt_f32_u32_e32 v2, s10
	v_cvt_f32_u32_e32 v3, s11
	s_sub_u32 s7, 0, s10
	s_subb_u32 s33, 0, s11
	v_ashrrev_i32_e32 v8, 31, v7
	v_madmk_f32 v2, v3, 0x4f800000, v2
	v_rcp_f32_e32 v2, v2
	v_mul_f32_e32 v2, 0x5f7ffffc, v2
	v_mul_f32_e32 v3, 0x2f800000, v2
	v_trunc_f32_e32 v3, v3
	v_madmk_f32 v2, v3, 0xcf800000, v2
	v_cvt_u32_f32_e32 v3, v3
	v_cvt_u32_f32_e32 v2, v2
	v_readfirstlane_b32 s34, v3
	v_readfirstlane_b32 s0, v2
	s_mul_i32 s1, s7, s34
	s_mul_hi_u32 s40, s7, s0
	s_mul_i32 s35, s33, s0
	s_add_i32 s1, s40, s1
	s_add_i32 s1, s1, s35
	s_mul_i32 s41, s7, s0
	s_mul_i32 s40, s0, s1
	s_mul_hi_u32 s42, s0, s41
	s_mul_hi_u32 s35, s0, s1
	s_add_u32 s40, s42, s40
	s_addc_u32 s35, 0, s35
	s_mul_hi_u32 s43, s34, s41
	s_mul_i32 s41, s34, s41
	s_add_u32 s40, s40, s41
	s_mul_hi_u32 s42, s34, s1
	s_addc_u32 s35, s35, s43
	s_addc_u32 s40, s42, 0
	s_mul_i32 s1, s34, s1
	s_add_u32 s1, s35, s1
	s_addc_u32 s35, 0, s40
	s_add_u32 s40, s0, s1
	s_cselect_b64 s[0:1], -1, 0
	s_cmp_lg_u64 s[0:1], 0
	s_addc_u32 s34, s34, s35
	s_mul_i32 s0, s7, s34
	s_mul_hi_u32 s1, s7, s40
	s_add_i32 s0, s1, s0
	s_mul_i32 s33, s33, s40
	s_add_i32 s0, s0, s33
	s_mul_i32 s7, s7, s40
	s_mul_hi_u32 s33, s34, s7
	s_mul_i32 s35, s34, s7
	s_mul_i32 s42, s40, s0
	s_mul_hi_u32 s7, s40, s7
	s_mul_hi_u32 s41, s40, s0
	s_add_u32 s7, s7, s42
	s_addc_u32 s41, 0, s41
	s_add_u32 s7, s7, s35
	s_mul_hi_u32 s1, s34, s0
	s_addc_u32 s7, s41, s33
	s_addc_u32 s1, s1, 0
	s_mul_i32 s0, s34, s0
	s_add_u32 s0, s7, s0
	s_addc_u32 s7, 0, s1
	s_add_u32 s33, s40, s0
	s_cselect_b64 s[0:1], -1, 0
	s_cmp_lg_u64 s[0:1], 0
	v_add_co_u32_e32 v2, vcc, v6, v8
	s_addc_u32 s7, s34, s7
	v_xor_b32_e32 v9, v2, v8
	v_mad_u64_u32 v[2:3], s[0:1], v9, s7, 0
	v_mul_hi_u32 v5, v9, s33
	v_addc_co_u32_e32 v4, vcc, v7, v8, vcc
	v_xor_b32_e32 v10, v4, v8
	v_add_co_u32_e32 v11, vcc, v5, v2
	v_addc_co_u32_e32 v12, vcc, 0, v3, vcc
	v_mad_u64_u32 v[2:3], s[0:1], v10, s33, 0
	v_mad_u64_u32 v[4:5], s[0:1], v10, s7, 0
	v_add_co_u32_e32 v2, vcc, v11, v2
	v_addc_co_u32_e32 v2, vcc, v12, v3, vcc
	v_addc_co_u32_e32 v3, vcc, 0, v5, vcc
	v_add_co_u32_e32 v4, vcc, v2, v4
	v_addc_co_u32_e32 v5, vcc, 0, v3, vcc
	v_mul_lo_u32 v11, s11, v4
	v_mul_lo_u32 v12, s10, v5
	v_mad_u64_u32 v[2:3], s[0:1], s10, v4, 0
	v_add3_u32 v3, v3, v12, v11
	v_sub_u32_e32 v11, v10, v3
	v_mov_b32_e32 v12, s11
	v_sub_co_u32_e32 v2, vcc, v9, v2
	v_subb_co_u32_e64 v9, s[0:1], v11, v12, vcc
	v_subrev_co_u32_e64 v11, s[0:1], s10, v2
	v_subbrev_co_u32_e64 v9, s[0:1], 0, v9, s[0:1]
	v_cmp_le_u32_e64 s[0:1], s11, v9
	v_cndmask_b32_e64 v12, 0, -1, s[0:1]
	v_cmp_le_u32_e64 s[0:1], s10, v11
	v_cndmask_b32_e64 v11, 0, -1, s[0:1]
	v_cmp_eq_u32_e64 s[0:1], s11, v9
	v_cndmask_b32_e64 v9, v12, v11, s[0:1]
	v_add_co_u32_e64 v11, s[0:1], 2, v4
	v_subb_co_u32_e32 v3, vcc, v10, v3, vcc
	v_addc_co_u32_e64 v12, s[0:1], 0, v5, s[0:1]
	v_cmp_le_u32_e32 vcc, s11, v3
	v_add_co_u32_e64 v13, s[0:1], 1, v4
	v_cndmask_b32_e64 v10, 0, -1, vcc
	v_cmp_le_u32_e32 vcc, s10, v2
	v_addc_co_u32_e64 v14, s[0:1], 0, v5, s[0:1]
	v_cndmask_b32_e64 v2, 0, -1, vcc
	v_cmp_eq_u32_e32 vcc, s11, v3
	v_cmp_ne_u32_e64 s[0:1], 0, v9
	v_cndmask_b32_e32 v2, v10, v2, vcc
	v_cndmask_b32_e64 v9, v14, v12, s[0:1]
	v_cmp_ne_u32_e32 vcc, 0, v2
	v_cndmask_b32_e64 v3, v13, v11, s[0:1]
	v_cndmask_b32_e32 v2, v5, v9, vcc
	v_cndmask_b32_e32 v3, v4, v3, vcc
	v_xor_b32_e32 v4, s6, v8
	v_xor_b32_e32 v5, v2, v4
	v_xor_b32_e32 v2, v3, v4
	v_sub_co_u32_e32 v2, vcc, v2, v4
	v_subb_co_u32_e32 v3, vcc, v5, v4, vcc
.LBB8_7:
	s_andn2_saveexec_b64 s[0:1], s[2:3]
	s_cbranch_execz .LBB8_9
; %bb.8:
	v_cvt_f32_u32_e32 v2, s36
	s_sub_i32 s2, 0, s36
	v_rcp_iflag_f32_e32 v2, v2
	v_mul_f32_e32 v2, 0x4f7ffffe, v2
	v_cvt_u32_f32_e32 v2, v2
	v_mul_lo_u32 v3, s2, v2
	v_mul_hi_u32 v3, v2, v3
	v_add_u32_e32 v2, v2, v3
	v_mul_hi_u32 v2, v6, v2
	v_mul_lo_u32 v3, v2, s36
	v_add_u32_e32 v4, 1, v2
	v_sub_u32_e32 v3, v6, v3
	v_subrev_u32_e32 v5, s36, v3
	v_cmp_le_u32_e32 vcc, s36, v3
	v_cndmask_b32_e32 v3, v3, v5, vcc
	v_cndmask_b32_e32 v2, v2, v4, vcc
	v_add_u32_e32 v4, 1, v2
	v_cmp_le_u32_e32 vcc, s36, v3
	v_cndmask_b32_e32 v2, v2, v4, vcc
	v_mov_b32_e32 v3, 0
.LBB8_9:
	s_or_b64 exec, exec, s[0:1]
	v_mad_u64_u32 v[8:9], s[0:1], v2, s36, 0
	s_add_u32 s0, s36, 1
	s_addc_u32 s1, s37, 0
	s_mul_i32 s1, s22, s1
	s_mul_hi_u32 s2, s22, s0
	s_add_i32 s1, s2, s1
	s_mul_i32 s2, s23, s0
	s_add_i32 s1, s1, s2
	s_mul_i32 s0, s22, s0
	v_mul_lo_u32 v12, s1, v2
	v_mul_lo_u32 v13, s0, v3
	v_mad_u64_u32 v[10:11], s[0:1], s0, v2, 0
	v_mul_lo_u32 v4, v3, s36
	v_mul_lo_u32 v5, v2, s37
	v_add3_u32 v11, v11, v13, v12
	v_lshlrev_b64 v[10:11], 2, v[10:11]
	s_waitcnt lgkmcnt(0)
	v_mov_b32_e32 v12, s31
	v_add3_u32 v9, v9, v5, v4
	v_sub_co_u32_e32 v4, vcc, v6, v8
	v_subb_co_u32_e32 v5, vcc, v7, v9, vcc
	v_add_co_u32_e32 v13, vcc, s30, v10
	v_addc_co_u32_e32 v14, vcc, v12, v11, vcc
	v_lshlrev_b64 v[10:11], 2, v[4:5]
	v_mul_lo_u32 v15, v6, s13
	v_add_co_u32_e32 v12, vcc, v13, v10
	v_addc_co_u32_e32 v13, vcc, v14, v11, vcc
	global_load_dwordx2 v[12:13], v[12:13], off
	v_mul_lo_u32 v14, v7, s12
	v_mad_u64_u32 v[6:7], s[0:1], v6, s12, 0
	s_load_dword s22, s[4:5], 0x0
	v_add3_u32 v7, v7, v15, v14
	v_mov_b32_e32 v15, s9
	v_mov_b32_e32 v14, s8
	s_waitcnt vmcnt(0)
	v_cmp_lt_i32_e32 vcc, v12, v13
	s_and_saveexec_b64 s[2:3], vcc
	s_cbranch_execz .LBB8_28
; %bb.10:
	v_mul_lo_u32 v16, v3, s16
	v_mul_lo_u32 v17, v2, s17
	v_mad_u64_u32 v[14:15], s[0:1], v2, s16, 0
	s_waitcnt lgkmcnt(0)
	s_cmp_lg_u32 s22, 0
	s_cselect_b64 s[6:7], -1, 0
	v_add3_u32 v15, v15, v17, v16
	v_ashrrev_i32_e32 v17, 31, v12
	v_mov_b32_e32 v16, v12
	v_lshlrev_b64 v[14:15], 3, v[14:15]
	v_lshlrev_b64 v[16:17], 3, v[16:17]
	s_mov_b64 s[12:13], 0
	v_add_co_u32_e32 v16, vcc, v14, v16
	v_addc_co_u32_e32 v17, vcc, v15, v17, vcc
	v_lshlrev_b64 v[14:15], 3, v[0:1]
	v_mul_lo_u32 v17, s14, v17
	v_mul_lo_u32 v18, s15, v16
	v_mad_u64_u32 v[14:15], s[0:1], s14, v16, v[14:15]
	s_and_b32 s0, s22, -3
	s_cmp_lg_u32 s0, 1
	v_add3_u32 v17, v18, v15, v17
	v_lshlrev_b64 v[15:16], 3, v[6:7]
	v_mov_b32_e32 v19, s9
	v_sub_co_u32_e32 v14, vcc, v14, v15
	v_subb_co_u32_e32 v15, vcc, v17, v16, vcc
	v_mov_b32_e32 v17, s27
	v_add_co_u32_e32 v16, vcc, s26, v14
	s_cselect_b64 s[10:11], -1, 0
	v_addc_co_u32_e32 v17, vcc, v17, v15, vcc
	s_lshl_b64 s[14:15], s[14:15], 3
	v_mov_b32_e32 v18, s8
	s_branch .LBB8_12
.LBB8_11:                               ;   in Loop: Header=BB8_12 Depth=1
	v_mov_b32_e32 v18, s15
	v_add_co_u32_e32 v16, vcc, s14, v16
	v_add_u32_e32 v12, 1, v12
	v_addc_co_u32_e32 v17, vcc, v17, v18, vcc
	v_cmp_ge_i32_e32 vcc, v12, v13
	v_mov_b32_e32 v19, v15
	s_or_b64 s[12:13], vcc, s[12:13]
	v_mov_b32_e32 v18, v14
	s_andn2_b64 exec, exec, s[12:13]
	s_cbranch_execz .LBB8_27
.LBB8_12:                               ; =>This Inner Loop Header: Depth=1
	global_load_dwordx2 v[20:21], v[16:17], off
	s_mov_b64 s[0:1], -1
	s_and_b64 vcc, exec, s[6:7]
	s_cbranch_vccz .LBB8_25
; %bb.13:                               ;   in Loop: Header=BB8_12 Depth=1
	s_and_b64 vcc, exec, s[10:11]
                                        ; implicit-def: $vgpr14_vgpr15
	s_cbranch_vccz .LBB8_22
; %bb.14:                               ;   in Loop: Header=BB8_12 Depth=1
	s_cmp_lt_i32 s22, 4
                                        ; implicit-def: $vgpr14_vgpr15
	s_cbranch_scc1 .LBB8_18
; %bb.15:                               ;   in Loop: Header=BB8_12 Depth=1
	v_mov_b32_e32 v14, v18
	s_cmp_eq_u32 s22, 4
	v_mov_b32_e32 v15, v19
	s_cbranch_scc0 .LBB8_17
; %bb.16:                               ;   in Loop: Header=BB8_12 Depth=1
	s_waitcnt vmcnt(0)
	v_mul_f64 v[14:15], v[20:21], v[18:19]
.LBB8_17:                               ;   in Loop: Header=BB8_12 Depth=1
	s_mov_b64 s[0:1], 0
.LBB8_18:                               ;   in Loop: Header=BB8_12 Depth=1
	s_andn2_b64 vcc, exec, s[0:1]
	s_cbranch_vccnz .LBB8_21
; %bb.19:                               ;   in Loop: Header=BB8_12 Depth=1
	v_mov_b32_e32 v14, v18
	s_cmp_lg_u32 s22, 2
	v_mov_b32_e32 v15, v19
	s_cbranch_scc1 .LBB8_21
; %bb.20:                               ;   in Loop: Header=BB8_12 Depth=1
	s_waitcnt vmcnt(0)
	v_cmp_u_f64_e32 vcc, v[20:21], v[20:21]
	v_cmp_lt_f64_e64 s[0:1], v[20:21], v[18:19]
	s_or_b64 vcc, vcc, s[0:1]
	v_cndmask_b32_e32 v15, v19, v21, vcc
	v_cndmask_b32_e32 v14, v18, v20, vcc
.LBB8_21:                               ;   in Loop: Header=BB8_12 Depth=1
	s_mov_b64 s[0:1], 0
.LBB8_22:                               ;   in Loop: Header=BB8_12 Depth=1
	s_and_b64 vcc, exec, s[0:1]
	s_cbranch_vccz .LBB8_24
; %bb.23:                               ;   in Loop: Header=BB8_12 Depth=1
	s_waitcnt vmcnt(0)
	v_add_f64 v[14:15], v[20:21], v[18:19]
.LBB8_24:                               ;   in Loop: Header=BB8_12 Depth=1
	s_cbranch_execnz .LBB8_11
	s_branch .LBB8_26
.LBB8_25:                               ;   in Loop: Header=BB8_12 Depth=1
                                        ; implicit-def: $vgpr14_vgpr15
	s_andn2_b64 vcc, exec, s[0:1]
	s_cbranch_vccnz .LBB8_11
.LBB8_26:                               ;   in Loop: Header=BB8_12 Depth=1
	s_waitcnt vmcnt(0)
	v_cmp_u_f64_e32 vcc, v[20:21], v[20:21]
	v_cmp_lt_f64_e64 s[0:1], v[18:19], v[20:21]
	s_or_b64 vcc, vcc, s[0:1]
	v_cndmask_b32_e32 v15, v19, v21, vcc
	v_cndmask_b32_e32 v14, v18, v20, vcc
	s_branch .LBB8_11
.LBB8_27:
	s_or_b64 exec, exec, s[12:13]
.LBB8_28:
	s_or_b64 exec, exec, s[2:3]
	v_mul_lo_u32 v12, v9, s38
	v_mul_lo_u32 v13, v8, s39
	v_mad_u64_u32 v[8:9], s[0:1], v8, s38, 0
	v_add3_u32 v9, v9, v13, v12
	v_lshlrev_b64 v[8:9], 2, v[8:9]
	v_mov_b32_e32 v12, s29
	v_add_co_u32_e32 v8, vcc, s28, v8
	v_addc_co_u32_e32 v9, vcc, v12, v9, vcc
	v_add_co_u32_e32 v8, vcc, v8, v10
	v_addc_co_u32_e32 v9, vcc, v9, v11, vcc
	global_load_dword v10, v[8:9], off
	s_waitcnt vmcnt(0)
	v_cmp_lt_i32_e32 vcc, -1, v10
	s_and_saveexec_b64 s[0:1], vcc
	s_xor_b64 s[2:3], exec, s[0:1]
	s_cbranch_execz .LBB8_34
; %bb.29:
	s_load_dword s0, s[4:5], 0x38
	v_cmp_ne_u32_e32 vcc, 0, v10
	v_mov_b32_e32 v8, 0
	v_mov_b32_e32 v9, 0x7ff80000
	s_waitcnt lgkmcnt(0)
	s_bitcmp1_b32 s0, 0
	s_cselect_b64 s[0:1], -1, 0
	s_or_b64 s[0:1], s[0:1], vcc
	s_cmp_lg_u32 s22, 1
	s_cselect_b64 s[6:7], -1, 0
	s_or_b64 s[0:1], s[6:7], s[0:1]
	s_and_saveexec_b64 s[4:5], s[0:1]
	s_cbranch_execz .LBB8_33
; %bb.30:
	v_cmp_o_f64_e32 vcc, v[14:15], v[14:15]
	v_cmp_ne_u32_e64 s[0:1], 0, v10
	s_xor_b64 s[6:7], s[6:7], -1
	s_and_b64 s[0:1], s[6:7], s[0:1]
	s_and_b64 s[6:7], s[0:1], vcc
	s_and_saveexec_b64 s[0:1], s[6:7]
	s_cbranch_execz .LBB8_32
; %bb.31:
	v_cvt_f64_u32_e32 v[8:9], v10
	v_div_scale_f64 v[10:11], s[6:7], v[8:9], v[8:9], v[14:15]
	v_div_scale_f64 v[18:19], vcc, v[14:15], v[8:9], v[14:15]
	v_rcp_f64_e32 v[12:13], v[10:11]
	v_fma_f64 v[16:17], -v[10:11], v[12:13], 1.0
	v_fma_f64 v[12:13], v[12:13], v[16:17], v[12:13]
	v_fma_f64 v[16:17], -v[10:11], v[12:13], 1.0
	v_fma_f64 v[12:13], v[12:13], v[16:17], v[12:13]
	v_mul_f64 v[16:17], v[18:19], v[12:13]
	v_fma_f64 v[10:11], -v[10:11], v[16:17], v[18:19]
	v_div_fmas_f64 v[10:11], v[10:11], v[12:13], v[16:17]
	v_div_fixup_f64 v[14:15], v[10:11], v[8:9], v[14:15]
.LBB8_32:
	s_or_b64 exec, exec, s[0:1]
	v_mov_b32_e32 v8, v14
	v_mov_b32_e32 v9, v15
.LBB8_33:
	s_or_b64 exec, exec, s[4:5]
	s_mul_i32 s0, s20, s19
	s_mul_hi_u32 s1, s20, s18
	s_add_i32 s0, s1, s0
	s_mul_i32 s1, s21, s18
	s_add_i32 s0, s0, s1
	s_mul_i32 s1, s20, s18
	v_mul_lo_u32 v10, s0, v2
	v_mul_lo_u32 v11, s1, v3
	v_mad_u64_u32 v[2:3], s[0:1], s1, v2, 0
	v_mul_lo_u32 v12, v5, s18
	v_mul_lo_u32 v13, v4, s19
	v_mad_u64_u32 v[4:5], s[0:1], v4, s18, 0
	v_add3_u32 v3, v3, v11, v10
	v_sub_co_u32_e32 v0, vcc, v0, v6
	v_lshlrev_b64 v[2:3], 3, v[2:3]
	v_subb_co_u32_e32 v1, vcc, v1, v7, vcc
	v_add3_u32 v5, v5, v13, v12
	v_mov_b32_e32 v6, s25
	v_add_co_u32_e32 v7, vcc, s24, v2
	v_addc_co_u32_e32 v6, vcc, v6, v3, vcc
	v_lshlrev_b64 v[2:3], 3, v[4:5]
	v_lshlrev_b64 v[0:1], 3, v[0:1]
	v_add_co_u32_e32 v2, vcc, v7, v2
	v_addc_co_u32_e32 v3, vcc, v6, v3, vcc
	v_add_co_u32_e32 v0, vcc, v2, v0
	v_addc_co_u32_e32 v1, vcc, v3, v1, vcc
	global_store_dwordx2 v[0:1], v[8:9], off
.LBB8_34:
	s_andn2_saveexec_b64 s[0:1], s[2:3]
	s_cbranch_execnz .LBB8_36
.LBB8_35:
	s_endpgm
.LBB8_36:
	s_trap 2
	; divergent unreachable
	s_endpgm
	.section	.rodata,"a",@progbits
	.p2align	6, 0x0
	.amdhsa_kernel _ZN2at6native12_GLOBAL__N_129segment_reduce_forward_kernelIdiEEvNS0_13ReductionTypeEPT_PKS4_PKT0_SA_llbS4_lllllll
		.amdhsa_group_segment_fixed_size 0
		.amdhsa_private_segment_fixed_size 0
		.amdhsa_kernarg_size 384
		.amdhsa_user_sgpr_count 6
		.amdhsa_user_sgpr_private_segment_buffer 1
		.amdhsa_user_sgpr_dispatch_ptr 0
		.amdhsa_user_sgpr_queue_ptr 0
		.amdhsa_user_sgpr_kernarg_segment_ptr 1
		.amdhsa_user_sgpr_dispatch_id 0
		.amdhsa_user_sgpr_flat_scratch_init 0
		.amdhsa_user_sgpr_private_segment_size 0
		.amdhsa_uses_dynamic_stack 0
		.amdhsa_system_sgpr_private_segment_wavefront_offset 0
		.amdhsa_system_sgpr_workgroup_id_x 1
		.amdhsa_system_sgpr_workgroup_id_y 0
		.amdhsa_system_sgpr_workgroup_id_z 0
		.amdhsa_system_sgpr_workgroup_info 0
		.amdhsa_system_vgpr_workitem_id 0
		.amdhsa_next_free_vgpr 22
		.amdhsa_next_free_sgpr 44
		.amdhsa_reserve_vcc 1
		.amdhsa_reserve_flat_scratch 0
		.amdhsa_float_round_mode_32 0
		.amdhsa_float_round_mode_16_64 0
		.amdhsa_float_denorm_mode_32 3
		.amdhsa_float_denorm_mode_16_64 3
		.amdhsa_dx10_clamp 1
		.amdhsa_ieee_mode 1
		.amdhsa_fp16_overflow 0
		.amdhsa_exception_fp_ieee_invalid_op 0
		.amdhsa_exception_fp_denorm_src 0
		.amdhsa_exception_fp_ieee_div_zero 0
		.amdhsa_exception_fp_ieee_overflow 0
		.amdhsa_exception_fp_ieee_underflow 0
		.amdhsa_exception_fp_ieee_inexact 0
		.amdhsa_exception_int_div_zero 0
	.end_amdhsa_kernel
	.section	.text._ZN2at6native12_GLOBAL__N_129segment_reduce_forward_kernelIdiEEvNS0_13ReductionTypeEPT_PKS4_PKT0_SA_llbS4_lllllll,"axG",@progbits,_ZN2at6native12_GLOBAL__N_129segment_reduce_forward_kernelIdiEEvNS0_13ReductionTypeEPT_PKS4_PKT0_SA_llbS4_lllllll,comdat
.Lfunc_end8:
	.size	_ZN2at6native12_GLOBAL__N_129segment_reduce_forward_kernelIdiEEvNS0_13ReductionTypeEPT_PKS4_PKT0_SA_llbS4_lllllll, .Lfunc_end8-_ZN2at6native12_GLOBAL__N_129segment_reduce_forward_kernelIdiEEvNS0_13ReductionTypeEPT_PKS4_PKT0_SA_llbS4_lllllll
                                        ; -- End function
	.set _ZN2at6native12_GLOBAL__N_129segment_reduce_forward_kernelIdiEEvNS0_13ReductionTypeEPT_PKS4_PKT0_SA_llbS4_lllllll.num_vgpr, 22
	.set _ZN2at6native12_GLOBAL__N_129segment_reduce_forward_kernelIdiEEvNS0_13ReductionTypeEPT_PKS4_PKT0_SA_llbS4_lllllll.num_agpr, 0
	.set _ZN2at6native12_GLOBAL__N_129segment_reduce_forward_kernelIdiEEvNS0_13ReductionTypeEPT_PKS4_PKT0_SA_llbS4_lllllll.numbered_sgpr, 44
	.set _ZN2at6native12_GLOBAL__N_129segment_reduce_forward_kernelIdiEEvNS0_13ReductionTypeEPT_PKS4_PKT0_SA_llbS4_lllllll.num_named_barrier, 0
	.set _ZN2at6native12_GLOBAL__N_129segment_reduce_forward_kernelIdiEEvNS0_13ReductionTypeEPT_PKS4_PKT0_SA_llbS4_lllllll.private_seg_size, 0
	.set _ZN2at6native12_GLOBAL__N_129segment_reduce_forward_kernelIdiEEvNS0_13ReductionTypeEPT_PKS4_PKT0_SA_llbS4_lllllll.uses_vcc, 1
	.set _ZN2at6native12_GLOBAL__N_129segment_reduce_forward_kernelIdiEEvNS0_13ReductionTypeEPT_PKS4_PKT0_SA_llbS4_lllllll.uses_flat_scratch, 0
	.set _ZN2at6native12_GLOBAL__N_129segment_reduce_forward_kernelIdiEEvNS0_13ReductionTypeEPT_PKS4_PKT0_SA_llbS4_lllllll.has_dyn_sized_stack, 0
	.set _ZN2at6native12_GLOBAL__N_129segment_reduce_forward_kernelIdiEEvNS0_13ReductionTypeEPT_PKS4_PKT0_SA_llbS4_lllllll.has_recursion, 0
	.set _ZN2at6native12_GLOBAL__N_129segment_reduce_forward_kernelIdiEEvNS0_13ReductionTypeEPT_PKS4_PKT0_SA_llbS4_lllllll.has_indirect_call, 0
	.section	.AMDGPU.csdata,"",@progbits
; Kernel info:
; codeLenInByte = 2712
; TotalNumSgprs: 48
; NumVgprs: 22
; ScratchSize: 0
; MemoryBound: 0
; FloatMode: 240
; IeeeMode: 1
; LDSByteSize: 0 bytes/workgroup (compile time only)
; SGPRBlocks: 5
; VGPRBlocks: 5
; NumSGPRsForWavesPerEU: 48
; NumVGPRsForWavesPerEU: 22
; Occupancy: 10
; WaveLimiterHint : 0
; COMPUTE_PGM_RSRC2:SCRATCH_EN: 0
; COMPUTE_PGM_RSRC2:USER_SGPR: 6
; COMPUTE_PGM_RSRC2:TRAP_HANDLER: 0
; COMPUTE_PGM_RSRC2:TGID_X_EN: 1
; COMPUTE_PGM_RSRC2:TGID_Y_EN: 0
; COMPUTE_PGM_RSRC2:TGID_Z_EN: 0
; COMPUTE_PGM_RSRC2:TIDIG_COMP_CNT: 0
	.section	.text._ZN7rocprim17ROCPRIM_400000_NS6detail17trampoline_kernelINS0_14default_configENS1_32segmented_reduce_config_selectorIdEEZNS1_21segmented_reduce_implIS3_PKdPdPKidN6hipcub16HIPCUB_304000_NS6detail27convert_result_type_wrapperIS8_S9_N2at6native12_GLOBAL__N_19CustomMaxEEEEE10hipError_tPvRmT0_T1_jT2_SQ_T4_T3_P12ihipStream_tbEUlT_E_NS1_11comp_targetILNS1_3genE0ELNS1_11target_archE4294967295ELNS1_3gpuE0ELNS1_3repE0EEENS1_30default_config_static_selectorELNS0_4arch9wavefront6targetE1EEEvSP_,"axG",@progbits,_ZN7rocprim17ROCPRIM_400000_NS6detail17trampoline_kernelINS0_14default_configENS1_32segmented_reduce_config_selectorIdEEZNS1_21segmented_reduce_implIS3_PKdPdPKidN6hipcub16HIPCUB_304000_NS6detail27convert_result_type_wrapperIS8_S9_N2at6native12_GLOBAL__N_19CustomMaxEEEEE10hipError_tPvRmT0_T1_jT2_SQ_T4_T3_P12ihipStream_tbEUlT_E_NS1_11comp_targetILNS1_3genE0ELNS1_11target_archE4294967295ELNS1_3gpuE0ELNS1_3repE0EEENS1_30default_config_static_selectorELNS0_4arch9wavefront6targetE1EEEvSP_,comdat
	.globl	_ZN7rocprim17ROCPRIM_400000_NS6detail17trampoline_kernelINS0_14default_configENS1_32segmented_reduce_config_selectorIdEEZNS1_21segmented_reduce_implIS3_PKdPdPKidN6hipcub16HIPCUB_304000_NS6detail27convert_result_type_wrapperIS8_S9_N2at6native12_GLOBAL__N_19CustomMaxEEEEE10hipError_tPvRmT0_T1_jT2_SQ_T4_T3_P12ihipStream_tbEUlT_E_NS1_11comp_targetILNS1_3genE0ELNS1_11target_archE4294967295ELNS1_3gpuE0ELNS1_3repE0EEENS1_30default_config_static_selectorELNS0_4arch9wavefront6targetE1EEEvSP_ ; -- Begin function _ZN7rocprim17ROCPRIM_400000_NS6detail17trampoline_kernelINS0_14default_configENS1_32segmented_reduce_config_selectorIdEEZNS1_21segmented_reduce_implIS3_PKdPdPKidN6hipcub16HIPCUB_304000_NS6detail27convert_result_type_wrapperIS8_S9_N2at6native12_GLOBAL__N_19CustomMaxEEEEE10hipError_tPvRmT0_T1_jT2_SQ_T4_T3_P12ihipStream_tbEUlT_E_NS1_11comp_targetILNS1_3genE0ELNS1_11target_archE4294967295ELNS1_3gpuE0ELNS1_3repE0EEENS1_30default_config_static_selectorELNS0_4arch9wavefront6targetE1EEEvSP_
	.p2align	8
	.type	_ZN7rocprim17ROCPRIM_400000_NS6detail17trampoline_kernelINS0_14default_configENS1_32segmented_reduce_config_selectorIdEEZNS1_21segmented_reduce_implIS3_PKdPdPKidN6hipcub16HIPCUB_304000_NS6detail27convert_result_type_wrapperIS8_S9_N2at6native12_GLOBAL__N_19CustomMaxEEEEE10hipError_tPvRmT0_T1_jT2_SQ_T4_T3_P12ihipStream_tbEUlT_E_NS1_11comp_targetILNS1_3genE0ELNS1_11target_archE4294967295ELNS1_3gpuE0ELNS1_3repE0EEENS1_30default_config_static_selectorELNS0_4arch9wavefront6targetE1EEEvSP_,@function
_ZN7rocprim17ROCPRIM_400000_NS6detail17trampoline_kernelINS0_14default_configENS1_32segmented_reduce_config_selectorIdEEZNS1_21segmented_reduce_implIS3_PKdPdPKidN6hipcub16HIPCUB_304000_NS6detail27convert_result_type_wrapperIS8_S9_N2at6native12_GLOBAL__N_19CustomMaxEEEEE10hipError_tPvRmT0_T1_jT2_SQ_T4_T3_P12ihipStream_tbEUlT_E_NS1_11comp_targetILNS1_3genE0ELNS1_11target_archE4294967295ELNS1_3gpuE0ELNS1_3repE0EEENS1_30default_config_static_selectorELNS0_4arch9wavefront6targetE1EEEvSP_: ; @_ZN7rocprim17ROCPRIM_400000_NS6detail17trampoline_kernelINS0_14default_configENS1_32segmented_reduce_config_selectorIdEEZNS1_21segmented_reduce_implIS3_PKdPdPKidN6hipcub16HIPCUB_304000_NS6detail27convert_result_type_wrapperIS8_S9_N2at6native12_GLOBAL__N_19CustomMaxEEEEE10hipError_tPvRmT0_T1_jT2_SQ_T4_T3_P12ihipStream_tbEUlT_E_NS1_11comp_targetILNS1_3genE0ELNS1_11target_archE4294967295ELNS1_3gpuE0ELNS1_3repE0EEENS1_30default_config_static_selectorELNS0_4arch9wavefront6targetE1EEEvSP_
; %bb.0:
	.section	.rodata,"a",@progbits
	.p2align	6, 0x0
	.amdhsa_kernel _ZN7rocprim17ROCPRIM_400000_NS6detail17trampoline_kernelINS0_14default_configENS1_32segmented_reduce_config_selectorIdEEZNS1_21segmented_reduce_implIS3_PKdPdPKidN6hipcub16HIPCUB_304000_NS6detail27convert_result_type_wrapperIS8_S9_N2at6native12_GLOBAL__N_19CustomMaxEEEEE10hipError_tPvRmT0_T1_jT2_SQ_T4_T3_P12ihipStream_tbEUlT_E_NS1_11comp_targetILNS1_3genE0ELNS1_11target_archE4294967295ELNS1_3gpuE0ELNS1_3repE0EEENS1_30default_config_static_selectorELNS0_4arch9wavefront6targetE1EEEvSP_
		.amdhsa_group_segment_fixed_size 0
		.amdhsa_private_segment_fixed_size 0
		.amdhsa_kernarg_size 56
		.amdhsa_user_sgpr_count 6
		.amdhsa_user_sgpr_private_segment_buffer 1
		.amdhsa_user_sgpr_dispatch_ptr 0
		.amdhsa_user_sgpr_queue_ptr 0
		.amdhsa_user_sgpr_kernarg_segment_ptr 1
		.amdhsa_user_sgpr_dispatch_id 0
		.amdhsa_user_sgpr_flat_scratch_init 0
		.amdhsa_user_sgpr_private_segment_size 0
		.amdhsa_uses_dynamic_stack 0
		.amdhsa_system_sgpr_private_segment_wavefront_offset 0
		.amdhsa_system_sgpr_workgroup_id_x 1
		.amdhsa_system_sgpr_workgroup_id_y 0
		.amdhsa_system_sgpr_workgroup_id_z 0
		.amdhsa_system_sgpr_workgroup_info 0
		.amdhsa_system_vgpr_workitem_id 0
		.amdhsa_next_free_vgpr 1
		.amdhsa_next_free_sgpr 0
		.amdhsa_reserve_vcc 0
		.amdhsa_reserve_flat_scratch 0
		.amdhsa_float_round_mode_32 0
		.amdhsa_float_round_mode_16_64 0
		.amdhsa_float_denorm_mode_32 3
		.amdhsa_float_denorm_mode_16_64 3
		.amdhsa_dx10_clamp 1
		.amdhsa_ieee_mode 1
		.amdhsa_fp16_overflow 0
		.amdhsa_exception_fp_ieee_invalid_op 0
		.amdhsa_exception_fp_denorm_src 0
		.amdhsa_exception_fp_ieee_div_zero 0
		.amdhsa_exception_fp_ieee_overflow 0
		.amdhsa_exception_fp_ieee_underflow 0
		.amdhsa_exception_fp_ieee_inexact 0
		.amdhsa_exception_int_div_zero 0
	.end_amdhsa_kernel
	.section	.text._ZN7rocprim17ROCPRIM_400000_NS6detail17trampoline_kernelINS0_14default_configENS1_32segmented_reduce_config_selectorIdEEZNS1_21segmented_reduce_implIS3_PKdPdPKidN6hipcub16HIPCUB_304000_NS6detail27convert_result_type_wrapperIS8_S9_N2at6native12_GLOBAL__N_19CustomMaxEEEEE10hipError_tPvRmT0_T1_jT2_SQ_T4_T3_P12ihipStream_tbEUlT_E_NS1_11comp_targetILNS1_3genE0ELNS1_11target_archE4294967295ELNS1_3gpuE0ELNS1_3repE0EEENS1_30default_config_static_selectorELNS0_4arch9wavefront6targetE1EEEvSP_,"axG",@progbits,_ZN7rocprim17ROCPRIM_400000_NS6detail17trampoline_kernelINS0_14default_configENS1_32segmented_reduce_config_selectorIdEEZNS1_21segmented_reduce_implIS3_PKdPdPKidN6hipcub16HIPCUB_304000_NS6detail27convert_result_type_wrapperIS8_S9_N2at6native12_GLOBAL__N_19CustomMaxEEEEE10hipError_tPvRmT0_T1_jT2_SQ_T4_T3_P12ihipStream_tbEUlT_E_NS1_11comp_targetILNS1_3genE0ELNS1_11target_archE4294967295ELNS1_3gpuE0ELNS1_3repE0EEENS1_30default_config_static_selectorELNS0_4arch9wavefront6targetE1EEEvSP_,comdat
.Lfunc_end9:
	.size	_ZN7rocprim17ROCPRIM_400000_NS6detail17trampoline_kernelINS0_14default_configENS1_32segmented_reduce_config_selectorIdEEZNS1_21segmented_reduce_implIS3_PKdPdPKidN6hipcub16HIPCUB_304000_NS6detail27convert_result_type_wrapperIS8_S9_N2at6native12_GLOBAL__N_19CustomMaxEEEEE10hipError_tPvRmT0_T1_jT2_SQ_T4_T3_P12ihipStream_tbEUlT_E_NS1_11comp_targetILNS1_3genE0ELNS1_11target_archE4294967295ELNS1_3gpuE0ELNS1_3repE0EEENS1_30default_config_static_selectorELNS0_4arch9wavefront6targetE1EEEvSP_, .Lfunc_end9-_ZN7rocprim17ROCPRIM_400000_NS6detail17trampoline_kernelINS0_14default_configENS1_32segmented_reduce_config_selectorIdEEZNS1_21segmented_reduce_implIS3_PKdPdPKidN6hipcub16HIPCUB_304000_NS6detail27convert_result_type_wrapperIS8_S9_N2at6native12_GLOBAL__N_19CustomMaxEEEEE10hipError_tPvRmT0_T1_jT2_SQ_T4_T3_P12ihipStream_tbEUlT_E_NS1_11comp_targetILNS1_3genE0ELNS1_11target_archE4294967295ELNS1_3gpuE0ELNS1_3repE0EEENS1_30default_config_static_selectorELNS0_4arch9wavefront6targetE1EEEvSP_
                                        ; -- End function
	.set _ZN7rocprim17ROCPRIM_400000_NS6detail17trampoline_kernelINS0_14default_configENS1_32segmented_reduce_config_selectorIdEEZNS1_21segmented_reduce_implIS3_PKdPdPKidN6hipcub16HIPCUB_304000_NS6detail27convert_result_type_wrapperIS8_S9_N2at6native12_GLOBAL__N_19CustomMaxEEEEE10hipError_tPvRmT0_T1_jT2_SQ_T4_T3_P12ihipStream_tbEUlT_E_NS1_11comp_targetILNS1_3genE0ELNS1_11target_archE4294967295ELNS1_3gpuE0ELNS1_3repE0EEENS1_30default_config_static_selectorELNS0_4arch9wavefront6targetE1EEEvSP_.num_vgpr, 0
	.set _ZN7rocprim17ROCPRIM_400000_NS6detail17trampoline_kernelINS0_14default_configENS1_32segmented_reduce_config_selectorIdEEZNS1_21segmented_reduce_implIS3_PKdPdPKidN6hipcub16HIPCUB_304000_NS6detail27convert_result_type_wrapperIS8_S9_N2at6native12_GLOBAL__N_19CustomMaxEEEEE10hipError_tPvRmT0_T1_jT2_SQ_T4_T3_P12ihipStream_tbEUlT_E_NS1_11comp_targetILNS1_3genE0ELNS1_11target_archE4294967295ELNS1_3gpuE0ELNS1_3repE0EEENS1_30default_config_static_selectorELNS0_4arch9wavefront6targetE1EEEvSP_.num_agpr, 0
	.set _ZN7rocprim17ROCPRIM_400000_NS6detail17trampoline_kernelINS0_14default_configENS1_32segmented_reduce_config_selectorIdEEZNS1_21segmented_reduce_implIS3_PKdPdPKidN6hipcub16HIPCUB_304000_NS6detail27convert_result_type_wrapperIS8_S9_N2at6native12_GLOBAL__N_19CustomMaxEEEEE10hipError_tPvRmT0_T1_jT2_SQ_T4_T3_P12ihipStream_tbEUlT_E_NS1_11comp_targetILNS1_3genE0ELNS1_11target_archE4294967295ELNS1_3gpuE0ELNS1_3repE0EEENS1_30default_config_static_selectorELNS0_4arch9wavefront6targetE1EEEvSP_.numbered_sgpr, 0
	.set _ZN7rocprim17ROCPRIM_400000_NS6detail17trampoline_kernelINS0_14default_configENS1_32segmented_reduce_config_selectorIdEEZNS1_21segmented_reduce_implIS3_PKdPdPKidN6hipcub16HIPCUB_304000_NS6detail27convert_result_type_wrapperIS8_S9_N2at6native12_GLOBAL__N_19CustomMaxEEEEE10hipError_tPvRmT0_T1_jT2_SQ_T4_T3_P12ihipStream_tbEUlT_E_NS1_11comp_targetILNS1_3genE0ELNS1_11target_archE4294967295ELNS1_3gpuE0ELNS1_3repE0EEENS1_30default_config_static_selectorELNS0_4arch9wavefront6targetE1EEEvSP_.num_named_barrier, 0
	.set _ZN7rocprim17ROCPRIM_400000_NS6detail17trampoline_kernelINS0_14default_configENS1_32segmented_reduce_config_selectorIdEEZNS1_21segmented_reduce_implIS3_PKdPdPKidN6hipcub16HIPCUB_304000_NS6detail27convert_result_type_wrapperIS8_S9_N2at6native12_GLOBAL__N_19CustomMaxEEEEE10hipError_tPvRmT0_T1_jT2_SQ_T4_T3_P12ihipStream_tbEUlT_E_NS1_11comp_targetILNS1_3genE0ELNS1_11target_archE4294967295ELNS1_3gpuE0ELNS1_3repE0EEENS1_30default_config_static_selectorELNS0_4arch9wavefront6targetE1EEEvSP_.private_seg_size, 0
	.set _ZN7rocprim17ROCPRIM_400000_NS6detail17trampoline_kernelINS0_14default_configENS1_32segmented_reduce_config_selectorIdEEZNS1_21segmented_reduce_implIS3_PKdPdPKidN6hipcub16HIPCUB_304000_NS6detail27convert_result_type_wrapperIS8_S9_N2at6native12_GLOBAL__N_19CustomMaxEEEEE10hipError_tPvRmT0_T1_jT2_SQ_T4_T3_P12ihipStream_tbEUlT_E_NS1_11comp_targetILNS1_3genE0ELNS1_11target_archE4294967295ELNS1_3gpuE0ELNS1_3repE0EEENS1_30default_config_static_selectorELNS0_4arch9wavefront6targetE1EEEvSP_.uses_vcc, 0
	.set _ZN7rocprim17ROCPRIM_400000_NS6detail17trampoline_kernelINS0_14default_configENS1_32segmented_reduce_config_selectorIdEEZNS1_21segmented_reduce_implIS3_PKdPdPKidN6hipcub16HIPCUB_304000_NS6detail27convert_result_type_wrapperIS8_S9_N2at6native12_GLOBAL__N_19CustomMaxEEEEE10hipError_tPvRmT0_T1_jT2_SQ_T4_T3_P12ihipStream_tbEUlT_E_NS1_11comp_targetILNS1_3genE0ELNS1_11target_archE4294967295ELNS1_3gpuE0ELNS1_3repE0EEENS1_30default_config_static_selectorELNS0_4arch9wavefront6targetE1EEEvSP_.uses_flat_scratch, 0
	.set _ZN7rocprim17ROCPRIM_400000_NS6detail17trampoline_kernelINS0_14default_configENS1_32segmented_reduce_config_selectorIdEEZNS1_21segmented_reduce_implIS3_PKdPdPKidN6hipcub16HIPCUB_304000_NS6detail27convert_result_type_wrapperIS8_S9_N2at6native12_GLOBAL__N_19CustomMaxEEEEE10hipError_tPvRmT0_T1_jT2_SQ_T4_T3_P12ihipStream_tbEUlT_E_NS1_11comp_targetILNS1_3genE0ELNS1_11target_archE4294967295ELNS1_3gpuE0ELNS1_3repE0EEENS1_30default_config_static_selectorELNS0_4arch9wavefront6targetE1EEEvSP_.has_dyn_sized_stack, 0
	.set _ZN7rocprim17ROCPRIM_400000_NS6detail17trampoline_kernelINS0_14default_configENS1_32segmented_reduce_config_selectorIdEEZNS1_21segmented_reduce_implIS3_PKdPdPKidN6hipcub16HIPCUB_304000_NS6detail27convert_result_type_wrapperIS8_S9_N2at6native12_GLOBAL__N_19CustomMaxEEEEE10hipError_tPvRmT0_T1_jT2_SQ_T4_T3_P12ihipStream_tbEUlT_E_NS1_11comp_targetILNS1_3genE0ELNS1_11target_archE4294967295ELNS1_3gpuE0ELNS1_3repE0EEENS1_30default_config_static_selectorELNS0_4arch9wavefront6targetE1EEEvSP_.has_recursion, 0
	.set _ZN7rocprim17ROCPRIM_400000_NS6detail17trampoline_kernelINS0_14default_configENS1_32segmented_reduce_config_selectorIdEEZNS1_21segmented_reduce_implIS3_PKdPdPKidN6hipcub16HIPCUB_304000_NS6detail27convert_result_type_wrapperIS8_S9_N2at6native12_GLOBAL__N_19CustomMaxEEEEE10hipError_tPvRmT0_T1_jT2_SQ_T4_T3_P12ihipStream_tbEUlT_E_NS1_11comp_targetILNS1_3genE0ELNS1_11target_archE4294967295ELNS1_3gpuE0ELNS1_3repE0EEENS1_30default_config_static_selectorELNS0_4arch9wavefront6targetE1EEEvSP_.has_indirect_call, 0
	.section	.AMDGPU.csdata,"",@progbits
; Kernel info:
; codeLenInByte = 0
; TotalNumSgprs: 4
; NumVgprs: 0
; ScratchSize: 0
; MemoryBound: 0
; FloatMode: 240
; IeeeMode: 1
; LDSByteSize: 0 bytes/workgroup (compile time only)
; SGPRBlocks: 0
; VGPRBlocks: 0
; NumSGPRsForWavesPerEU: 4
; NumVGPRsForWavesPerEU: 1
; Occupancy: 10
; WaveLimiterHint : 0
; COMPUTE_PGM_RSRC2:SCRATCH_EN: 0
; COMPUTE_PGM_RSRC2:USER_SGPR: 6
; COMPUTE_PGM_RSRC2:TRAP_HANDLER: 0
; COMPUTE_PGM_RSRC2:TGID_X_EN: 1
; COMPUTE_PGM_RSRC2:TGID_Y_EN: 0
; COMPUTE_PGM_RSRC2:TGID_Z_EN: 0
; COMPUTE_PGM_RSRC2:TIDIG_COMP_CNT: 0
	.section	.text._ZN7rocprim17ROCPRIM_400000_NS6detail17trampoline_kernelINS0_14default_configENS1_32segmented_reduce_config_selectorIdEEZNS1_21segmented_reduce_implIS3_PKdPdPKidN6hipcub16HIPCUB_304000_NS6detail27convert_result_type_wrapperIS8_S9_N2at6native12_GLOBAL__N_19CustomMaxEEEEE10hipError_tPvRmT0_T1_jT2_SQ_T4_T3_P12ihipStream_tbEUlT_E_NS1_11comp_targetILNS1_3genE5ELNS1_11target_archE942ELNS1_3gpuE9ELNS1_3repE0EEENS1_30default_config_static_selectorELNS0_4arch9wavefront6targetE1EEEvSP_,"axG",@progbits,_ZN7rocprim17ROCPRIM_400000_NS6detail17trampoline_kernelINS0_14default_configENS1_32segmented_reduce_config_selectorIdEEZNS1_21segmented_reduce_implIS3_PKdPdPKidN6hipcub16HIPCUB_304000_NS6detail27convert_result_type_wrapperIS8_S9_N2at6native12_GLOBAL__N_19CustomMaxEEEEE10hipError_tPvRmT0_T1_jT2_SQ_T4_T3_P12ihipStream_tbEUlT_E_NS1_11comp_targetILNS1_3genE5ELNS1_11target_archE942ELNS1_3gpuE9ELNS1_3repE0EEENS1_30default_config_static_selectorELNS0_4arch9wavefront6targetE1EEEvSP_,comdat
	.globl	_ZN7rocprim17ROCPRIM_400000_NS6detail17trampoline_kernelINS0_14default_configENS1_32segmented_reduce_config_selectorIdEEZNS1_21segmented_reduce_implIS3_PKdPdPKidN6hipcub16HIPCUB_304000_NS6detail27convert_result_type_wrapperIS8_S9_N2at6native12_GLOBAL__N_19CustomMaxEEEEE10hipError_tPvRmT0_T1_jT2_SQ_T4_T3_P12ihipStream_tbEUlT_E_NS1_11comp_targetILNS1_3genE5ELNS1_11target_archE942ELNS1_3gpuE9ELNS1_3repE0EEENS1_30default_config_static_selectorELNS0_4arch9wavefront6targetE1EEEvSP_ ; -- Begin function _ZN7rocprim17ROCPRIM_400000_NS6detail17trampoline_kernelINS0_14default_configENS1_32segmented_reduce_config_selectorIdEEZNS1_21segmented_reduce_implIS3_PKdPdPKidN6hipcub16HIPCUB_304000_NS6detail27convert_result_type_wrapperIS8_S9_N2at6native12_GLOBAL__N_19CustomMaxEEEEE10hipError_tPvRmT0_T1_jT2_SQ_T4_T3_P12ihipStream_tbEUlT_E_NS1_11comp_targetILNS1_3genE5ELNS1_11target_archE942ELNS1_3gpuE9ELNS1_3repE0EEENS1_30default_config_static_selectorELNS0_4arch9wavefront6targetE1EEEvSP_
	.p2align	8
	.type	_ZN7rocprim17ROCPRIM_400000_NS6detail17trampoline_kernelINS0_14default_configENS1_32segmented_reduce_config_selectorIdEEZNS1_21segmented_reduce_implIS3_PKdPdPKidN6hipcub16HIPCUB_304000_NS6detail27convert_result_type_wrapperIS8_S9_N2at6native12_GLOBAL__N_19CustomMaxEEEEE10hipError_tPvRmT0_T1_jT2_SQ_T4_T3_P12ihipStream_tbEUlT_E_NS1_11comp_targetILNS1_3genE5ELNS1_11target_archE942ELNS1_3gpuE9ELNS1_3repE0EEENS1_30default_config_static_selectorELNS0_4arch9wavefront6targetE1EEEvSP_,@function
_ZN7rocprim17ROCPRIM_400000_NS6detail17trampoline_kernelINS0_14default_configENS1_32segmented_reduce_config_selectorIdEEZNS1_21segmented_reduce_implIS3_PKdPdPKidN6hipcub16HIPCUB_304000_NS6detail27convert_result_type_wrapperIS8_S9_N2at6native12_GLOBAL__N_19CustomMaxEEEEE10hipError_tPvRmT0_T1_jT2_SQ_T4_T3_P12ihipStream_tbEUlT_E_NS1_11comp_targetILNS1_3genE5ELNS1_11target_archE942ELNS1_3gpuE9ELNS1_3repE0EEENS1_30default_config_static_selectorELNS0_4arch9wavefront6targetE1EEEvSP_: ; @_ZN7rocprim17ROCPRIM_400000_NS6detail17trampoline_kernelINS0_14default_configENS1_32segmented_reduce_config_selectorIdEEZNS1_21segmented_reduce_implIS3_PKdPdPKidN6hipcub16HIPCUB_304000_NS6detail27convert_result_type_wrapperIS8_S9_N2at6native12_GLOBAL__N_19CustomMaxEEEEE10hipError_tPvRmT0_T1_jT2_SQ_T4_T3_P12ihipStream_tbEUlT_E_NS1_11comp_targetILNS1_3genE5ELNS1_11target_archE942ELNS1_3gpuE9ELNS1_3repE0EEENS1_30default_config_static_selectorELNS0_4arch9wavefront6targetE1EEEvSP_
; %bb.0:
	.section	.rodata,"a",@progbits
	.p2align	6, 0x0
	.amdhsa_kernel _ZN7rocprim17ROCPRIM_400000_NS6detail17trampoline_kernelINS0_14default_configENS1_32segmented_reduce_config_selectorIdEEZNS1_21segmented_reduce_implIS3_PKdPdPKidN6hipcub16HIPCUB_304000_NS6detail27convert_result_type_wrapperIS8_S9_N2at6native12_GLOBAL__N_19CustomMaxEEEEE10hipError_tPvRmT0_T1_jT2_SQ_T4_T3_P12ihipStream_tbEUlT_E_NS1_11comp_targetILNS1_3genE5ELNS1_11target_archE942ELNS1_3gpuE9ELNS1_3repE0EEENS1_30default_config_static_selectorELNS0_4arch9wavefront6targetE1EEEvSP_
		.amdhsa_group_segment_fixed_size 0
		.amdhsa_private_segment_fixed_size 0
		.amdhsa_kernarg_size 56
		.amdhsa_user_sgpr_count 6
		.amdhsa_user_sgpr_private_segment_buffer 1
		.amdhsa_user_sgpr_dispatch_ptr 0
		.amdhsa_user_sgpr_queue_ptr 0
		.amdhsa_user_sgpr_kernarg_segment_ptr 1
		.amdhsa_user_sgpr_dispatch_id 0
		.amdhsa_user_sgpr_flat_scratch_init 0
		.amdhsa_user_sgpr_private_segment_size 0
		.amdhsa_uses_dynamic_stack 0
		.amdhsa_system_sgpr_private_segment_wavefront_offset 0
		.amdhsa_system_sgpr_workgroup_id_x 1
		.amdhsa_system_sgpr_workgroup_id_y 0
		.amdhsa_system_sgpr_workgroup_id_z 0
		.amdhsa_system_sgpr_workgroup_info 0
		.amdhsa_system_vgpr_workitem_id 0
		.amdhsa_next_free_vgpr 1
		.amdhsa_next_free_sgpr 0
		.amdhsa_reserve_vcc 0
		.amdhsa_reserve_flat_scratch 0
		.amdhsa_float_round_mode_32 0
		.amdhsa_float_round_mode_16_64 0
		.amdhsa_float_denorm_mode_32 3
		.amdhsa_float_denorm_mode_16_64 3
		.amdhsa_dx10_clamp 1
		.amdhsa_ieee_mode 1
		.amdhsa_fp16_overflow 0
		.amdhsa_exception_fp_ieee_invalid_op 0
		.amdhsa_exception_fp_denorm_src 0
		.amdhsa_exception_fp_ieee_div_zero 0
		.amdhsa_exception_fp_ieee_overflow 0
		.amdhsa_exception_fp_ieee_underflow 0
		.amdhsa_exception_fp_ieee_inexact 0
		.amdhsa_exception_int_div_zero 0
	.end_amdhsa_kernel
	.section	.text._ZN7rocprim17ROCPRIM_400000_NS6detail17trampoline_kernelINS0_14default_configENS1_32segmented_reduce_config_selectorIdEEZNS1_21segmented_reduce_implIS3_PKdPdPKidN6hipcub16HIPCUB_304000_NS6detail27convert_result_type_wrapperIS8_S9_N2at6native12_GLOBAL__N_19CustomMaxEEEEE10hipError_tPvRmT0_T1_jT2_SQ_T4_T3_P12ihipStream_tbEUlT_E_NS1_11comp_targetILNS1_3genE5ELNS1_11target_archE942ELNS1_3gpuE9ELNS1_3repE0EEENS1_30default_config_static_selectorELNS0_4arch9wavefront6targetE1EEEvSP_,"axG",@progbits,_ZN7rocprim17ROCPRIM_400000_NS6detail17trampoline_kernelINS0_14default_configENS1_32segmented_reduce_config_selectorIdEEZNS1_21segmented_reduce_implIS3_PKdPdPKidN6hipcub16HIPCUB_304000_NS6detail27convert_result_type_wrapperIS8_S9_N2at6native12_GLOBAL__N_19CustomMaxEEEEE10hipError_tPvRmT0_T1_jT2_SQ_T4_T3_P12ihipStream_tbEUlT_E_NS1_11comp_targetILNS1_3genE5ELNS1_11target_archE942ELNS1_3gpuE9ELNS1_3repE0EEENS1_30default_config_static_selectorELNS0_4arch9wavefront6targetE1EEEvSP_,comdat
.Lfunc_end10:
	.size	_ZN7rocprim17ROCPRIM_400000_NS6detail17trampoline_kernelINS0_14default_configENS1_32segmented_reduce_config_selectorIdEEZNS1_21segmented_reduce_implIS3_PKdPdPKidN6hipcub16HIPCUB_304000_NS6detail27convert_result_type_wrapperIS8_S9_N2at6native12_GLOBAL__N_19CustomMaxEEEEE10hipError_tPvRmT0_T1_jT2_SQ_T4_T3_P12ihipStream_tbEUlT_E_NS1_11comp_targetILNS1_3genE5ELNS1_11target_archE942ELNS1_3gpuE9ELNS1_3repE0EEENS1_30default_config_static_selectorELNS0_4arch9wavefront6targetE1EEEvSP_, .Lfunc_end10-_ZN7rocprim17ROCPRIM_400000_NS6detail17trampoline_kernelINS0_14default_configENS1_32segmented_reduce_config_selectorIdEEZNS1_21segmented_reduce_implIS3_PKdPdPKidN6hipcub16HIPCUB_304000_NS6detail27convert_result_type_wrapperIS8_S9_N2at6native12_GLOBAL__N_19CustomMaxEEEEE10hipError_tPvRmT0_T1_jT2_SQ_T4_T3_P12ihipStream_tbEUlT_E_NS1_11comp_targetILNS1_3genE5ELNS1_11target_archE942ELNS1_3gpuE9ELNS1_3repE0EEENS1_30default_config_static_selectorELNS0_4arch9wavefront6targetE1EEEvSP_
                                        ; -- End function
	.set _ZN7rocprim17ROCPRIM_400000_NS6detail17trampoline_kernelINS0_14default_configENS1_32segmented_reduce_config_selectorIdEEZNS1_21segmented_reduce_implIS3_PKdPdPKidN6hipcub16HIPCUB_304000_NS6detail27convert_result_type_wrapperIS8_S9_N2at6native12_GLOBAL__N_19CustomMaxEEEEE10hipError_tPvRmT0_T1_jT2_SQ_T4_T3_P12ihipStream_tbEUlT_E_NS1_11comp_targetILNS1_3genE5ELNS1_11target_archE942ELNS1_3gpuE9ELNS1_3repE0EEENS1_30default_config_static_selectorELNS0_4arch9wavefront6targetE1EEEvSP_.num_vgpr, 0
	.set _ZN7rocprim17ROCPRIM_400000_NS6detail17trampoline_kernelINS0_14default_configENS1_32segmented_reduce_config_selectorIdEEZNS1_21segmented_reduce_implIS3_PKdPdPKidN6hipcub16HIPCUB_304000_NS6detail27convert_result_type_wrapperIS8_S9_N2at6native12_GLOBAL__N_19CustomMaxEEEEE10hipError_tPvRmT0_T1_jT2_SQ_T4_T3_P12ihipStream_tbEUlT_E_NS1_11comp_targetILNS1_3genE5ELNS1_11target_archE942ELNS1_3gpuE9ELNS1_3repE0EEENS1_30default_config_static_selectorELNS0_4arch9wavefront6targetE1EEEvSP_.num_agpr, 0
	.set _ZN7rocprim17ROCPRIM_400000_NS6detail17trampoline_kernelINS0_14default_configENS1_32segmented_reduce_config_selectorIdEEZNS1_21segmented_reduce_implIS3_PKdPdPKidN6hipcub16HIPCUB_304000_NS6detail27convert_result_type_wrapperIS8_S9_N2at6native12_GLOBAL__N_19CustomMaxEEEEE10hipError_tPvRmT0_T1_jT2_SQ_T4_T3_P12ihipStream_tbEUlT_E_NS1_11comp_targetILNS1_3genE5ELNS1_11target_archE942ELNS1_3gpuE9ELNS1_3repE0EEENS1_30default_config_static_selectorELNS0_4arch9wavefront6targetE1EEEvSP_.numbered_sgpr, 0
	.set _ZN7rocprim17ROCPRIM_400000_NS6detail17trampoline_kernelINS0_14default_configENS1_32segmented_reduce_config_selectorIdEEZNS1_21segmented_reduce_implIS3_PKdPdPKidN6hipcub16HIPCUB_304000_NS6detail27convert_result_type_wrapperIS8_S9_N2at6native12_GLOBAL__N_19CustomMaxEEEEE10hipError_tPvRmT0_T1_jT2_SQ_T4_T3_P12ihipStream_tbEUlT_E_NS1_11comp_targetILNS1_3genE5ELNS1_11target_archE942ELNS1_3gpuE9ELNS1_3repE0EEENS1_30default_config_static_selectorELNS0_4arch9wavefront6targetE1EEEvSP_.num_named_barrier, 0
	.set _ZN7rocprim17ROCPRIM_400000_NS6detail17trampoline_kernelINS0_14default_configENS1_32segmented_reduce_config_selectorIdEEZNS1_21segmented_reduce_implIS3_PKdPdPKidN6hipcub16HIPCUB_304000_NS6detail27convert_result_type_wrapperIS8_S9_N2at6native12_GLOBAL__N_19CustomMaxEEEEE10hipError_tPvRmT0_T1_jT2_SQ_T4_T3_P12ihipStream_tbEUlT_E_NS1_11comp_targetILNS1_3genE5ELNS1_11target_archE942ELNS1_3gpuE9ELNS1_3repE0EEENS1_30default_config_static_selectorELNS0_4arch9wavefront6targetE1EEEvSP_.private_seg_size, 0
	.set _ZN7rocprim17ROCPRIM_400000_NS6detail17trampoline_kernelINS0_14default_configENS1_32segmented_reduce_config_selectorIdEEZNS1_21segmented_reduce_implIS3_PKdPdPKidN6hipcub16HIPCUB_304000_NS6detail27convert_result_type_wrapperIS8_S9_N2at6native12_GLOBAL__N_19CustomMaxEEEEE10hipError_tPvRmT0_T1_jT2_SQ_T4_T3_P12ihipStream_tbEUlT_E_NS1_11comp_targetILNS1_3genE5ELNS1_11target_archE942ELNS1_3gpuE9ELNS1_3repE0EEENS1_30default_config_static_selectorELNS0_4arch9wavefront6targetE1EEEvSP_.uses_vcc, 0
	.set _ZN7rocprim17ROCPRIM_400000_NS6detail17trampoline_kernelINS0_14default_configENS1_32segmented_reduce_config_selectorIdEEZNS1_21segmented_reduce_implIS3_PKdPdPKidN6hipcub16HIPCUB_304000_NS6detail27convert_result_type_wrapperIS8_S9_N2at6native12_GLOBAL__N_19CustomMaxEEEEE10hipError_tPvRmT0_T1_jT2_SQ_T4_T3_P12ihipStream_tbEUlT_E_NS1_11comp_targetILNS1_3genE5ELNS1_11target_archE942ELNS1_3gpuE9ELNS1_3repE0EEENS1_30default_config_static_selectorELNS0_4arch9wavefront6targetE1EEEvSP_.uses_flat_scratch, 0
	.set _ZN7rocprim17ROCPRIM_400000_NS6detail17trampoline_kernelINS0_14default_configENS1_32segmented_reduce_config_selectorIdEEZNS1_21segmented_reduce_implIS3_PKdPdPKidN6hipcub16HIPCUB_304000_NS6detail27convert_result_type_wrapperIS8_S9_N2at6native12_GLOBAL__N_19CustomMaxEEEEE10hipError_tPvRmT0_T1_jT2_SQ_T4_T3_P12ihipStream_tbEUlT_E_NS1_11comp_targetILNS1_3genE5ELNS1_11target_archE942ELNS1_3gpuE9ELNS1_3repE0EEENS1_30default_config_static_selectorELNS0_4arch9wavefront6targetE1EEEvSP_.has_dyn_sized_stack, 0
	.set _ZN7rocprim17ROCPRIM_400000_NS6detail17trampoline_kernelINS0_14default_configENS1_32segmented_reduce_config_selectorIdEEZNS1_21segmented_reduce_implIS3_PKdPdPKidN6hipcub16HIPCUB_304000_NS6detail27convert_result_type_wrapperIS8_S9_N2at6native12_GLOBAL__N_19CustomMaxEEEEE10hipError_tPvRmT0_T1_jT2_SQ_T4_T3_P12ihipStream_tbEUlT_E_NS1_11comp_targetILNS1_3genE5ELNS1_11target_archE942ELNS1_3gpuE9ELNS1_3repE0EEENS1_30default_config_static_selectorELNS0_4arch9wavefront6targetE1EEEvSP_.has_recursion, 0
	.set _ZN7rocprim17ROCPRIM_400000_NS6detail17trampoline_kernelINS0_14default_configENS1_32segmented_reduce_config_selectorIdEEZNS1_21segmented_reduce_implIS3_PKdPdPKidN6hipcub16HIPCUB_304000_NS6detail27convert_result_type_wrapperIS8_S9_N2at6native12_GLOBAL__N_19CustomMaxEEEEE10hipError_tPvRmT0_T1_jT2_SQ_T4_T3_P12ihipStream_tbEUlT_E_NS1_11comp_targetILNS1_3genE5ELNS1_11target_archE942ELNS1_3gpuE9ELNS1_3repE0EEENS1_30default_config_static_selectorELNS0_4arch9wavefront6targetE1EEEvSP_.has_indirect_call, 0
	.section	.AMDGPU.csdata,"",@progbits
; Kernel info:
; codeLenInByte = 0
; TotalNumSgprs: 4
; NumVgprs: 0
; ScratchSize: 0
; MemoryBound: 0
; FloatMode: 240
; IeeeMode: 1
; LDSByteSize: 0 bytes/workgroup (compile time only)
; SGPRBlocks: 0
; VGPRBlocks: 0
; NumSGPRsForWavesPerEU: 4
; NumVGPRsForWavesPerEU: 1
; Occupancy: 10
; WaveLimiterHint : 0
; COMPUTE_PGM_RSRC2:SCRATCH_EN: 0
; COMPUTE_PGM_RSRC2:USER_SGPR: 6
; COMPUTE_PGM_RSRC2:TRAP_HANDLER: 0
; COMPUTE_PGM_RSRC2:TGID_X_EN: 1
; COMPUTE_PGM_RSRC2:TGID_Y_EN: 0
; COMPUTE_PGM_RSRC2:TGID_Z_EN: 0
; COMPUTE_PGM_RSRC2:TIDIG_COMP_CNT: 0
	.section	.text._ZN7rocprim17ROCPRIM_400000_NS6detail17trampoline_kernelINS0_14default_configENS1_32segmented_reduce_config_selectorIdEEZNS1_21segmented_reduce_implIS3_PKdPdPKidN6hipcub16HIPCUB_304000_NS6detail27convert_result_type_wrapperIS8_S9_N2at6native12_GLOBAL__N_19CustomMaxEEEEE10hipError_tPvRmT0_T1_jT2_SQ_T4_T3_P12ihipStream_tbEUlT_E_NS1_11comp_targetILNS1_3genE10ELNS1_11target_archE1201ELNS1_3gpuE5ELNS1_3repE0EEENS1_30default_config_static_selectorELNS0_4arch9wavefront6targetE1EEEvSP_,"axG",@progbits,_ZN7rocprim17ROCPRIM_400000_NS6detail17trampoline_kernelINS0_14default_configENS1_32segmented_reduce_config_selectorIdEEZNS1_21segmented_reduce_implIS3_PKdPdPKidN6hipcub16HIPCUB_304000_NS6detail27convert_result_type_wrapperIS8_S9_N2at6native12_GLOBAL__N_19CustomMaxEEEEE10hipError_tPvRmT0_T1_jT2_SQ_T4_T3_P12ihipStream_tbEUlT_E_NS1_11comp_targetILNS1_3genE10ELNS1_11target_archE1201ELNS1_3gpuE5ELNS1_3repE0EEENS1_30default_config_static_selectorELNS0_4arch9wavefront6targetE1EEEvSP_,comdat
	.globl	_ZN7rocprim17ROCPRIM_400000_NS6detail17trampoline_kernelINS0_14default_configENS1_32segmented_reduce_config_selectorIdEEZNS1_21segmented_reduce_implIS3_PKdPdPKidN6hipcub16HIPCUB_304000_NS6detail27convert_result_type_wrapperIS8_S9_N2at6native12_GLOBAL__N_19CustomMaxEEEEE10hipError_tPvRmT0_T1_jT2_SQ_T4_T3_P12ihipStream_tbEUlT_E_NS1_11comp_targetILNS1_3genE10ELNS1_11target_archE1201ELNS1_3gpuE5ELNS1_3repE0EEENS1_30default_config_static_selectorELNS0_4arch9wavefront6targetE1EEEvSP_ ; -- Begin function _ZN7rocprim17ROCPRIM_400000_NS6detail17trampoline_kernelINS0_14default_configENS1_32segmented_reduce_config_selectorIdEEZNS1_21segmented_reduce_implIS3_PKdPdPKidN6hipcub16HIPCUB_304000_NS6detail27convert_result_type_wrapperIS8_S9_N2at6native12_GLOBAL__N_19CustomMaxEEEEE10hipError_tPvRmT0_T1_jT2_SQ_T4_T3_P12ihipStream_tbEUlT_E_NS1_11comp_targetILNS1_3genE10ELNS1_11target_archE1201ELNS1_3gpuE5ELNS1_3repE0EEENS1_30default_config_static_selectorELNS0_4arch9wavefront6targetE1EEEvSP_
	.p2align	8
	.type	_ZN7rocprim17ROCPRIM_400000_NS6detail17trampoline_kernelINS0_14default_configENS1_32segmented_reduce_config_selectorIdEEZNS1_21segmented_reduce_implIS3_PKdPdPKidN6hipcub16HIPCUB_304000_NS6detail27convert_result_type_wrapperIS8_S9_N2at6native12_GLOBAL__N_19CustomMaxEEEEE10hipError_tPvRmT0_T1_jT2_SQ_T4_T3_P12ihipStream_tbEUlT_E_NS1_11comp_targetILNS1_3genE10ELNS1_11target_archE1201ELNS1_3gpuE5ELNS1_3repE0EEENS1_30default_config_static_selectorELNS0_4arch9wavefront6targetE1EEEvSP_,@function
_ZN7rocprim17ROCPRIM_400000_NS6detail17trampoline_kernelINS0_14default_configENS1_32segmented_reduce_config_selectorIdEEZNS1_21segmented_reduce_implIS3_PKdPdPKidN6hipcub16HIPCUB_304000_NS6detail27convert_result_type_wrapperIS8_S9_N2at6native12_GLOBAL__N_19CustomMaxEEEEE10hipError_tPvRmT0_T1_jT2_SQ_T4_T3_P12ihipStream_tbEUlT_E_NS1_11comp_targetILNS1_3genE10ELNS1_11target_archE1201ELNS1_3gpuE5ELNS1_3repE0EEENS1_30default_config_static_selectorELNS0_4arch9wavefront6targetE1EEEvSP_: ; @_ZN7rocprim17ROCPRIM_400000_NS6detail17trampoline_kernelINS0_14default_configENS1_32segmented_reduce_config_selectorIdEEZNS1_21segmented_reduce_implIS3_PKdPdPKidN6hipcub16HIPCUB_304000_NS6detail27convert_result_type_wrapperIS8_S9_N2at6native12_GLOBAL__N_19CustomMaxEEEEE10hipError_tPvRmT0_T1_jT2_SQ_T4_T3_P12ihipStream_tbEUlT_E_NS1_11comp_targetILNS1_3genE10ELNS1_11target_archE1201ELNS1_3gpuE5ELNS1_3repE0EEENS1_30default_config_static_selectorELNS0_4arch9wavefront6targetE1EEEvSP_
; %bb.0:
	.section	.rodata,"a",@progbits
	.p2align	6, 0x0
	.amdhsa_kernel _ZN7rocprim17ROCPRIM_400000_NS6detail17trampoline_kernelINS0_14default_configENS1_32segmented_reduce_config_selectorIdEEZNS1_21segmented_reduce_implIS3_PKdPdPKidN6hipcub16HIPCUB_304000_NS6detail27convert_result_type_wrapperIS8_S9_N2at6native12_GLOBAL__N_19CustomMaxEEEEE10hipError_tPvRmT0_T1_jT2_SQ_T4_T3_P12ihipStream_tbEUlT_E_NS1_11comp_targetILNS1_3genE10ELNS1_11target_archE1201ELNS1_3gpuE5ELNS1_3repE0EEENS1_30default_config_static_selectorELNS0_4arch9wavefront6targetE1EEEvSP_
		.amdhsa_group_segment_fixed_size 0
		.amdhsa_private_segment_fixed_size 0
		.amdhsa_kernarg_size 56
		.amdhsa_user_sgpr_count 6
		.amdhsa_user_sgpr_private_segment_buffer 1
		.amdhsa_user_sgpr_dispatch_ptr 0
		.amdhsa_user_sgpr_queue_ptr 0
		.amdhsa_user_sgpr_kernarg_segment_ptr 1
		.amdhsa_user_sgpr_dispatch_id 0
		.amdhsa_user_sgpr_flat_scratch_init 0
		.amdhsa_user_sgpr_private_segment_size 0
		.amdhsa_uses_dynamic_stack 0
		.amdhsa_system_sgpr_private_segment_wavefront_offset 0
		.amdhsa_system_sgpr_workgroup_id_x 1
		.amdhsa_system_sgpr_workgroup_id_y 0
		.amdhsa_system_sgpr_workgroup_id_z 0
		.amdhsa_system_sgpr_workgroup_info 0
		.amdhsa_system_vgpr_workitem_id 0
		.amdhsa_next_free_vgpr 1
		.amdhsa_next_free_sgpr 0
		.amdhsa_reserve_vcc 0
		.amdhsa_reserve_flat_scratch 0
		.amdhsa_float_round_mode_32 0
		.amdhsa_float_round_mode_16_64 0
		.amdhsa_float_denorm_mode_32 3
		.amdhsa_float_denorm_mode_16_64 3
		.amdhsa_dx10_clamp 1
		.amdhsa_ieee_mode 1
		.amdhsa_fp16_overflow 0
		.amdhsa_exception_fp_ieee_invalid_op 0
		.amdhsa_exception_fp_denorm_src 0
		.amdhsa_exception_fp_ieee_div_zero 0
		.amdhsa_exception_fp_ieee_overflow 0
		.amdhsa_exception_fp_ieee_underflow 0
		.amdhsa_exception_fp_ieee_inexact 0
		.amdhsa_exception_int_div_zero 0
	.end_amdhsa_kernel
	.section	.text._ZN7rocprim17ROCPRIM_400000_NS6detail17trampoline_kernelINS0_14default_configENS1_32segmented_reduce_config_selectorIdEEZNS1_21segmented_reduce_implIS3_PKdPdPKidN6hipcub16HIPCUB_304000_NS6detail27convert_result_type_wrapperIS8_S9_N2at6native12_GLOBAL__N_19CustomMaxEEEEE10hipError_tPvRmT0_T1_jT2_SQ_T4_T3_P12ihipStream_tbEUlT_E_NS1_11comp_targetILNS1_3genE10ELNS1_11target_archE1201ELNS1_3gpuE5ELNS1_3repE0EEENS1_30default_config_static_selectorELNS0_4arch9wavefront6targetE1EEEvSP_,"axG",@progbits,_ZN7rocprim17ROCPRIM_400000_NS6detail17trampoline_kernelINS0_14default_configENS1_32segmented_reduce_config_selectorIdEEZNS1_21segmented_reduce_implIS3_PKdPdPKidN6hipcub16HIPCUB_304000_NS6detail27convert_result_type_wrapperIS8_S9_N2at6native12_GLOBAL__N_19CustomMaxEEEEE10hipError_tPvRmT0_T1_jT2_SQ_T4_T3_P12ihipStream_tbEUlT_E_NS1_11comp_targetILNS1_3genE10ELNS1_11target_archE1201ELNS1_3gpuE5ELNS1_3repE0EEENS1_30default_config_static_selectorELNS0_4arch9wavefront6targetE1EEEvSP_,comdat
.Lfunc_end11:
	.size	_ZN7rocprim17ROCPRIM_400000_NS6detail17trampoline_kernelINS0_14default_configENS1_32segmented_reduce_config_selectorIdEEZNS1_21segmented_reduce_implIS3_PKdPdPKidN6hipcub16HIPCUB_304000_NS6detail27convert_result_type_wrapperIS8_S9_N2at6native12_GLOBAL__N_19CustomMaxEEEEE10hipError_tPvRmT0_T1_jT2_SQ_T4_T3_P12ihipStream_tbEUlT_E_NS1_11comp_targetILNS1_3genE10ELNS1_11target_archE1201ELNS1_3gpuE5ELNS1_3repE0EEENS1_30default_config_static_selectorELNS0_4arch9wavefront6targetE1EEEvSP_, .Lfunc_end11-_ZN7rocprim17ROCPRIM_400000_NS6detail17trampoline_kernelINS0_14default_configENS1_32segmented_reduce_config_selectorIdEEZNS1_21segmented_reduce_implIS3_PKdPdPKidN6hipcub16HIPCUB_304000_NS6detail27convert_result_type_wrapperIS8_S9_N2at6native12_GLOBAL__N_19CustomMaxEEEEE10hipError_tPvRmT0_T1_jT2_SQ_T4_T3_P12ihipStream_tbEUlT_E_NS1_11comp_targetILNS1_3genE10ELNS1_11target_archE1201ELNS1_3gpuE5ELNS1_3repE0EEENS1_30default_config_static_selectorELNS0_4arch9wavefront6targetE1EEEvSP_
                                        ; -- End function
	.set _ZN7rocprim17ROCPRIM_400000_NS6detail17trampoline_kernelINS0_14default_configENS1_32segmented_reduce_config_selectorIdEEZNS1_21segmented_reduce_implIS3_PKdPdPKidN6hipcub16HIPCUB_304000_NS6detail27convert_result_type_wrapperIS8_S9_N2at6native12_GLOBAL__N_19CustomMaxEEEEE10hipError_tPvRmT0_T1_jT2_SQ_T4_T3_P12ihipStream_tbEUlT_E_NS1_11comp_targetILNS1_3genE10ELNS1_11target_archE1201ELNS1_3gpuE5ELNS1_3repE0EEENS1_30default_config_static_selectorELNS0_4arch9wavefront6targetE1EEEvSP_.num_vgpr, 0
	.set _ZN7rocprim17ROCPRIM_400000_NS6detail17trampoline_kernelINS0_14default_configENS1_32segmented_reduce_config_selectorIdEEZNS1_21segmented_reduce_implIS3_PKdPdPKidN6hipcub16HIPCUB_304000_NS6detail27convert_result_type_wrapperIS8_S9_N2at6native12_GLOBAL__N_19CustomMaxEEEEE10hipError_tPvRmT0_T1_jT2_SQ_T4_T3_P12ihipStream_tbEUlT_E_NS1_11comp_targetILNS1_3genE10ELNS1_11target_archE1201ELNS1_3gpuE5ELNS1_3repE0EEENS1_30default_config_static_selectorELNS0_4arch9wavefront6targetE1EEEvSP_.num_agpr, 0
	.set _ZN7rocprim17ROCPRIM_400000_NS6detail17trampoline_kernelINS0_14default_configENS1_32segmented_reduce_config_selectorIdEEZNS1_21segmented_reduce_implIS3_PKdPdPKidN6hipcub16HIPCUB_304000_NS6detail27convert_result_type_wrapperIS8_S9_N2at6native12_GLOBAL__N_19CustomMaxEEEEE10hipError_tPvRmT0_T1_jT2_SQ_T4_T3_P12ihipStream_tbEUlT_E_NS1_11comp_targetILNS1_3genE10ELNS1_11target_archE1201ELNS1_3gpuE5ELNS1_3repE0EEENS1_30default_config_static_selectorELNS0_4arch9wavefront6targetE1EEEvSP_.numbered_sgpr, 0
	.set _ZN7rocprim17ROCPRIM_400000_NS6detail17trampoline_kernelINS0_14default_configENS1_32segmented_reduce_config_selectorIdEEZNS1_21segmented_reduce_implIS3_PKdPdPKidN6hipcub16HIPCUB_304000_NS6detail27convert_result_type_wrapperIS8_S9_N2at6native12_GLOBAL__N_19CustomMaxEEEEE10hipError_tPvRmT0_T1_jT2_SQ_T4_T3_P12ihipStream_tbEUlT_E_NS1_11comp_targetILNS1_3genE10ELNS1_11target_archE1201ELNS1_3gpuE5ELNS1_3repE0EEENS1_30default_config_static_selectorELNS0_4arch9wavefront6targetE1EEEvSP_.num_named_barrier, 0
	.set _ZN7rocprim17ROCPRIM_400000_NS6detail17trampoline_kernelINS0_14default_configENS1_32segmented_reduce_config_selectorIdEEZNS1_21segmented_reduce_implIS3_PKdPdPKidN6hipcub16HIPCUB_304000_NS6detail27convert_result_type_wrapperIS8_S9_N2at6native12_GLOBAL__N_19CustomMaxEEEEE10hipError_tPvRmT0_T1_jT2_SQ_T4_T3_P12ihipStream_tbEUlT_E_NS1_11comp_targetILNS1_3genE10ELNS1_11target_archE1201ELNS1_3gpuE5ELNS1_3repE0EEENS1_30default_config_static_selectorELNS0_4arch9wavefront6targetE1EEEvSP_.private_seg_size, 0
	.set _ZN7rocprim17ROCPRIM_400000_NS6detail17trampoline_kernelINS0_14default_configENS1_32segmented_reduce_config_selectorIdEEZNS1_21segmented_reduce_implIS3_PKdPdPKidN6hipcub16HIPCUB_304000_NS6detail27convert_result_type_wrapperIS8_S9_N2at6native12_GLOBAL__N_19CustomMaxEEEEE10hipError_tPvRmT0_T1_jT2_SQ_T4_T3_P12ihipStream_tbEUlT_E_NS1_11comp_targetILNS1_3genE10ELNS1_11target_archE1201ELNS1_3gpuE5ELNS1_3repE0EEENS1_30default_config_static_selectorELNS0_4arch9wavefront6targetE1EEEvSP_.uses_vcc, 0
	.set _ZN7rocprim17ROCPRIM_400000_NS6detail17trampoline_kernelINS0_14default_configENS1_32segmented_reduce_config_selectorIdEEZNS1_21segmented_reduce_implIS3_PKdPdPKidN6hipcub16HIPCUB_304000_NS6detail27convert_result_type_wrapperIS8_S9_N2at6native12_GLOBAL__N_19CustomMaxEEEEE10hipError_tPvRmT0_T1_jT2_SQ_T4_T3_P12ihipStream_tbEUlT_E_NS1_11comp_targetILNS1_3genE10ELNS1_11target_archE1201ELNS1_3gpuE5ELNS1_3repE0EEENS1_30default_config_static_selectorELNS0_4arch9wavefront6targetE1EEEvSP_.uses_flat_scratch, 0
	.set _ZN7rocprim17ROCPRIM_400000_NS6detail17trampoline_kernelINS0_14default_configENS1_32segmented_reduce_config_selectorIdEEZNS1_21segmented_reduce_implIS3_PKdPdPKidN6hipcub16HIPCUB_304000_NS6detail27convert_result_type_wrapperIS8_S9_N2at6native12_GLOBAL__N_19CustomMaxEEEEE10hipError_tPvRmT0_T1_jT2_SQ_T4_T3_P12ihipStream_tbEUlT_E_NS1_11comp_targetILNS1_3genE10ELNS1_11target_archE1201ELNS1_3gpuE5ELNS1_3repE0EEENS1_30default_config_static_selectorELNS0_4arch9wavefront6targetE1EEEvSP_.has_dyn_sized_stack, 0
	.set _ZN7rocprim17ROCPRIM_400000_NS6detail17trampoline_kernelINS0_14default_configENS1_32segmented_reduce_config_selectorIdEEZNS1_21segmented_reduce_implIS3_PKdPdPKidN6hipcub16HIPCUB_304000_NS6detail27convert_result_type_wrapperIS8_S9_N2at6native12_GLOBAL__N_19CustomMaxEEEEE10hipError_tPvRmT0_T1_jT2_SQ_T4_T3_P12ihipStream_tbEUlT_E_NS1_11comp_targetILNS1_3genE10ELNS1_11target_archE1201ELNS1_3gpuE5ELNS1_3repE0EEENS1_30default_config_static_selectorELNS0_4arch9wavefront6targetE1EEEvSP_.has_recursion, 0
	.set _ZN7rocprim17ROCPRIM_400000_NS6detail17trampoline_kernelINS0_14default_configENS1_32segmented_reduce_config_selectorIdEEZNS1_21segmented_reduce_implIS3_PKdPdPKidN6hipcub16HIPCUB_304000_NS6detail27convert_result_type_wrapperIS8_S9_N2at6native12_GLOBAL__N_19CustomMaxEEEEE10hipError_tPvRmT0_T1_jT2_SQ_T4_T3_P12ihipStream_tbEUlT_E_NS1_11comp_targetILNS1_3genE10ELNS1_11target_archE1201ELNS1_3gpuE5ELNS1_3repE0EEENS1_30default_config_static_selectorELNS0_4arch9wavefront6targetE1EEEvSP_.has_indirect_call, 0
	.section	.AMDGPU.csdata,"",@progbits
; Kernel info:
; codeLenInByte = 0
; TotalNumSgprs: 4
; NumVgprs: 0
; ScratchSize: 0
; MemoryBound: 0
; FloatMode: 240
; IeeeMode: 1
; LDSByteSize: 0 bytes/workgroup (compile time only)
; SGPRBlocks: 0
; VGPRBlocks: 0
; NumSGPRsForWavesPerEU: 4
; NumVGPRsForWavesPerEU: 1
; Occupancy: 10
; WaveLimiterHint : 0
; COMPUTE_PGM_RSRC2:SCRATCH_EN: 0
; COMPUTE_PGM_RSRC2:USER_SGPR: 6
; COMPUTE_PGM_RSRC2:TRAP_HANDLER: 0
; COMPUTE_PGM_RSRC2:TGID_X_EN: 1
; COMPUTE_PGM_RSRC2:TGID_Y_EN: 0
; COMPUTE_PGM_RSRC2:TGID_Z_EN: 0
; COMPUTE_PGM_RSRC2:TIDIG_COMP_CNT: 0
	.section	.text._ZN7rocprim17ROCPRIM_400000_NS6detail17trampoline_kernelINS0_14default_configENS1_32segmented_reduce_config_selectorIdEEZNS1_21segmented_reduce_implIS3_PKdPdPKidN6hipcub16HIPCUB_304000_NS6detail27convert_result_type_wrapperIS8_S9_N2at6native12_GLOBAL__N_19CustomMaxEEEEE10hipError_tPvRmT0_T1_jT2_SQ_T4_T3_P12ihipStream_tbEUlT_E_NS1_11comp_targetILNS1_3genE4ELNS1_11target_archE910ELNS1_3gpuE8ELNS1_3repE0EEENS1_30default_config_static_selectorELNS0_4arch9wavefront6targetE1EEEvSP_,"axG",@progbits,_ZN7rocprim17ROCPRIM_400000_NS6detail17trampoline_kernelINS0_14default_configENS1_32segmented_reduce_config_selectorIdEEZNS1_21segmented_reduce_implIS3_PKdPdPKidN6hipcub16HIPCUB_304000_NS6detail27convert_result_type_wrapperIS8_S9_N2at6native12_GLOBAL__N_19CustomMaxEEEEE10hipError_tPvRmT0_T1_jT2_SQ_T4_T3_P12ihipStream_tbEUlT_E_NS1_11comp_targetILNS1_3genE4ELNS1_11target_archE910ELNS1_3gpuE8ELNS1_3repE0EEENS1_30default_config_static_selectorELNS0_4arch9wavefront6targetE1EEEvSP_,comdat
	.globl	_ZN7rocprim17ROCPRIM_400000_NS6detail17trampoline_kernelINS0_14default_configENS1_32segmented_reduce_config_selectorIdEEZNS1_21segmented_reduce_implIS3_PKdPdPKidN6hipcub16HIPCUB_304000_NS6detail27convert_result_type_wrapperIS8_S9_N2at6native12_GLOBAL__N_19CustomMaxEEEEE10hipError_tPvRmT0_T1_jT2_SQ_T4_T3_P12ihipStream_tbEUlT_E_NS1_11comp_targetILNS1_3genE4ELNS1_11target_archE910ELNS1_3gpuE8ELNS1_3repE0EEENS1_30default_config_static_selectorELNS0_4arch9wavefront6targetE1EEEvSP_ ; -- Begin function _ZN7rocprim17ROCPRIM_400000_NS6detail17trampoline_kernelINS0_14default_configENS1_32segmented_reduce_config_selectorIdEEZNS1_21segmented_reduce_implIS3_PKdPdPKidN6hipcub16HIPCUB_304000_NS6detail27convert_result_type_wrapperIS8_S9_N2at6native12_GLOBAL__N_19CustomMaxEEEEE10hipError_tPvRmT0_T1_jT2_SQ_T4_T3_P12ihipStream_tbEUlT_E_NS1_11comp_targetILNS1_3genE4ELNS1_11target_archE910ELNS1_3gpuE8ELNS1_3repE0EEENS1_30default_config_static_selectorELNS0_4arch9wavefront6targetE1EEEvSP_
	.p2align	8
	.type	_ZN7rocprim17ROCPRIM_400000_NS6detail17trampoline_kernelINS0_14default_configENS1_32segmented_reduce_config_selectorIdEEZNS1_21segmented_reduce_implIS3_PKdPdPKidN6hipcub16HIPCUB_304000_NS6detail27convert_result_type_wrapperIS8_S9_N2at6native12_GLOBAL__N_19CustomMaxEEEEE10hipError_tPvRmT0_T1_jT2_SQ_T4_T3_P12ihipStream_tbEUlT_E_NS1_11comp_targetILNS1_3genE4ELNS1_11target_archE910ELNS1_3gpuE8ELNS1_3repE0EEENS1_30default_config_static_selectorELNS0_4arch9wavefront6targetE1EEEvSP_,@function
_ZN7rocprim17ROCPRIM_400000_NS6detail17trampoline_kernelINS0_14default_configENS1_32segmented_reduce_config_selectorIdEEZNS1_21segmented_reduce_implIS3_PKdPdPKidN6hipcub16HIPCUB_304000_NS6detail27convert_result_type_wrapperIS8_S9_N2at6native12_GLOBAL__N_19CustomMaxEEEEE10hipError_tPvRmT0_T1_jT2_SQ_T4_T3_P12ihipStream_tbEUlT_E_NS1_11comp_targetILNS1_3genE4ELNS1_11target_archE910ELNS1_3gpuE8ELNS1_3repE0EEENS1_30default_config_static_selectorELNS0_4arch9wavefront6targetE1EEEvSP_: ; @_ZN7rocprim17ROCPRIM_400000_NS6detail17trampoline_kernelINS0_14default_configENS1_32segmented_reduce_config_selectorIdEEZNS1_21segmented_reduce_implIS3_PKdPdPKidN6hipcub16HIPCUB_304000_NS6detail27convert_result_type_wrapperIS8_S9_N2at6native12_GLOBAL__N_19CustomMaxEEEEE10hipError_tPvRmT0_T1_jT2_SQ_T4_T3_P12ihipStream_tbEUlT_E_NS1_11comp_targetILNS1_3genE4ELNS1_11target_archE910ELNS1_3gpuE8ELNS1_3repE0EEENS1_30default_config_static_selectorELNS0_4arch9wavefront6targetE1EEEvSP_
; %bb.0:
	.section	.rodata,"a",@progbits
	.p2align	6, 0x0
	.amdhsa_kernel _ZN7rocprim17ROCPRIM_400000_NS6detail17trampoline_kernelINS0_14default_configENS1_32segmented_reduce_config_selectorIdEEZNS1_21segmented_reduce_implIS3_PKdPdPKidN6hipcub16HIPCUB_304000_NS6detail27convert_result_type_wrapperIS8_S9_N2at6native12_GLOBAL__N_19CustomMaxEEEEE10hipError_tPvRmT0_T1_jT2_SQ_T4_T3_P12ihipStream_tbEUlT_E_NS1_11comp_targetILNS1_3genE4ELNS1_11target_archE910ELNS1_3gpuE8ELNS1_3repE0EEENS1_30default_config_static_selectorELNS0_4arch9wavefront6targetE1EEEvSP_
		.amdhsa_group_segment_fixed_size 0
		.amdhsa_private_segment_fixed_size 0
		.amdhsa_kernarg_size 56
		.amdhsa_user_sgpr_count 6
		.amdhsa_user_sgpr_private_segment_buffer 1
		.amdhsa_user_sgpr_dispatch_ptr 0
		.amdhsa_user_sgpr_queue_ptr 0
		.amdhsa_user_sgpr_kernarg_segment_ptr 1
		.amdhsa_user_sgpr_dispatch_id 0
		.amdhsa_user_sgpr_flat_scratch_init 0
		.amdhsa_user_sgpr_private_segment_size 0
		.amdhsa_uses_dynamic_stack 0
		.amdhsa_system_sgpr_private_segment_wavefront_offset 0
		.amdhsa_system_sgpr_workgroup_id_x 1
		.amdhsa_system_sgpr_workgroup_id_y 0
		.amdhsa_system_sgpr_workgroup_id_z 0
		.amdhsa_system_sgpr_workgroup_info 0
		.amdhsa_system_vgpr_workitem_id 0
		.amdhsa_next_free_vgpr 1
		.amdhsa_next_free_sgpr 0
		.amdhsa_reserve_vcc 0
		.amdhsa_reserve_flat_scratch 0
		.amdhsa_float_round_mode_32 0
		.amdhsa_float_round_mode_16_64 0
		.amdhsa_float_denorm_mode_32 3
		.amdhsa_float_denorm_mode_16_64 3
		.amdhsa_dx10_clamp 1
		.amdhsa_ieee_mode 1
		.amdhsa_fp16_overflow 0
		.amdhsa_exception_fp_ieee_invalid_op 0
		.amdhsa_exception_fp_denorm_src 0
		.amdhsa_exception_fp_ieee_div_zero 0
		.amdhsa_exception_fp_ieee_overflow 0
		.amdhsa_exception_fp_ieee_underflow 0
		.amdhsa_exception_fp_ieee_inexact 0
		.amdhsa_exception_int_div_zero 0
	.end_amdhsa_kernel
	.section	.text._ZN7rocprim17ROCPRIM_400000_NS6detail17trampoline_kernelINS0_14default_configENS1_32segmented_reduce_config_selectorIdEEZNS1_21segmented_reduce_implIS3_PKdPdPKidN6hipcub16HIPCUB_304000_NS6detail27convert_result_type_wrapperIS8_S9_N2at6native12_GLOBAL__N_19CustomMaxEEEEE10hipError_tPvRmT0_T1_jT2_SQ_T4_T3_P12ihipStream_tbEUlT_E_NS1_11comp_targetILNS1_3genE4ELNS1_11target_archE910ELNS1_3gpuE8ELNS1_3repE0EEENS1_30default_config_static_selectorELNS0_4arch9wavefront6targetE1EEEvSP_,"axG",@progbits,_ZN7rocprim17ROCPRIM_400000_NS6detail17trampoline_kernelINS0_14default_configENS1_32segmented_reduce_config_selectorIdEEZNS1_21segmented_reduce_implIS3_PKdPdPKidN6hipcub16HIPCUB_304000_NS6detail27convert_result_type_wrapperIS8_S9_N2at6native12_GLOBAL__N_19CustomMaxEEEEE10hipError_tPvRmT0_T1_jT2_SQ_T4_T3_P12ihipStream_tbEUlT_E_NS1_11comp_targetILNS1_3genE4ELNS1_11target_archE910ELNS1_3gpuE8ELNS1_3repE0EEENS1_30default_config_static_selectorELNS0_4arch9wavefront6targetE1EEEvSP_,comdat
.Lfunc_end12:
	.size	_ZN7rocprim17ROCPRIM_400000_NS6detail17trampoline_kernelINS0_14default_configENS1_32segmented_reduce_config_selectorIdEEZNS1_21segmented_reduce_implIS3_PKdPdPKidN6hipcub16HIPCUB_304000_NS6detail27convert_result_type_wrapperIS8_S9_N2at6native12_GLOBAL__N_19CustomMaxEEEEE10hipError_tPvRmT0_T1_jT2_SQ_T4_T3_P12ihipStream_tbEUlT_E_NS1_11comp_targetILNS1_3genE4ELNS1_11target_archE910ELNS1_3gpuE8ELNS1_3repE0EEENS1_30default_config_static_selectorELNS0_4arch9wavefront6targetE1EEEvSP_, .Lfunc_end12-_ZN7rocprim17ROCPRIM_400000_NS6detail17trampoline_kernelINS0_14default_configENS1_32segmented_reduce_config_selectorIdEEZNS1_21segmented_reduce_implIS3_PKdPdPKidN6hipcub16HIPCUB_304000_NS6detail27convert_result_type_wrapperIS8_S9_N2at6native12_GLOBAL__N_19CustomMaxEEEEE10hipError_tPvRmT0_T1_jT2_SQ_T4_T3_P12ihipStream_tbEUlT_E_NS1_11comp_targetILNS1_3genE4ELNS1_11target_archE910ELNS1_3gpuE8ELNS1_3repE0EEENS1_30default_config_static_selectorELNS0_4arch9wavefront6targetE1EEEvSP_
                                        ; -- End function
	.set _ZN7rocprim17ROCPRIM_400000_NS6detail17trampoline_kernelINS0_14default_configENS1_32segmented_reduce_config_selectorIdEEZNS1_21segmented_reduce_implIS3_PKdPdPKidN6hipcub16HIPCUB_304000_NS6detail27convert_result_type_wrapperIS8_S9_N2at6native12_GLOBAL__N_19CustomMaxEEEEE10hipError_tPvRmT0_T1_jT2_SQ_T4_T3_P12ihipStream_tbEUlT_E_NS1_11comp_targetILNS1_3genE4ELNS1_11target_archE910ELNS1_3gpuE8ELNS1_3repE0EEENS1_30default_config_static_selectorELNS0_4arch9wavefront6targetE1EEEvSP_.num_vgpr, 0
	.set _ZN7rocprim17ROCPRIM_400000_NS6detail17trampoline_kernelINS0_14default_configENS1_32segmented_reduce_config_selectorIdEEZNS1_21segmented_reduce_implIS3_PKdPdPKidN6hipcub16HIPCUB_304000_NS6detail27convert_result_type_wrapperIS8_S9_N2at6native12_GLOBAL__N_19CustomMaxEEEEE10hipError_tPvRmT0_T1_jT2_SQ_T4_T3_P12ihipStream_tbEUlT_E_NS1_11comp_targetILNS1_3genE4ELNS1_11target_archE910ELNS1_3gpuE8ELNS1_3repE0EEENS1_30default_config_static_selectorELNS0_4arch9wavefront6targetE1EEEvSP_.num_agpr, 0
	.set _ZN7rocprim17ROCPRIM_400000_NS6detail17trampoline_kernelINS0_14default_configENS1_32segmented_reduce_config_selectorIdEEZNS1_21segmented_reduce_implIS3_PKdPdPKidN6hipcub16HIPCUB_304000_NS6detail27convert_result_type_wrapperIS8_S9_N2at6native12_GLOBAL__N_19CustomMaxEEEEE10hipError_tPvRmT0_T1_jT2_SQ_T4_T3_P12ihipStream_tbEUlT_E_NS1_11comp_targetILNS1_3genE4ELNS1_11target_archE910ELNS1_3gpuE8ELNS1_3repE0EEENS1_30default_config_static_selectorELNS0_4arch9wavefront6targetE1EEEvSP_.numbered_sgpr, 0
	.set _ZN7rocprim17ROCPRIM_400000_NS6detail17trampoline_kernelINS0_14default_configENS1_32segmented_reduce_config_selectorIdEEZNS1_21segmented_reduce_implIS3_PKdPdPKidN6hipcub16HIPCUB_304000_NS6detail27convert_result_type_wrapperIS8_S9_N2at6native12_GLOBAL__N_19CustomMaxEEEEE10hipError_tPvRmT0_T1_jT2_SQ_T4_T3_P12ihipStream_tbEUlT_E_NS1_11comp_targetILNS1_3genE4ELNS1_11target_archE910ELNS1_3gpuE8ELNS1_3repE0EEENS1_30default_config_static_selectorELNS0_4arch9wavefront6targetE1EEEvSP_.num_named_barrier, 0
	.set _ZN7rocprim17ROCPRIM_400000_NS6detail17trampoline_kernelINS0_14default_configENS1_32segmented_reduce_config_selectorIdEEZNS1_21segmented_reduce_implIS3_PKdPdPKidN6hipcub16HIPCUB_304000_NS6detail27convert_result_type_wrapperIS8_S9_N2at6native12_GLOBAL__N_19CustomMaxEEEEE10hipError_tPvRmT0_T1_jT2_SQ_T4_T3_P12ihipStream_tbEUlT_E_NS1_11comp_targetILNS1_3genE4ELNS1_11target_archE910ELNS1_3gpuE8ELNS1_3repE0EEENS1_30default_config_static_selectorELNS0_4arch9wavefront6targetE1EEEvSP_.private_seg_size, 0
	.set _ZN7rocprim17ROCPRIM_400000_NS6detail17trampoline_kernelINS0_14default_configENS1_32segmented_reduce_config_selectorIdEEZNS1_21segmented_reduce_implIS3_PKdPdPKidN6hipcub16HIPCUB_304000_NS6detail27convert_result_type_wrapperIS8_S9_N2at6native12_GLOBAL__N_19CustomMaxEEEEE10hipError_tPvRmT0_T1_jT2_SQ_T4_T3_P12ihipStream_tbEUlT_E_NS1_11comp_targetILNS1_3genE4ELNS1_11target_archE910ELNS1_3gpuE8ELNS1_3repE0EEENS1_30default_config_static_selectorELNS0_4arch9wavefront6targetE1EEEvSP_.uses_vcc, 0
	.set _ZN7rocprim17ROCPRIM_400000_NS6detail17trampoline_kernelINS0_14default_configENS1_32segmented_reduce_config_selectorIdEEZNS1_21segmented_reduce_implIS3_PKdPdPKidN6hipcub16HIPCUB_304000_NS6detail27convert_result_type_wrapperIS8_S9_N2at6native12_GLOBAL__N_19CustomMaxEEEEE10hipError_tPvRmT0_T1_jT2_SQ_T4_T3_P12ihipStream_tbEUlT_E_NS1_11comp_targetILNS1_3genE4ELNS1_11target_archE910ELNS1_3gpuE8ELNS1_3repE0EEENS1_30default_config_static_selectorELNS0_4arch9wavefront6targetE1EEEvSP_.uses_flat_scratch, 0
	.set _ZN7rocprim17ROCPRIM_400000_NS6detail17trampoline_kernelINS0_14default_configENS1_32segmented_reduce_config_selectorIdEEZNS1_21segmented_reduce_implIS3_PKdPdPKidN6hipcub16HIPCUB_304000_NS6detail27convert_result_type_wrapperIS8_S9_N2at6native12_GLOBAL__N_19CustomMaxEEEEE10hipError_tPvRmT0_T1_jT2_SQ_T4_T3_P12ihipStream_tbEUlT_E_NS1_11comp_targetILNS1_3genE4ELNS1_11target_archE910ELNS1_3gpuE8ELNS1_3repE0EEENS1_30default_config_static_selectorELNS0_4arch9wavefront6targetE1EEEvSP_.has_dyn_sized_stack, 0
	.set _ZN7rocprim17ROCPRIM_400000_NS6detail17trampoline_kernelINS0_14default_configENS1_32segmented_reduce_config_selectorIdEEZNS1_21segmented_reduce_implIS3_PKdPdPKidN6hipcub16HIPCUB_304000_NS6detail27convert_result_type_wrapperIS8_S9_N2at6native12_GLOBAL__N_19CustomMaxEEEEE10hipError_tPvRmT0_T1_jT2_SQ_T4_T3_P12ihipStream_tbEUlT_E_NS1_11comp_targetILNS1_3genE4ELNS1_11target_archE910ELNS1_3gpuE8ELNS1_3repE0EEENS1_30default_config_static_selectorELNS0_4arch9wavefront6targetE1EEEvSP_.has_recursion, 0
	.set _ZN7rocprim17ROCPRIM_400000_NS6detail17trampoline_kernelINS0_14default_configENS1_32segmented_reduce_config_selectorIdEEZNS1_21segmented_reduce_implIS3_PKdPdPKidN6hipcub16HIPCUB_304000_NS6detail27convert_result_type_wrapperIS8_S9_N2at6native12_GLOBAL__N_19CustomMaxEEEEE10hipError_tPvRmT0_T1_jT2_SQ_T4_T3_P12ihipStream_tbEUlT_E_NS1_11comp_targetILNS1_3genE4ELNS1_11target_archE910ELNS1_3gpuE8ELNS1_3repE0EEENS1_30default_config_static_selectorELNS0_4arch9wavefront6targetE1EEEvSP_.has_indirect_call, 0
	.section	.AMDGPU.csdata,"",@progbits
; Kernel info:
; codeLenInByte = 0
; TotalNumSgprs: 4
; NumVgprs: 0
; ScratchSize: 0
; MemoryBound: 0
; FloatMode: 240
; IeeeMode: 1
; LDSByteSize: 0 bytes/workgroup (compile time only)
; SGPRBlocks: 0
; VGPRBlocks: 0
; NumSGPRsForWavesPerEU: 4
; NumVGPRsForWavesPerEU: 1
; Occupancy: 10
; WaveLimiterHint : 0
; COMPUTE_PGM_RSRC2:SCRATCH_EN: 0
; COMPUTE_PGM_RSRC2:USER_SGPR: 6
; COMPUTE_PGM_RSRC2:TRAP_HANDLER: 0
; COMPUTE_PGM_RSRC2:TGID_X_EN: 1
; COMPUTE_PGM_RSRC2:TGID_Y_EN: 0
; COMPUTE_PGM_RSRC2:TGID_Z_EN: 0
; COMPUTE_PGM_RSRC2:TIDIG_COMP_CNT: 0
	.section	.text._ZN7rocprim17ROCPRIM_400000_NS6detail17trampoline_kernelINS0_14default_configENS1_32segmented_reduce_config_selectorIdEEZNS1_21segmented_reduce_implIS3_PKdPdPKidN6hipcub16HIPCUB_304000_NS6detail27convert_result_type_wrapperIS8_S9_N2at6native12_GLOBAL__N_19CustomMaxEEEEE10hipError_tPvRmT0_T1_jT2_SQ_T4_T3_P12ihipStream_tbEUlT_E_NS1_11comp_targetILNS1_3genE3ELNS1_11target_archE908ELNS1_3gpuE7ELNS1_3repE0EEENS1_30default_config_static_selectorELNS0_4arch9wavefront6targetE1EEEvSP_,"axG",@progbits,_ZN7rocprim17ROCPRIM_400000_NS6detail17trampoline_kernelINS0_14default_configENS1_32segmented_reduce_config_selectorIdEEZNS1_21segmented_reduce_implIS3_PKdPdPKidN6hipcub16HIPCUB_304000_NS6detail27convert_result_type_wrapperIS8_S9_N2at6native12_GLOBAL__N_19CustomMaxEEEEE10hipError_tPvRmT0_T1_jT2_SQ_T4_T3_P12ihipStream_tbEUlT_E_NS1_11comp_targetILNS1_3genE3ELNS1_11target_archE908ELNS1_3gpuE7ELNS1_3repE0EEENS1_30default_config_static_selectorELNS0_4arch9wavefront6targetE1EEEvSP_,comdat
	.globl	_ZN7rocprim17ROCPRIM_400000_NS6detail17trampoline_kernelINS0_14default_configENS1_32segmented_reduce_config_selectorIdEEZNS1_21segmented_reduce_implIS3_PKdPdPKidN6hipcub16HIPCUB_304000_NS6detail27convert_result_type_wrapperIS8_S9_N2at6native12_GLOBAL__N_19CustomMaxEEEEE10hipError_tPvRmT0_T1_jT2_SQ_T4_T3_P12ihipStream_tbEUlT_E_NS1_11comp_targetILNS1_3genE3ELNS1_11target_archE908ELNS1_3gpuE7ELNS1_3repE0EEENS1_30default_config_static_selectorELNS0_4arch9wavefront6targetE1EEEvSP_ ; -- Begin function _ZN7rocprim17ROCPRIM_400000_NS6detail17trampoline_kernelINS0_14default_configENS1_32segmented_reduce_config_selectorIdEEZNS1_21segmented_reduce_implIS3_PKdPdPKidN6hipcub16HIPCUB_304000_NS6detail27convert_result_type_wrapperIS8_S9_N2at6native12_GLOBAL__N_19CustomMaxEEEEE10hipError_tPvRmT0_T1_jT2_SQ_T4_T3_P12ihipStream_tbEUlT_E_NS1_11comp_targetILNS1_3genE3ELNS1_11target_archE908ELNS1_3gpuE7ELNS1_3repE0EEENS1_30default_config_static_selectorELNS0_4arch9wavefront6targetE1EEEvSP_
	.p2align	8
	.type	_ZN7rocprim17ROCPRIM_400000_NS6detail17trampoline_kernelINS0_14default_configENS1_32segmented_reduce_config_selectorIdEEZNS1_21segmented_reduce_implIS3_PKdPdPKidN6hipcub16HIPCUB_304000_NS6detail27convert_result_type_wrapperIS8_S9_N2at6native12_GLOBAL__N_19CustomMaxEEEEE10hipError_tPvRmT0_T1_jT2_SQ_T4_T3_P12ihipStream_tbEUlT_E_NS1_11comp_targetILNS1_3genE3ELNS1_11target_archE908ELNS1_3gpuE7ELNS1_3repE0EEENS1_30default_config_static_selectorELNS0_4arch9wavefront6targetE1EEEvSP_,@function
_ZN7rocprim17ROCPRIM_400000_NS6detail17trampoline_kernelINS0_14default_configENS1_32segmented_reduce_config_selectorIdEEZNS1_21segmented_reduce_implIS3_PKdPdPKidN6hipcub16HIPCUB_304000_NS6detail27convert_result_type_wrapperIS8_S9_N2at6native12_GLOBAL__N_19CustomMaxEEEEE10hipError_tPvRmT0_T1_jT2_SQ_T4_T3_P12ihipStream_tbEUlT_E_NS1_11comp_targetILNS1_3genE3ELNS1_11target_archE908ELNS1_3gpuE7ELNS1_3repE0EEENS1_30default_config_static_selectorELNS0_4arch9wavefront6targetE1EEEvSP_: ; @_ZN7rocprim17ROCPRIM_400000_NS6detail17trampoline_kernelINS0_14default_configENS1_32segmented_reduce_config_selectorIdEEZNS1_21segmented_reduce_implIS3_PKdPdPKidN6hipcub16HIPCUB_304000_NS6detail27convert_result_type_wrapperIS8_S9_N2at6native12_GLOBAL__N_19CustomMaxEEEEE10hipError_tPvRmT0_T1_jT2_SQ_T4_T3_P12ihipStream_tbEUlT_E_NS1_11comp_targetILNS1_3genE3ELNS1_11target_archE908ELNS1_3gpuE7ELNS1_3repE0EEENS1_30default_config_static_selectorELNS0_4arch9wavefront6targetE1EEEvSP_
; %bb.0:
	.section	.rodata,"a",@progbits
	.p2align	6, 0x0
	.amdhsa_kernel _ZN7rocprim17ROCPRIM_400000_NS6detail17trampoline_kernelINS0_14default_configENS1_32segmented_reduce_config_selectorIdEEZNS1_21segmented_reduce_implIS3_PKdPdPKidN6hipcub16HIPCUB_304000_NS6detail27convert_result_type_wrapperIS8_S9_N2at6native12_GLOBAL__N_19CustomMaxEEEEE10hipError_tPvRmT0_T1_jT2_SQ_T4_T3_P12ihipStream_tbEUlT_E_NS1_11comp_targetILNS1_3genE3ELNS1_11target_archE908ELNS1_3gpuE7ELNS1_3repE0EEENS1_30default_config_static_selectorELNS0_4arch9wavefront6targetE1EEEvSP_
		.amdhsa_group_segment_fixed_size 0
		.amdhsa_private_segment_fixed_size 0
		.amdhsa_kernarg_size 56
		.amdhsa_user_sgpr_count 6
		.amdhsa_user_sgpr_private_segment_buffer 1
		.amdhsa_user_sgpr_dispatch_ptr 0
		.amdhsa_user_sgpr_queue_ptr 0
		.amdhsa_user_sgpr_kernarg_segment_ptr 1
		.amdhsa_user_sgpr_dispatch_id 0
		.amdhsa_user_sgpr_flat_scratch_init 0
		.amdhsa_user_sgpr_private_segment_size 0
		.amdhsa_uses_dynamic_stack 0
		.amdhsa_system_sgpr_private_segment_wavefront_offset 0
		.amdhsa_system_sgpr_workgroup_id_x 1
		.amdhsa_system_sgpr_workgroup_id_y 0
		.amdhsa_system_sgpr_workgroup_id_z 0
		.amdhsa_system_sgpr_workgroup_info 0
		.amdhsa_system_vgpr_workitem_id 0
		.amdhsa_next_free_vgpr 1
		.amdhsa_next_free_sgpr 0
		.amdhsa_reserve_vcc 0
		.amdhsa_reserve_flat_scratch 0
		.amdhsa_float_round_mode_32 0
		.amdhsa_float_round_mode_16_64 0
		.amdhsa_float_denorm_mode_32 3
		.amdhsa_float_denorm_mode_16_64 3
		.amdhsa_dx10_clamp 1
		.amdhsa_ieee_mode 1
		.amdhsa_fp16_overflow 0
		.amdhsa_exception_fp_ieee_invalid_op 0
		.amdhsa_exception_fp_denorm_src 0
		.amdhsa_exception_fp_ieee_div_zero 0
		.amdhsa_exception_fp_ieee_overflow 0
		.amdhsa_exception_fp_ieee_underflow 0
		.amdhsa_exception_fp_ieee_inexact 0
		.amdhsa_exception_int_div_zero 0
	.end_amdhsa_kernel
	.section	.text._ZN7rocprim17ROCPRIM_400000_NS6detail17trampoline_kernelINS0_14default_configENS1_32segmented_reduce_config_selectorIdEEZNS1_21segmented_reduce_implIS3_PKdPdPKidN6hipcub16HIPCUB_304000_NS6detail27convert_result_type_wrapperIS8_S9_N2at6native12_GLOBAL__N_19CustomMaxEEEEE10hipError_tPvRmT0_T1_jT2_SQ_T4_T3_P12ihipStream_tbEUlT_E_NS1_11comp_targetILNS1_3genE3ELNS1_11target_archE908ELNS1_3gpuE7ELNS1_3repE0EEENS1_30default_config_static_selectorELNS0_4arch9wavefront6targetE1EEEvSP_,"axG",@progbits,_ZN7rocprim17ROCPRIM_400000_NS6detail17trampoline_kernelINS0_14default_configENS1_32segmented_reduce_config_selectorIdEEZNS1_21segmented_reduce_implIS3_PKdPdPKidN6hipcub16HIPCUB_304000_NS6detail27convert_result_type_wrapperIS8_S9_N2at6native12_GLOBAL__N_19CustomMaxEEEEE10hipError_tPvRmT0_T1_jT2_SQ_T4_T3_P12ihipStream_tbEUlT_E_NS1_11comp_targetILNS1_3genE3ELNS1_11target_archE908ELNS1_3gpuE7ELNS1_3repE0EEENS1_30default_config_static_selectorELNS0_4arch9wavefront6targetE1EEEvSP_,comdat
.Lfunc_end13:
	.size	_ZN7rocprim17ROCPRIM_400000_NS6detail17trampoline_kernelINS0_14default_configENS1_32segmented_reduce_config_selectorIdEEZNS1_21segmented_reduce_implIS3_PKdPdPKidN6hipcub16HIPCUB_304000_NS6detail27convert_result_type_wrapperIS8_S9_N2at6native12_GLOBAL__N_19CustomMaxEEEEE10hipError_tPvRmT0_T1_jT2_SQ_T4_T3_P12ihipStream_tbEUlT_E_NS1_11comp_targetILNS1_3genE3ELNS1_11target_archE908ELNS1_3gpuE7ELNS1_3repE0EEENS1_30default_config_static_selectorELNS0_4arch9wavefront6targetE1EEEvSP_, .Lfunc_end13-_ZN7rocprim17ROCPRIM_400000_NS6detail17trampoline_kernelINS0_14default_configENS1_32segmented_reduce_config_selectorIdEEZNS1_21segmented_reduce_implIS3_PKdPdPKidN6hipcub16HIPCUB_304000_NS6detail27convert_result_type_wrapperIS8_S9_N2at6native12_GLOBAL__N_19CustomMaxEEEEE10hipError_tPvRmT0_T1_jT2_SQ_T4_T3_P12ihipStream_tbEUlT_E_NS1_11comp_targetILNS1_3genE3ELNS1_11target_archE908ELNS1_3gpuE7ELNS1_3repE0EEENS1_30default_config_static_selectorELNS0_4arch9wavefront6targetE1EEEvSP_
                                        ; -- End function
	.set _ZN7rocprim17ROCPRIM_400000_NS6detail17trampoline_kernelINS0_14default_configENS1_32segmented_reduce_config_selectorIdEEZNS1_21segmented_reduce_implIS3_PKdPdPKidN6hipcub16HIPCUB_304000_NS6detail27convert_result_type_wrapperIS8_S9_N2at6native12_GLOBAL__N_19CustomMaxEEEEE10hipError_tPvRmT0_T1_jT2_SQ_T4_T3_P12ihipStream_tbEUlT_E_NS1_11comp_targetILNS1_3genE3ELNS1_11target_archE908ELNS1_3gpuE7ELNS1_3repE0EEENS1_30default_config_static_selectorELNS0_4arch9wavefront6targetE1EEEvSP_.num_vgpr, 0
	.set _ZN7rocprim17ROCPRIM_400000_NS6detail17trampoline_kernelINS0_14default_configENS1_32segmented_reduce_config_selectorIdEEZNS1_21segmented_reduce_implIS3_PKdPdPKidN6hipcub16HIPCUB_304000_NS6detail27convert_result_type_wrapperIS8_S9_N2at6native12_GLOBAL__N_19CustomMaxEEEEE10hipError_tPvRmT0_T1_jT2_SQ_T4_T3_P12ihipStream_tbEUlT_E_NS1_11comp_targetILNS1_3genE3ELNS1_11target_archE908ELNS1_3gpuE7ELNS1_3repE0EEENS1_30default_config_static_selectorELNS0_4arch9wavefront6targetE1EEEvSP_.num_agpr, 0
	.set _ZN7rocprim17ROCPRIM_400000_NS6detail17trampoline_kernelINS0_14default_configENS1_32segmented_reduce_config_selectorIdEEZNS1_21segmented_reduce_implIS3_PKdPdPKidN6hipcub16HIPCUB_304000_NS6detail27convert_result_type_wrapperIS8_S9_N2at6native12_GLOBAL__N_19CustomMaxEEEEE10hipError_tPvRmT0_T1_jT2_SQ_T4_T3_P12ihipStream_tbEUlT_E_NS1_11comp_targetILNS1_3genE3ELNS1_11target_archE908ELNS1_3gpuE7ELNS1_3repE0EEENS1_30default_config_static_selectorELNS0_4arch9wavefront6targetE1EEEvSP_.numbered_sgpr, 0
	.set _ZN7rocprim17ROCPRIM_400000_NS6detail17trampoline_kernelINS0_14default_configENS1_32segmented_reduce_config_selectorIdEEZNS1_21segmented_reduce_implIS3_PKdPdPKidN6hipcub16HIPCUB_304000_NS6detail27convert_result_type_wrapperIS8_S9_N2at6native12_GLOBAL__N_19CustomMaxEEEEE10hipError_tPvRmT0_T1_jT2_SQ_T4_T3_P12ihipStream_tbEUlT_E_NS1_11comp_targetILNS1_3genE3ELNS1_11target_archE908ELNS1_3gpuE7ELNS1_3repE0EEENS1_30default_config_static_selectorELNS0_4arch9wavefront6targetE1EEEvSP_.num_named_barrier, 0
	.set _ZN7rocprim17ROCPRIM_400000_NS6detail17trampoline_kernelINS0_14default_configENS1_32segmented_reduce_config_selectorIdEEZNS1_21segmented_reduce_implIS3_PKdPdPKidN6hipcub16HIPCUB_304000_NS6detail27convert_result_type_wrapperIS8_S9_N2at6native12_GLOBAL__N_19CustomMaxEEEEE10hipError_tPvRmT0_T1_jT2_SQ_T4_T3_P12ihipStream_tbEUlT_E_NS1_11comp_targetILNS1_3genE3ELNS1_11target_archE908ELNS1_3gpuE7ELNS1_3repE0EEENS1_30default_config_static_selectorELNS0_4arch9wavefront6targetE1EEEvSP_.private_seg_size, 0
	.set _ZN7rocprim17ROCPRIM_400000_NS6detail17trampoline_kernelINS0_14default_configENS1_32segmented_reduce_config_selectorIdEEZNS1_21segmented_reduce_implIS3_PKdPdPKidN6hipcub16HIPCUB_304000_NS6detail27convert_result_type_wrapperIS8_S9_N2at6native12_GLOBAL__N_19CustomMaxEEEEE10hipError_tPvRmT0_T1_jT2_SQ_T4_T3_P12ihipStream_tbEUlT_E_NS1_11comp_targetILNS1_3genE3ELNS1_11target_archE908ELNS1_3gpuE7ELNS1_3repE0EEENS1_30default_config_static_selectorELNS0_4arch9wavefront6targetE1EEEvSP_.uses_vcc, 0
	.set _ZN7rocprim17ROCPRIM_400000_NS6detail17trampoline_kernelINS0_14default_configENS1_32segmented_reduce_config_selectorIdEEZNS1_21segmented_reduce_implIS3_PKdPdPKidN6hipcub16HIPCUB_304000_NS6detail27convert_result_type_wrapperIS8_S9_N2at6native12_GLOBAL__N_19CustomMaxEEEEE10hipError_tPvRmT0_T1_jT2_SQ_T4_T3_P12ihipStream_tbEUlT_E_NS1_11comp_targetILNS1_3genE3ELNS1_11target_archE908ELNS1_3gpuE7ELNS1_3repE0EEENS1_30default_config_static_selectorELNS0_4arch9wavefront6targetE1EEEvSP_.uses_flat_scratch, 0
	.set _ZN7rocprim17ROCPRIM_400000_NS6detail17trampoline_kernelINS0_14default_configENS1_32segmented_reduce_config_selectorIdEEZNS1_21segmented_reduce_implIS3_PKdPdPKidN6hipcub16HIPCUB_304000_NS6detail27convert_result_type_wrapperIS8_S9_N2at6native12_GLOBAL__N_19CustomMaxEEEEE10hipError_tPvRmT0_T1_jT2_SQ_T4_T3_P12ihipStream_tbEUlT_E_NS1_11comp_targetILNS1_3genE3ELNS1_11target_archE908ELNS1_3gpuE7ELNS1_3repE0EEENS1_30default_config_static_selectorELNS0_4arch9wavefront6targetE1EEEvSP_.has_dyn_sized_stack, 0
	.set _ZN7rocprim17ROCPRIM_400000_NS6detail17trampoline_kernelINS0_14default_configENS1_32segmented_reduce_config_selectorIdEEZNS1_21segmented_reduce_implIS3_PKdPdPKidN6hipcub16HIPCUB_304000_NS6detail27convert_result_type_wrapperIS8_S9_N2at6native12_GLOBAL__N_19CustomMaxEEEEE10hipError_tPvRmT0_T1_jT2_SQ_T4_T3_P12ihipStream_tbEUlT_E_NS1_11comp_targetILNS1_3genE3ELNS1_11target_archE908ELNS1_3gpuE7ELNS1_3repE0EEENS1_30default_config_static_selectorELNS0_4arch9wavefront6targetE1EEEvSP_.has_recursion, 0
	.set _ZN7rocprim17ROCPRIM_400000_NS6detail17trampoline_kernelINS0_14default_configENS1_32segmented_reduce_config_selectorIdEEZNS1_21segmented_reduce_implIS3_PKdPdPKidN6hipcub16HIPCUB_304000_NS6detail27convert_result_type_wrapperIS8_S9_N2at6native12_GLOBAL__N_19CustomMaxEEEEE10hipError_tPvRmT0_T1_jT2_SQ_T4_T3_P12ihipStream_tbEUlT_E_NS1_11comp_targetILNS1_3genE3ELNS1_11target_archE908ELNS1_3gpuE7ELNS1_3repE0EEENS1_30default_config_static_selectorELNS0_4arch9wavefront6targetE1EEEvSP_.has_indirect_call, 0
	.section	.AMDGPU.csdata,"",@progbits
; Kernel info:
; codeLenInByte = 0
; TotalNumSgprs: 4
; NumVgprs: 0
; ScratchSize: 0
; MemoryBound: 0
; FloatMode: 240
; IeeeMode: 1
; LDSByteSize: 0 bytes/workgroup (compile time only)
; SGPRBlocks: 0
; VGPRBlocks: 0
; NumSGPRsForWavesPerEU: 4
; NumVGPRsForWavesPerEU: 1
; Occupancy: 10
; WaveLimiterHint : 0
; COMPUTE_PGM_RSRC2:SCRATCH_EN: 0
; COMPUTE_PGM_RSRC2:USER_SGPR: 6
; COMPUTE_PGM_RSRC2:TRAP_HANDLER: 0
; COMPUTE_PGM_RSRC2:TGID_X_EN: 1
; COMPUTE_PGM_RSRC2:TGID_Y_EN: 0
; COMPUTE_PGM_RSRC2:TGID_Z_EN: 0
; COMPUTE_PGM_RSRC2:TIDIG_COMP_CNT: 0
	.section	.text._ZN7rocprim17ROCPRIM_400000_NS6detail17trampoline_kernelINS0_14default_configENS1_32segmented_reduce_config_selectorIdEEZNS1_21segmented_reduce_implIS3_PKdPdPKidN6hipcub16HIPCUB_304000_NS6detail27convert_result_type_wrapperIS8_S9_N2at6native12_GLOBAL__N_19CustomMaxEEEEE10hipError_tPvRmT0_T1_jT2_SQ_T4_T3_P12ihipStream_tbEUlT_E_NS1_11comp_targetILNS1_3genE2ELNS1_11target_archE906ELNS1_3gpuE6ELNS1_3repE0EEENS1_30default_config_static_selectorELNS0_4arch9wavefront6targetE1EEEvSP_,"axG",@progbits,_ZN7rocprim17ROCPRIM_400000_NS6detail17trampoline_kernelINS0_14default_configENS1_32segmented_reduce_config_selectorIdEEZNS1_21segmented_reduce_implIS3_PKdPdPKidN6hipcub16HIPCUB_304000_NS6detail27convert_result_type_wrapperIS8_S9_N2at6native12_GLOBAL__N_19CustomMaxEEEEE10hipError_tPvRmT0_T1_jT2_SQ_T4_T3_P12ihipStream_tbEUlT_E_NS1_11comp_targetILNS1_3genE2ELNS1_11target_archE906ELNS1_3gpuE6ELNS1_3repE0EEENS1_30default_config_static_selectorELNS0_4arch9wavefront6targetE1EEEvSP_,comdat
	.globl	_ZN7rocprim17ROCPRIM_400000_NS6detail17trampoline_kernelINS0_14default_configENS1_32segmented_reduce_config_selectorIdEEZNS1_21segmented_reduce_implIS3_PKdPdPKidN6hipcub16HIPCUB_304000_NS6detail27convert_result_type_wrapperIS8_S9_N2at6native12_GLOBAL__N_19CustomMaxEEEEE10hipError_tPvRmT0_T1_jT2_SQ_T4_T3_P12ihipStream_tbEUlT_E_NS1_11comp_targetILNS1_3genE2ELNS1_11target_archE906ELNS1_3gpuE6ELNS1_3repE0EEENS1_30default_config_static_selectorELNS0_4arch9wavefront6targetE1EEEvSP_ ; -- Begin function _ZN7rocprim17ROCPRIM_400000_NS6detail17trampoline_kernelINS0_14default_configENS1_32segmented_reduce_config_selectorIdEEZNS1_21segmented_reduce_implIS3_PKdPdPKidN6hipcub16HIPCUB_304000_NS6detail27convert_result_type_wrapperIS8_S9_N2at6native12_GLOBAL__N_19CustomMaxEEEEE10hipError_tPvRmT0_T1_jT2_SQ_T4_T3_P12ihipStream_tbEUlT_E_NS1_11comp_targetILNS1_3genE2ELNS1_11target_archE906ELNS1_3gpuE6ELNS1_3repE0EEENS1_30default_config_static_selectorELNS0_4arch9wavefront6targetE1EEEvSP_
	.p2align	8
	.type	_ZN7rocprim17ROCPRIM_400000_NS6detail17trampoline_kernelINS0_14default_configENS1_32segmented_reduce_config_selectorIdEEZNS1_21segmented_reduce_implIS3_PKdPdPKidN6hipcub16HIPCUB_304000_NS6detail27convert_result_type_wrapperIS8_S9_N2at6native12_GLOBAL__N_19CustomMaxEEEEE10hipError_tPvRmT0_T1_jT2_SQ_T4_T3_P12ihipStream_tbEUlT_E_NS1_11comp_targetILNS1_3genE2ELNS1_11target_archE906ELNS1_3gpuE6ELNS1_3repE0EEENS1_30default_config_static_selectorELNS0_4arch9wavefront6targetE1EEEvSP_,@function
_ZN7rocprim17ROCPRIM_400000_NS6detail17trampoline_kernelINS0_14default_configENS1_32segmented_reduce_config_selectorIdEEZNS1_21segmented_reduce_implIS3_PKdPdPKidN6hipcub16HIPCUB_304000_NS6detail27convert_result_type_wrapperIS8_S9_N2at6native12_GLOBAL__N_19CustomMaxEEEEE10hipError_tPvRmT0_T1_jT2_SQ_T4_T3_P12ihipStream_tbEUlT_E_NS1_11comp_targetILNS1_3genE2ELNS1_11target_archE906ELNS1_3gpuE6ELNS1_3repE0EEENS1_30default_config_static_selectorELNS0_4arch9wavefront6targetE1EEEvSP_: ; @_ZN7rocprim17ROCPRIM_400000_NS6detail17trampoline_kernelINS0_14default_configENS1_32segmented_reduce_config_selectorIdEEZNS1_21segmented_reduce_implIS3_PKdPdPKidN6hipcub16HIPCUB_304000_NS6detail27convert_result_type_wrapperIS8_S9_N2at6native12_GLOBAL__N_19CustomMaxEEEEE10hipError_tPvRmT0_T1_jT2_SQ_T4_T3_P12ihipStream_tbEUlT_E_NS1_11comp_targetILNS1_3genE2ELNS1_11target_archE906ELNS1_3gpuE6ELNS1_3repE0EEENS1_30default_config_static_selectorELNS0_4arch9wavefront6targetE1EEEvSP_
; %bb.0:
	s_load_dwordx8 s[8:15], s[4:5], 0x0
	s_load_dwordx2 s[0:1], s[4:5], 0x20
	s_load_dwordx2 s[2:3], s[4:5], 0x30
	s_mov_b32 s7, 0
	v_cmp_eq_u32_e32 vcc, 0, v0
	s_waitcnt lgkmcnt(0)
	s_lshl_b64 s[4:5], s[12:13], 2
	s_add_u32 s14, s14, s4
	s_addc_u32 s15, s15, s5
	s_add_u32 s16, s0, s4
	s_addc_u32 s17, s1, s5
	s_lshl_b64 s[0:1], s[6:7], 2
	s_add_u32 s4, s14, s0
	s_addc_u32 s5, s15, s1
	s_add_u32 s0, s16, s0
	s_addc_u32 s1, s17, s1
	s_load_dword s14, s[4:5], 0x0
	s_load_dword s22, s[0:1], 0x0
	s_waitcnt lgkmcnt(0)
	s_cmp_gt_i32 s22, s14
	s_cbranch_scc1 .LBB14_3
; %bb.1:
	s_and_b64 s[4:5], vcc, exec
	s_cbranch_execz .LBB14_4
; %bb.2:
	v_mov_b32_e32 v4, s3
	v_mov_b32_e32 v3, s2
	s_and_saveexec_b64 s[0:1], s[4:5]
	s_cbranch_execnz .LBB14_261
	s_branch .LBB14_262
.LBB14_3:
	s_mov_b64 s[4:5], 0
.LBB14_4:
	s_add_i32 s0, s14, 0x800
	s_cmp_le_i32 s0, s22
	s_cbranch_scc0 .LBB14_13
; %bb.5:
	s_ashr_i32 s15, s14, 31
	s_lshl_b64 s[16:17], s[14:15], 3
	s_add_u32 s16, s8, s16
	s_addc_u32 s17, s9, s17
	v_lshlrev_b32_e32 v21, 3, v0
	v_mov_b32_e32 v1, s17
	v_add_co_u32_e32 v3, vcc, s16, v21
	v_addc_co_u32_e32 v4, vcc, 0, v1, vcc
	v_add_co_u32_e32 v1, vcc, 0x1000, v3
	v_addc_co_u32_e32 v2, vcc, 0, v4, vcc
	global_load_dwordx2 v[17:18], v21, s[16:17]
	global_load_dwordx2 v[15:16], v21, s[16:17] offset:2048
	global_load_dwordx2 v[13:14], v[1:2], off
	global_load_dwordx2 v[11:12], v[1:2], off offset:2048
	v_add_co_u32_e32 v7, vcc, 0x2000, v3
	v_addc_co_u32_e32 v8, vcc, 0, v4, vcc
	v_add_co_u32_e32 v19, vcc, 0x3000, v3
	v_addc_co_u32_e32 v20, vcc, 0, v4, vcc
	global_load_dwordx2 v[9:10], v[7:8], off
	global_load_dwordx2 v[5:6], v[7:8], off offset:2048
	global_load_dwordx2 v[3:4], v[19:20], off
	global_load_dwordx2 v[1:2], v[19:20], off offset:2048
	s_waitcnt vmcnt(7)
	v_cmp_o_f64_e32 vcc, v[17:18], v[17:18]
	v_mov_b32_e32 v7, v17
	v_mov_b32_e32 v8, v18
	s_and_saveexec_b64 s[16:17], vcc
	s_cbranch_execnz .LBB14_14
; %bb.6:
	s_or_b64 exec, exec, s[16:17]
	v_cmp_o_f64_e32 vcc, v[7:8], v[7:8]
	s_and_saveexec_b64 s[16:17], vcc
	s_cbranch_execnz .LBB14_17
.LBB14_7:
	s_or_b64 exec, exec, s[16:17]
	v_cmp_o_f64_e32 vcc, v[7:8], v[7:8]
	s_and_saveexec_b64 s[16:17], vcc
	s_cbranch_execnz .LBB14_20
.LBB14_8:
	s_or_b64 exec, exec, s[16:17]
	v_cmp_o_f64_e32 vcc, v[7:8], v[7:8]
	s_and_saveexec_b64 s[16:17], vcc
	s_cbranch_execnz .LBB14_23
.LBB14_9:
	s_or_b64 exec, exec, s[16:17]
	v_cmp_o_f64_e32 vcc, v[7:8], v[7:8]
	s_and_saveexec_b64 s[16:17], vcc
	s_cbranch_execnz .LBB14_26
.LBB14_10:
	s_or_b64 exec, exec, s[16:17]
	v_cmp_o_f64_e32 vcc, v[7:8], v[7:8]
	s_and_saveexec_b64 s[16:17], vcc
	s_cbranch_execnz .LBB14_29
.LBB14_11:
	s_or_b64 exec, exec, s[16:17]
	v_cmp_o_f64_e32 vcc, v[7:8], v[7:8]
	s_and_saveexec_b64 s[16:17], vcc
	s_cbranch_execnz .LBB14_32
.LBB14_12:
	s_or_b64 exec, exec, s[16:17]
	s_add_i32 s1, s14, 0x1000
	s_cmp_ge_i32 s1, s22
	s_cbranch_scc0 .LBB14_35
	s_branch .LBB14_71
.LBB14_13:
                                        ; implicit-def: $vgpr1_vgpr2
	s_cbranch_execnz .LBB14_156
	s_branch .LBB14_254
.LBB14_14:
	s_waitcnt vmcnt(6)
	v_cmp_o_f64_e32 vcc, v[15:16], v[15:16]
	v_mov_b32_e32 v7, v15
	v_mov_b32_e32 v8, v16
	s_and_saveexec_b64 s[18:19], vcc
	s_cbranch_execz .LBB14_16
; %bb.15:
	v_cmp_lt_f64_e32 vcc, v[17:18], v[15:16]
	v_cndmask_b32_e32 v8, v18, v16, vcc
	v_cndmask_b32_e32 v7, v17, v15, vcc
.LBB14_16:
	s_or_b64 exec, exec, s[18:19]
	s_or_b64 exec, exec, s[16:17]
	v_cmp_o_f64_e32 vcc, v[7:8], v[7:8]
	s_and_saveexec_b64 s[16:17], vcc
	s_cbranch_execz .LBB14_7
.LBB14_17:
	s_waitcnt vmcnt(5)
	v_cmp_o_f64_e32 vcc, v[13:14], v[13:14]
	v_mov_b32_e32 v20, v14
	v_mov_b32_e32 v19, v13
	s_and_saveexec_b64 s[18:19], vcc
	s_cbranch_execz .LBB14_19
; %bb.18:
	v_cmp_lt_f64_e32 vcc, v[7:8], v[13:14]
	v_cndmask_b32_e32 v20, v8, v14, vcc
	v_cndmask_b32_e32 v19, v7, v13, vcc
.LBB14_19:
	s_or_b64 exec, exec, s[18:19]
	v_mov_b32_e32 v7, v19
	v_mov_b32_e32 v8, v20
	s_or_b64 exec, exec, s[16:17]
	v_cmp_o_f64_e32 vcc, v[7:8], v[7:8]
	s_and_saveexec_b64 s[16:17], vcc
	s_cbranch_execz .LBB14_8
.LBB14_20:
	s_waitcnt vmcnt(4)
	v_cmp_o_f64_e32 vcc, v[11:12], v[11:12]
	v_mov_b32_e32 v20, v12
	v_mov_b32_e32 v19, v11
	s_and_saveexec_b64 s[18:19], vcc
	s_cbranch_execz .LBB14_22
; %bb.21:
	v_cmp_lt_f64_e32 vcc, v[7:8], v[11:12]
	v_cndmask_b32_e32 v20, v8, v12, vcc
	v_cndmask_b32_e32 v19, v7, v11, vcc
.LBB14_22:
	s_or_b64 exec, exec, s[18:19]
	v_mov_b32_e32 v7, v19
	v_mov_b32_e32 v8, v20
	s_or_b64 exec, exec, s[16:17]
	v_cmp_o_f64_e32 vcc, v[7:8], v[7:8]
	s_and_saveexec_b64 s[16:17], vcc
	s_cbranch_execz .LBB14_9
.LBB14_23:
	s_waitcnt vmcnt(3)
	v_cmp_o_f64_e32 vcc, v[9:10], v[9:10]
	v_mov_b32_e32 v20, v10
	v_mov_b32_e32 v19, v9
	s_and_saveexec_b64 s[18:19], vcc
	s_cbranch_execz .LBB14_25
; %bb.24:
	v_cmp_lt_f64_e32 vcc, v[7:8], v[9:10]
	v_cndmask_b32_e32 v20, v8, v10, vcc
	v_cndmask_b32_e32 v19, v7, v9, vcc
.LBB14_25:
	s_or_b64 exec, exec, s[18:19]
	v_mov_b32_e32 v7, v19
	v_mov_b32_e32 v8, v20
	s_or_b64 exec, exec, s[16:17]
	v_cmp_o_f64_e32 vcc, v[7:8], v[7:8]
	s_and_saveexec_b64 s[16:17], vcc
	s_cbranch_execz .LBB14_10
.LBB14_26:
	s_waitcnt vmcnt(2)
	v_cmp_o_f64_e32 vcc, v[5:6], v[5:6]
	v_mov_b32_e32 v20, v6
	v_mov_b32_e32 v19, v5
	s_and_saveexec_b64 s[18:19], vcc
	s_cbranch_execz .LBB14_28
; %bb.27:
	v_cmp_lt_f64_e32 vcc, v[7:8], v[5:6]
	v_cndmask_b32_e32 v20, v8, v6, vcc
	v_cndmask_b32_e32 v19, v7, v5, vcc
.LBB14_28:
	s_or_b64 exec, exec, s[18:19]
	v_mov_b32_e32 v7, v19
	v_mov_b32_e32 v8, v20
	s_or_b64 exec, exec, s[16:17]
	v_cmp_o_f64_e32 vcc, v[7:8], v[7:8]
	s_and_saveexec_b64 s[16:17], vcc
	s_cbranch_execz .LBB14_11
.LBB14_29:
	s_waitcnt vmcnt(1)
	v_cmp_o_f64_e32 vcc, v[3:4], v[3:4]
	v_mov_b32_e32 v20, v4
	v_mov_b32_e32 v19, v3
	s_and_saveexec_b64 s[18:19], vcc
	s_cbranch_execz .LBB14_31
; %bb.30:
	v_cmp_lt_f64_e32 vcc, v[7:8], v[3:4]
	v_cndmask_b32_e32 v20, v8, v4, vcc
	v_cndmask_b32_e32 v19, v7, v3, vcc
.LBB14_31:
	s_or_b64 exec, exec, s[18:19]
	v_mov_b32_e32 v7, v19
	v_mov_b32_e32 v8, v20
	s_or_b64 exec, exec, s[16:17]
	v_cmp_o_f64_e32 vcc, v[7:8], v[7:8]
	s_and_saveexec_b64 s[16:17], vcc
	s_cbranch_execz .LBB14_12
.LBB14_32:
	s_waitcnt vmcnt(0)
	v_cmp_o_f64_e32 vcc, v[1:2], v[1:2]
	v_mov_b32_e32 v20, v2
	v_mov_b32_e32 v19, v1
	s_and_saveexec_b64 s[18:19], vcc
	s_cbranch_execz .LBB14_34
; %bb.33:
	v_cmp_lt_f64_e32 vcc, v[7:8], v[1:2]
	v_cndmask_b32_e32 v20, v8, v2, vcc
	v_cndmask_b32_e32 v19, v7, v1, vcc
.LBB14_34:
	s_or_b64 exec, exec, s[18:19]
	v_mov_b32_e32 v7, v19
	v_mov_b32_e32 v8, v20
	s_or_b64 exec, exec, s[16:17]
	s_add_i32 s1, s14, 0x1000
	s_cmp_ge_i32 s1, s22
	s_cbranch_scc1 .LBB14_71
.LBB14_35:
	s_waitcnt vmcnt(0)
	v_mov_b32_e32 v1, s9
	v_add_co_u32_e32 v22, vcc, s8, v21
	v_addc_co_u32_e32 v23, vcc, 0, v1, vcc
.LBB14_36:                              ; =>This Inner Loop Header: Depth=1
	s_ashr_i32 s1, s0, 31
	s_lshl_b64 s[16:17], s[0:1], 3
	s_waitcnt vmcnt(0)
	v_mov_b32_e32 v2, s17
	v_add_co_u32_e32 v1, vcc, s16, v22
	v_addc_co_u32_e32 v2, vcc, v23, v2, vcc
	v_add_co_u32_e32 v3, vcc, 0x1000, v1
	v_addc_co_u32_e32 v4, vcc, 0, v2, vcc
	;; [unrolled: 2-line block ×3, first 2 shown]
	v_add_co_u32_e32 v24, vcc, 0x3000, v1
	global_load_dwordx2 v[17:18], v[1:2], off
	global_load_dwordx2 v[15:16], v[1:2], off offset:2048
	global_load_dwordx2 v[13:14], v[3:4], off
	global_load_dwordx2 v[11:12], v[3:4], off offset:2048
	v_addc_co_u32_e32 v25, vcc, 0, v2, vcc
	global_load_dwordx2 v[9:10], v[19:20], off
	global_load_dwordx2 v[5:6], v[19:20], off offset:2048
	global_load_dwordx2 v[3:4], v[24:25], off
	global_load_dwordx2 v[1:2], v[24:25], off offset:2048
	v_cmp_o_f64_e32 vcc, v[7:8], v[7:8]
	s_and_saveexec_b64 s[16:17], vcc
	s_cbranch_execnz .LBB14_44
; %bb.37:                               ;   in Loop: Header=BB14_36 Depth=1
	s_or_b64 exec, exec, s[16:17]
	v_cmp_o_f64_e32 vcc, v[7:8], v[7:8]
	s_and_saveexec_b64 s[16:17], vcc
	s_cbranch_execnz .LBB14_47
.LBB14_38:                              ;   in Loop: Header=BB14_36 Depth=1
	s_or_b64 exec, exec, s[16:17]
	v_cmp_o_f64_e32 vcc, v[7:8], v[7:8]
	s_and_saveexec_b64 s[16:17], vcc
	s_cbranch_execnz .LBB14_50
.LBB14_39:                              ;   in Loop: Header=BB14_36 Depth=1
	s_or_b64 exec, exec, s[16:17]
	v_cmp_o_f64_e32 vcc, v[7:8], v[7:8]
	s_and_saveexec_b64 s[16:17], vcc
	s_cbranch_execnz .LBB14_53
.LBB14_40:                              ;   in Loop: Header=BB14_36 Depth=1
	s_or_b64 exec, exec, s[16:17]
	v_cmp_o_f64_e32 vcc, v[7:8], v[7:8]
	s_and_saveexec_b64 s[16:17], vcc
	s_cbranch_execnz .LBB14_56
.LBB14_41:                              ;   in Loop: Header=BB14_36 Depth=1
	s_or_b64 exec, exec, s[16:17]
	v_cmp_o_f64_e32 vcc, v[7:8], v[7:8]
	s_and_saveexec_b64 s[16:17], vcc
	s_cbranch_execnz .LBB14_59
.LBB14_42:                              ;   in Loop: Header=BB14_36 Depth=1
	s_or_b64 exec, exec, s[16:17]
	v_cmp_o_f64_e32 vcc, v[7:8], v[7:8]
	s_and_saveexec_b64 s[16:17], vcc
	s_cbranch_execnz .LBB14_62
.LBB14_43:                              ;   in Loop: Header=BB14_36 Depth=1
	s_or_b64 exec, exec, s[16:17]
	v_cmp_o_f64_e32 vcc, v[7:8], v[7:8]
	s_and_saveexec_b64 s[16:17], vcc
	s_cbranch_execnz .LBB14_65
	s_branch .LBB14_68
.LBB14_44:                              ;   in Loop: Header=BB14_36 Depth=1
	s_waitcnt vmcnt(7)
	v_cmp_o_f64_e32 vcc, v[17:18], v[17:18]
	v_mov_b32_e32 v20, v18
	v_mov_b32_e32 v19, v17
	s_and_saveexec_b64 s[18:19], vcc
	s_cbranch_execz .LBB14_46
; %bb.45:                               ;   in Loop: Header=BB14_36 Depth=1
	v_cmp_lt_f64_e32 vcc, v[7:8], v[17:18]
	v_cndmask_b32_e32 v20, v8, v18, vcc
	v_cndmask_b32_e32 v19, v7, v17, vcc
.LBB14_46:                              ;   in Loop: Header=BB14_36 Depth=1
	s_or_b64 exec, exec, s[18:19]
	v_mov_b32_e32 v7, v19
	v_mov_b32_e32 v8, v20
	s_or_b64 exec, exec, s[16:17]
	v_cmp_o_f64_e32 vcc, v[7:8], v[7:8]
	s_and_saveexec_b64 s[16:17], vcc
	s_cbranch_execz .LBB14_38
.LBB14_47:                              ;   in Loop: Header=BB14_36 Depth=1
	s_waitcnt vmcnt(6)
	v_cmp_o_f64_e32 vcc, v[15:16], v[15:16]
	v_mov_b32_e32 v20, v16
	v_mov_b32_e32 v19, v15
	s_and_saveexec_b64 s[18:19], vcc
	s_cbranch_execz .LBB14_49
; %bb.48:                               ;   in Loop: Header=BB14_36 Depth=1
	v_cmp_lt_f64_e32 vcc, v[7:8], v[15:16]
	v_cndmask_b32_e32 v20, v8, v16, vcc
	v_cndmask_b32_e32 v19, v7, v15, vcc
.LBB14_49:                              ;   in Loop: Header=BB14_36 Depth=1
	s_or_b64 exec, exec, s[18:19]
	v_mov_b32_e32 v7, v19
	v_mov_b32_e32 v8, v20
	s_or_b64 exec, exec, s[16:17]
	v_cmp_o_f64_e32 vcc, v[7:8], v[7:8]
	s_and_saveexec_b64 s[16:17], vcc
	s_cbranch_execz .LBB14_39
.LBB14_50:                              ;   in Loop: Header=BB14_36 Depth=1
	s_waitcnt vmcnt(5)
	v_cmp_o_f64_e32 vcc, v[13:14], v[13:14]
	v_mov_b32_e32 v20, v14
	v_mov_b32_e32 v19, v13
	s_and_saveexec_b64 s[18:19], vcc
	s_cbranch_execz .LBB14_52
; %bb.51:                               ;   in Loop: Header=BB14_36 Depth=1
	v_cmp_lt_f64_e32 vcc, v[7:8], v[13:14]
	v_cndmask_b32_e32 v20, v8, v14, vcc
	v_cndmask_b32_e32 v19, v7, v13, vcc
.LBB14_52:                              ;   in Loop: Header=BB14_36 Depth=1
	s_or_b64 exec, exec, s[18:19]
	v_mov_b32_e32 v7, v19
	v_mov_b32_e32 v8, v20
	s_or_b64 exec, exec, s[16:17]
	v_cmp_o_f64_e32 vcc, v[7:8], v[7:8]
	s_and_saveexec_b64 s[16:17], vcc
	s_cbranch_execz .LBB14_40
.LBB14_53:                              ;   in Loop: Header=BB14_36 Depth=1
	s_waitcnt vmcnt(4)
	v_cmp_o_f64_e32 vcc, v[11:12], v[11:12]
	v_mov_b32_e32 v20, v12
	v_mov_b32_e32 v19, v11
	s_and_saveexec_b64 s[18:19], vcc
	s_cbranch_execz .LBB14_55
; %bb.54:                               ;   in Loop: Header=BB14_36 Depth=1
	v_cmp_lt_f64_e32 vcc, v[7:8], v[11:12]
	v_cndmask_b32_e32 v20, v8, v12, vcc
	v_cndmask_b32_e32 v19, v7, v11, vcc
.LBB14_55:                              ;   in Loop: Header=BB14_36 Depth=1
	s_or_b64 exec, exec, s[18:19]
	v_mov_b32_e32 v7, v19
	v_mov_b32_e32 v8, v20
	s_or_b64 exec, exec, s[16:17]
	v_cmp_o_f64_e32 vcc, v[7:8], v[7:8]
	s_and_saveexec_b64 s[16:17], vcc
	s_cbranch_execz .LBB14_41
.LBB14_56:                              ;   in Loop: Header=BB14_36 Depth=1
	s_waitcnt vmcnt(3)
	v_cmp_o_f64_e32 vcc, v[9:10], v[9:10]
	v_mov_b32_e32 v20, v10
	v_mov_b32_e32 v19, v9
	s_and_saveexec_b64 s[18:19], vcc
	s_cbranch_execz .LBB14_58
; %bb.57:                               ;   in Loop: Header=BB14_36 Depth=1
	v_cmp_lt_f64_e32 vcc, v[7:8], v[9:10]
	v_cndmask_b32_e32 v20, v8, v10, vcc
	v_cndmask_b32_e32 v19, v7, v9, vcc
.LBB14_58:                              ;   in Loop: Header=BB14_36 Depth=1
	s_or_b64 exec, exec, s[18:19]
	v_mov_b32_e32 v7, v19
	v_mov_b32_e32 v8, v20
	s_or_b64 exec, exec, s[16:17]
	v_cmp_o_f64_e32 vcc, v[7:8], v[7:8]
	s_and_saveexec_b64 s[16:17], vcc
	s_cbranch_execz .LBB14_42
.LBB14_59:                              ;   in Loop: Header=BB14_36 Depth=1
	s_waitcnt vmcnt(2)
	v_cmp_o_f64_e32 vcc, v[5:6], v[5:6]
	v_mov_b32_e32 v20, v6
	v_mov_b32_e32 v19, v5
	s_and_saveexec_b64 s[18:19], vcc
	s_cbranch_execz .LBB14_61
; %bb.60:                               ;   in Loop: Header=BB14_36 Depth=1
	v_cmp_lt_f64_e32 vcc, v[7:8], v[5:6]
	v_cndmask_b32_e32 v20, v8, v6, vcc
	v_cndmask_b32_e32 v19, v7, v5, vcc
.LBB14_61:                              ;   in Loop: Header=BB14_36 Depth=1
	s_or_b64 exec, exec, s[18:19]
	v_mov_b32_e32 v7, v19
	v_mov_b32_e32 v8, v20
	s_or_b64 exec, exec, s[16:17]
	v_cmp_o_f64_e32 vcc, v[7:8], v[7:8]
	s_and_saveexec_b64 s[16:17], vcc
	s_cbranch_execz .LBB14_43
.LBB14_62:                              ;   in Loop: Header=BB14_36 Depth=1
	s_waitcnt vmcnt(1)
	v_cmp_o_f64_e32 vcc, v[3:4], v[3:4]
	v_mov_b32_e32 v20, v4
	v_mov_b32_e32 v19, v3
	s_and_saveexec_b64 s[18:19], vcc
	s_cbranch_execz .LBB14_64
; %bb.63:                               ;   in Loop: Header=BB14_36 Depth=1
	v_cmp_lt_f64_e32 vcc, v[7:8], v[3:4]
	v_cndmask_b32_e32 v20, v8, v4, vcc
	v_cndmask_b32_e32 v19, v7, v3, vcc
.LBB14_64:                              ;   in Loop: Header=BB14_36 Depth=1
	s_or_b64 exec, exec, s[18:19]
	v_mov_b32_e32 v7, v19
	v_mov_b32_e32 v8, v20
	s_or_b64 exec, exec, s[16:17]
	v_cmp_o_f64_e32 vcc, v[7:8], v[7:8]
	s_and_saveexec_b64 s[16:17], vcc
	s_cbranch_execz .LBB14_68
.LBB14_65:                              ;   in Loop: Header=BB14_36 Depth=1
	s_waitcnt vmcnt(0)
	v_cmp_o_f64_e32 vcc, v[1:2], v[1:2]
	v_mov_b32_e32 v20, v2
	v_mov_b32_e32 v19, v1
	s_and_saveexec_b64 s[18:19], vcc
	s_cbranch_execz .LBB14_67
; %bb.66:                               ;   in Loop: Header=BB14_36 Depth=1
	v_cmp_lt_f64_e32 vcc, v[7:8], v[1:2]
	v_cndmask_b32_e32 v20, v8, v2, vcc
	v_cndmask_b32_e32 v19, v7, v1, vcc
.LBB14_67:                              ;   in Loop: Header=BB14_36 Depth=1
	s_or_b64 exec, exec, s[18:19]
	v_mov_b32_e32 v7, v19
	v_mov_b32_e32 v8, v20
.LBB14_68:                              ;   in Loop: Header=BB14_36 Depth=1
	s_or_b64 exec, exec, s[16:17]
	s_add_i32 s1, s0, 0x800
	s_addk_i32 s0, 0x1000
	s_cmp_lt_i32 s0, s22
	s_cbranch_scc0 .LBB14_70
; %bb.69:                               ;   in Loop: Header=BB14_36 Depth=1
	s_mov_b32 s0, s1
	s_branch .LBB14_36
.LBB14_70:
	s_mov_b32 s0, s1
.LBB14_71:
	s_ashr_i32 s1, s0, 31
	s_sub_i32 s15, s22, s0
	s_lshl_b64 s[0:1], s[0:1], 3
	s_add_u32 s0, s8, s0
	s_addc_u32 s1, s9, s1
	v_cmp_gt_u32_e32 vcc, s15, v0
	s_and_saveexec_b64 s[16:17], vcc
	s_cbranch_execz .LBB14_73
; %bb.72:
	global_load_dwordx2 v[17:18], v21, s[0:1]
.LBB14_73:
	s_or_b64 exec, exec, s[16:17]
	v_or_b32_e32 v25, 0x100, v0
	v_cmp_gt_u32_e32 vcc, s15, v25
	s_and_saveexec_b64 s[16:17], vcc
	s_cbranch_execz .LBB14_75
; %bb.74:
	global_load_dwordx2 v[15:16], v21, s[0:1] offset:2048
.LBB14_75:
	s_or_b64 exec, exec, s[16:17]
	v_or_b32_e32 v24, 0x200, v0
	v_cmp_gt_u32_e32 vcc, s15, v24
	s_and_saveexec_b64 s[16:17], vcc
	s_cbranch_execz .LBB14_77
; %bb.76:
	s_waitcnt vmcnt(5)
	v_lshlrev_b32_e32 v13, 3, v24
	global_load_dwordx2 v[13:14], v13, s[0:1]
.LBB14_77:
	s_or_b64 exec, exec, s[16:17]
	v_or_b32_e32 v23, 0x300, v0
	v_cmp_gt_u32_e32 vcc, s15, v23
	s_and_saveexec_b64 s[16:17], vcc
	s_cbranch_execz .LBB14_79
; %bb.78:
	s_waitcnt vmcnt(4)
	v_lshlrev_b32_e32 v11, 3, v23
	global_load_dwordx2 v[11:12], v11, s[0:1]
.LBB14_79:
	;; [unrolled: 10-line block ×6, first 2 shown]
	s_or_b64 exec, exec, s[16:17]
	v_cmp_o_f64_e32 vcc, v[7:8], v[7:8]
	v_cmp_gt_u32_e64 s[0:1], s15, v0
	s_and_b64 s[16:17], s[0:1], vcc
	s_and_saveexec_b64 s[0:1], s[16:17]
	s_cbranch_execz .LBB14_91
; %bb.88:
	s_waitcnt vmcnt(0)
	v_cmp_o_f64_e32 vcc, v[17:18], v[17:18]
	s_and_saveexec_b64 s[16:17], vcc
	s_cbranch_execz .LBB14_90
; %bb.89:
	v_cmp_lt_f64_e32 vcc, v[7:8], v[17:18]
	v_cndmask_b32_e32 v18, v8, v18, vcc
	v_cndmask_b32_e32 v17, v7, v17, vcc
.LBB14_90:
	s_or_b64 exec, exec, s[16:17]
	v_mov_b32_e32 v7, v17
	v_mov_b32_e32 v8, v18
.LBB14_91:
	s_or_b64 exec, exec, s[0:1]
	v_cmp_o_f64_e32 vcc, v[7:8], v[7:8]
	v_cmp_gt_u32_e64 s[0:1], s15, v25
	s_and_b64 s[16:17], s[0:1], vcc
	s_and_saveexec_b64 s[0:1], s[16:17]
	s_cbranch_execz .LBB14_95
; %bb.92:
	s_waitcnt vmcnt(0)
	v_cmp_o_f64_e32 vcc, v[15:16], v[15:16]
	s_and_saveexec_b64 s[16:17], vcc
	s_cbranch_execz .LBB14_94
; %bb.93:
	v_cmp_lt_f64_e32 vcc, v[7:8], v[15:16]
	v_cndmask_b32_e32 v16, v8, v16, vcc
	v_cndmask_b32_e32 v15, v7, v15, vcc
.LBB14_94:
	s_or_b64 exec, exec, s[16:17]
	v_mov_b32_e32 v7, v15
	v_mov_b32_e32 v8, v16
.LBB14_95:
	;; [unrolled: 20-line block ×8, first 2 shown]
	s_or_b64 exec, exec, s[0:1]
	s_waitcnt vmcnt(0)
	v_mov_b32_dpp v1, v7 quad_perm:[1,0,3,2] row_mask:0xf bank_mask:0xf bound_ctrl:1
	v_mov_b32_dpp v2, v8 quad_perm:[1,0,3,2] row_mask:0xf bank_mask:0xf bound_ctrl:1
	v_cmp_o_f64_e32 vcc, v[1:2], v[1:2]
	s_and_saveexec_b64 s[0:1], vcc
	s_xor_b64 s[0:1], exec, s[0:1]
	s_cbranch_execz .LBB14_123
; %bb.120:
	v_cmp_o_f64_e32 vcc, v[7:8], v[7:8]
	s_and_saveexec_b64 s[16:17], vcc
	s_cbranch_execz .LBB14_122
; %bb.121:
	v_cmp_gt_f64_e32 vcc, v[7:8], v[1:2]
	v_cndmask_b32_e32 v8, v2, v8, vcc
	v_cndmask_b32_e32 v7, v1, v7, vcc
.LBB14_122:
	s_or_b64 exec, exec, s[16:17]
	v_mov_b32_e32 v1, v7
	v_mov_b32_e32 v2, v8
.LBB14_123:
	s_or_b64 exec, exec, s[0:1]
	v_mov_b32_dpp v3, v1 quad_perm:[2,3,0,1] row_mask:0xf bank_mask:0xf bound_ctrl:1
	v_mov_b32_dpp v4, v2 quad_perm:[2,3,0,1] row_mask:0xf bank_mask:0xf bound_ctrl:1
	v_cmp_o_f64_e32 vcc, v[3:4], v[3:4]
	s_and_saveexec_b64 s[0:1], vcc
	s_cbranch_execz .LBB14_127
; %bb.124:
	v_cmp_o_f64_e32 vcc, v[1:2], v[1:2]
	s_and_saveexec_b64 s[16:17], vcc
	s_cbranch_execz .LBB14_126
; %bb.125:
	v_cmp_gt_f64_e32 vcc, v[1:2], v[3:4]
	v_cndmask_b32_e32 v2, v4, v2, vcc
	v_cndmask_b32_e32 v1, v3, v1, vcc
.LBB14_126:
	s_or_b64 exec, exec, s[16:17]
	v_mov_b32_e32 v4, v2
	v_mov_b32_e32 v3, v1
.LBB14_127:
	s_or_b64 exec, exec, s[0:1]
	s_nop 0
	v_mov_b32_dpp v1, v3 row_ror:4 row_mask:0xf bank_mask:0xf bound_ctrl:1
	v_mov_b32_dpp v2, v4 row_ror:4 row_mask:0xf bank_mask:0xf bound_ctrl:1
	v_cmp_o_f64_e32 vcc, v[1:2], v[1:2]
	s_and_saveexec_b64 s[0:1], vcc
	s_cbranch_execz .LBB14_131
; %bb.128:
	v_cmp_o_f64_e32 vcc, v[3:4], v[3:4]
	s_and_saveexec_b64 s[16:17], vcc
	s_cbranch_execz .LBB14_130
; %bb.129:
	v_cmp_gt_f64_e32 vcc, v[3:4], v[1:2]
	v_cndmask_b32_e32 v4, v2, v4, vcc
	v_cndmask_b32_e32 v3, v1, v3, vcc
.LBB14_130:
	s_or_b64 exec, exec, s[16:17]
	v_mov_b32_e32 v1, v3
	v_mov_b32_e32 v2, v4
.LBB14_131:
	s_or_b64 exec, exec, s[0:1]
	v_mov_b32_dpp v3, v1 row_ror:8 row_mask:0xf bank_mask:0xf bound_ctrl:1
	v_mov_b32_dpp v4, v2 row_ror:8 row_mask:0xf bank_mask:0xf bound_ctrl:1
	v_cmp_o_f64_e32 vcc, v[3:4], v[3:4]
	s_and_saveexec_b64 s[0:1], vcc
	s_cbranch_execz .LBB14_135
; %bb.132:
	v_cmp_o_f64_e32 vcc, v[1:2], v[1:2]
	s_and_saveexec_b64 s[16:17], vcc
	s_cbranch_execz .LBB14_134
; %bb.133:
	v_cmp_gt_f64_e32 vcc, v[1:2], v[3:4]
	v_cndmask_b32_e32 v2, v4, v2, vcc
	v_cndmask_b32_e32 v1, v3, v1, vcc
.LBB14_134:
	s_or_b64 exec, exec, s[16:17]
	v_mov_b32_e32 v4, v2
	v_mov_b32_e32 v3, v1
.LBB14_135:
	s_or_b64 exec, exec, s[0:1]
	s_nop 0
	v_mov_b32_dpp v1, v3 row_bcast:15 row_mask:0xf bank_mask:0xf bound_ctrl:1
	v_mov_b32_dpp v2, v4 row_bcast:15 row_mask:0xf bank_mask:0xf bound_ctrl:1
	v_cmp_o_f64_e32 vcc, v[1:2], v[1:2]
	s_and_saveexec_b64 s[0:1], vcc
	s_cbranch_execz .LBB14_139
; %bb.136:
	v_cmp_o_f64_e32 vcc, v[3:4], v[3:4]
	s_and_saveexec_b64 s[16:17], vcc
	s_cbranch_execz .LBB14_138
; %bb.137:
	v_cmp_gt_f64_e32 vcc, v[3:4], v[1:2]
	v_cndmask_b32_e32 v4, v2, v4, vcc
	v_cndmask_b32_e32 v3, v1, v3, vcc
.LBB14_138:
	s_or_b64 exec, exec, s[16:17]
	v_mov_b32_e32 v1, v3
	v_mov_b32_e32 v2, v4
.LBB14_139:
	s_or_b64 exec, exec, s[0:1]
	v_mov_b32_dpp v3, v1 row_bcast:31 row_mask:0xf bank_mask:0xf bound_ctrl:1
	v_mov_b32_dpp v4, v2 row_bcast:31 row_mask:0xf bank_mask:0xf bound_ctrl:1
	v_cmp_o_f64_e32 vcc, v[3:4], v[3:4]
	s_and_saveexec_b64 s[0:1], vcc
	s_cbranch_execz .LBB14_143
; %bb.140:
	v_cmp_o_f64_e32 vcc, v[1:2], v[1:2]
	s_and_saveexec_b64 s[16:17], vcc
	s_cbranch_execz .LBB14_142
; %bb.141:
	v_cmp_gt_f64_e32 vcc, v[1:2], v[3:4]
	v_cndmask_b32_e32 v2, v4, v2, vcc
	v_cndmask_b32_e32 v1, v3, v1, vcc
.LBB14_142:
	s_or_b64 exec, exec, s[16:17]
	v_mov_b32_e32 v4, v2
	v_mov_b32_e32 v3, v1
.LBB14_143:
	s_or_b64 exec, exec, s[0:1]
	v_mbcnt_lo_u32_b32 v1, -1, 0
	v_mbcnt_hi_u32_b32 v6, -1, v1
	v_lshlrev_b32_e32 v5, 2, v6
	v_or_b32_e32 v2, 0xfc, v5
	ds_bpermute_b32 v1, v2, v3
	ds_bpermute_b32 v2, v2, v4
	v_cmp_eq_u32_e32 vcc, 0, v6
	s_and_saveexec_b64 s[0:1], vcc
	s_cbranch_execz .LBB14_145
; %bb.144:
	v_lshrrev_b32_e32 v3, 3, v0
	v_and_b32_e32 v3, 24, v3
	s_waitcnt lgkmcnt(0)
	ds_write_b64 v3, v[1:2]
.LBB14_145:
	s_or_b64 exec, exec, s[0:1]
	v_cmp_gt_u32_e32 vcc, 64, v0
	s_waitcnt lgkmcnt(0)
	s_barrier
	s_and_saveexec_b64 s[0:1], vcc
	s_cbranch_execz .LBB14_155
; %bb.146:
	v_and_b32_e32 v3, 3, v6
	v_lshlrev_b32_e32 v1, 3, v3
	ds_read_b64 v[1:2], v1
	v_cmp_ne_u32_e32 vcc, 3, v3
	v_addc_co_u32_e32 v3, vcc, 0, v6, vcc
	v_lshlrev_b32_e32 v4, 2, v3
	s_waitcnt lgkmcnt(0)
	v_cmp_o_f64_e32 vcc, v[1:2], v[1:2]
	ds_bpermute_b32 v3, v4, v1
	ds_bpermute_b32 v4, v4, v2
	s_and_saveexec_b64 s[16:17], vcc
	s_cbranch_execz .LBB14_150
; %bb.147:
	s_waitcnt lgkmcnt(0)
	v_cmp_o_f64_e32 vcc, v[3:4], v[3:4]
	s_and_saveexec_b64 s[18:19], vcc
	s_cbranch_execz .LBB14_149
; %bb.148:
	v_cmp_lt_f64_e32 vcc, v[1:2], v[3:4]
	v_cndmask_b32_e32 v4, v2, v4, vcc
	v_cndmask_b32_e32 v3, v1, v3, vcc
.LBB14_149:
	s_or_b64 exec, exec, s[18:19]
	v_mov_b32_e32 v1, v3
	v_mov_b32_e32 v2, v4
.LBB14_150:
	s_or_b64 exec, exec, s[16:17]
	v_cmp_o_f64_e32 vcc, v[1:2], v[1:2]
	s_waitcnt lgkmcnt(0)
	v_or_b32_e32 v4, 8, v5
	ds_bpermute_b32 v3, v4, v1
	ds_bpermute_b32 v4, v4, v2
	s_and_saveexec_b64 s[16:17], vcc
	s_cbranch_execz .LBB14_154
; %bb.151:
	s_waitcnt lgkmcnt(0)
	v_cmp_o_f64_e32 vcc, v[3:4], v[3:4]
	s_and_saveexec_b64 s[18:19], vcc
	s_cbranch_execz .LBB14_153
; %bb.152:
	v_cmp_lt_f64_e32 vcc, v[1:2], v[3:4]
	v_cndmask_b32_e32 v4, v2, v4, vcc
	v_cndmask_b32_e32 v3, v1, v3, vcc
.LBB14_153:
	s_or_b64 exec, exec, s[18:19]
	v_mov_b32_e32 v1, v3
	v_mov_b32_e32 v2, v4
.LBB14_154:
	s_or_b64 exec, exec, s[16:17]
.LBB14_155:
	s_or_b64 exec, exec, s[0:1]
	s_branch .LBB14_254
.LBB14_156:
	s_sub_i32 s23, s22, s14
	v_cmp_gt_u32_e32 vcc, s23, v0
                                        ; implicit-def: $vgpr3_vgpr4
	s_and_saveexec_b64 s[0:1], vcc
	s_cbranch_execz .LBB14_166
; %bb.157:
	v_add_u32_e32 v1, s14, v0
	v_ashrrev_i32_e32 v2, 31, v1
	s_waitcnt lgkmcnt(1)
	v_lshlrev_b64 v[2:3], 3, v[1:2]
	s_waitcnt lgkmcnt(0)
	v_mov_b32_e32 v4, s9
	v_add_co_u32_e32 v2, vcc, s8, v2
	v_addc_co_u32_e32 v3, vcc, v4, v3, vcc
	global_load_dwordx2 v[3:4], v[2:3], off
	v_add_u32_e32 v1, 0x100, v1
	v_cmp_gt_i32_e32 vcc, s22, v1
	s_and_saveexec_b64 s[14:15], vcc
	s_cbranch_execz .LBB14_165
; %bb.158:
	s_mov_b64 s[16:17], 0
	s_branch .LBB14_161
.LBB14_159:                             ;   in Loop: Header=BB14_161 Depth=1
	s_or_b64 exec, exec, s[20:21]
	v_mov_b32_e32 v3, v5
	v_mov_b32_e32 v4, v6
.LBB14_160:                             ;   in Loop: Header=BB14_161 Depth=1
	s_or_b64 exec, exec, s[18:19]
	v_add_u32_e32 v1, 0x100, v1
	v_cmp_le_i32_e32 vcc, s22, v1
	s_or_b64 s[16:17], vcc, s[16:17]
	s_andn2_b64 exec, exec, s[16:17]
	s_cbranch_execz .LBB14_164
.LBB14_161:                             ; =>This Inner Loop Header: Depth=1
	s_waitcnt vmcnt(0)
	v_cmp_o_f64_e32 vcc, v[3:4], v[3:4]
	s_and_saveexec_b64 s[18:19], vcc
	s_cbranch_execz .LBB14_160
; %bb.162:                              ;   in Loop: Header=BB14_161 Depth=1
	v_ashrrev_i32_e32 v2, 31, v1
	v_lshlrev_b64 v[5:6], 3, v[1:2]
	v_mov_b32_e32 v2, s9
	v_add_co_u32_e32 v5, vcc, s8, v5
	v_addc_co_u32_e32 v6, vcc, v2, v6, vcc
	global_load_dwordx2 v[5:6], v[5:6], off
	s_waitcnt vmcnt(0)
	v_cmp_o_f64_e32 vcc, v[5:6], v[5:6]
	s_and_saveexec_b64 s[20:21], vcc
	s_cbranch_execz .LBB14_159
; %bb.163:                              ;   in Loop: Header=BB14_161 Depth=1
	v_cmp_lt_f64_e32 vcc, v[3:4], v[5:6]
	v_cndmask_b32_e32 v6, v4, v6, vcc
	v_cndmask_b32_e32 v5, v3, v5, vcc
	s_branch .LBB14_159
.LBB14_164:
	s_or_b64 exec, exec, s[16:17]
.LBB14_165:
	s_or_b64 exec, exec, s[14:15]
.LBB14_166:
	s_or_b64 exec, exec, s[0:1]
	v_mbcnt_lo_u32_b32 v1, -1, 0
	s_cmpk_lt_u32 s23, 0x100
	v_lshrrev_b32_e32 v10, 6, v0
	v_mbcnt_hi_u32_b32 v9, -1, v1
	s_cbranch_scc0 .LBB14_216
; %bb.167:
	v_and_b32_e32 v12, 63, v9
	v_cmp_ne_u32_e32 vcc, 63, v12
	v_addc_co_u32_e32 v2, vcc, 0, v9, vcc
	v_lshlrev_b32_e32 v2, 2, v2
	s_waitcnt vmcnt(0) lgkmcnt(1)
	ds_bpermute_b32 v7, v2, v3
	s_waitcnt lgkmcnt(1)
	ds_bpermute_b32 v8, v2, v4
	v_and_b32_e32 v1, 0xc0, v0
	v_sub_u32_e64 v11, s23, v1 clamp
	v_add_u32_e32 v1, 1, v12
	v_cmp_lt_u32_e32 vcc, v1, v11
	v_mov_b32_e32 v1, v3
	v_mov_b32_e32 v5, v3
	;; [unrolled: 1-line block ×4, first 2 shown]
	s_and_saveexec_b64 s[0:1], vcc
	s_cbranch_execz .LBB14_173
; %bb.168:
	v_cmp_o_f64_e32 vcc, v[3:4], v[3:4]
	v_mov_b32_e32 v6, v4
	v_mov_b32_e32 v5, v3
	s_and_saveexec_b64 s[8:9], vcc
	s_cbranch_execz .LBB14_172
; %bb.169:
	s_waitcnt lgkmcnt(0)
	v_cmp_o_f64_e32 vcc, v[7:8], v[7:8]
	s_and_saveexec_b64 s[14:15], vcc
	s_cbranch_execz .LBB14_171
; %bb.170:
	v_cmp_lt_f64_e32 vcc, v[3:4], v[7:8]
	v_cndmask_b32_e32 v8, v4, v8, vcc
	v_cndmask_b32_e32 v7, v3, v7, vcc
.LBB14_171:
	s_or_b64 exec, exec, s[14:15]
	v_mov_b32_e32 v5, v7
	v_mov_b32_e32 v6, v8
.LBB14_172:
	s_or_b64 exec, exec, s[8:9]
	v_mov_b32_e32 v1, v5
	v_mov_b32_e32 v2, v6
.LBB14_173:
	s_or_b64 exec, exec, s[0:1]
	v_cmp_gt_u32_e32 vcc, 62, v12
	s_waitcnt lgkmcnt(1)
	v_cndmask_b32_e64 v7, 0, 2, vcc
	s_waitcnt lgkmcnt(0)
	v_add_lshl_u32 v8, v7, v9, 2
	ds_bpermute_b32 v7, v8, v5
	ds_bpermute_b32 v8, v8, v6
	v_add_u32_e32 v13, 2, v12
	v_cmp_lt_u32_e32 vcc, v13, v11
	s_and_saveexec_b64 s[0:1], vcc
	s_cbranch_execz .LBB14_179
; %bb.174:
	v_cmp_o_f64_e32 vcc, v[1:2], v[1:2]
	s_and_saveexec_b64 s[8:9], vcc
	s_cbranch_execz .LBB14_178
; %bb.175:
	s_waitcnt lgkmcnt(0)
	v_cmp_o_f64_e32 vcc, v[7:8], v[7:8]
	s_and_saveexec_b64 s[14:15], vcc
	s_cbranch_execz .LBB14_177
; %bb.176:
	v_cmp_lt_f64_e32 vcc, v[1:2], v[7:8]
	v_cndmask_b32_e32 v8, v2, v8, vcc
	v_cndmask_b32_e32 v7, v1, v7, vcc
.LBB14_177:
	s_or_b64 exec, exec, s[14:15]
	v_mov_b32_e32 v1, v7
	v_mov_b32_e32 v2, v8
.LBB14_178:
	s_or_b64 exec, exec, s[8:9]
	v_mov_b32_e32 v5, v1
	v_mov_b32_e32 v6, v2
.LBB14_179:
	s_or_b64 exec, exec, s[0:1]
	v_cmp_gt_u32_e32 vcc, 60, v12
	s_waitcnt lgkmcnt(1)
	v_cndmask_b32_e64 v7, 0, 4, vcc
	s_waitcnt lgkmcnt(0)
	v_add_lshl_u32 v8, v7, v9, 2
	ds_bpermute_b32 v7, v8, v5
	ds_bpermute_b32 v8, v8, v6
	v_add_u32_e32 v13, 4, v12
	v_cmp_lt_u32_e32 vcc, v13, v11
	s_and_saveexec_b64 s[0:1], vcc
	s_cbranch_execz .LBB14_185
; %bb.180:
	v_cmp_o_f64_e32 vcc, v[1:2], v[1:2]
	s_and_saveexec_b64 s[8:9], vcc
	s_cbranch_execz .LBB14_184
; %bb.181:
	s_waitcnt lgkmcnt(0)
	v_cmp_o_f64_e32 vcc, v[7:8], v[7:8]
	s_and_saveexec_b64 s[14:15], vcc
	s_cbranch_execz .LBB14_183
; %bb.182:
	v_cmp_lt_f64_e32 vcc, v[1:2], v[7:8]
	v_cndmask_b32_e32 v8, v2, v8, vcc
	v_cndmask_b32_e32 v7, v1, v7, vcc
.LBB14_183:
	s_or_b64 exec, exec, s[14:15]
	v_mov_b32_e32 v1, v7
	v_mov_b32_e32 v2, v8
.LBB14_184:
	s_or_b64 exec, exec, s[8:9]
	v_mov_b32_e32 v5, v1
	v_mov_b32_e32 v6, v2
.LBB14_185:
	;; [unrolled: 34-line block ×4, first 2 shown]
	s_or_b64 exec, exec, s[0:1]
	v_cmp_o_f64_e32 vcc, v[1:2], v[1:2]
	s_waitcnt lgkmcnt(1)
	v_lshlrev_b32_e32 v7, 2, v9
	s_waitcnt lgkmcnt(0)
	v_or_b32_e32 v8, 0x80, v7
	ds_bpermute_b32 v5, v8, v5
	ds_bpermute_b32 v6, v8, v6
	v_add_u32_e32 v8, 32, v12
	v_cmp_lt_u32_e64 s[0:1], v8, v11
	s_and_b64 s[8:9], s[0:1], vcc
	s_and_saveexec_b64 s[0:1], s[8:9]
	s_cbranch_execz .LBB14_201
; %bb.198:
	s_waitcnt lgkmcnt(0)
	v_cmp_o_f64_e32 vcc, v[5:6], v[5:6]
	s_and_saveexec_b64 s[8:9], vcc
	s_cbranch_execz .LBB14_200
; %bb.199:
	v_cmp_lt_f64_e32 vcc, v[1:2], v[5:6]
	v_cndmask_b32_e32 v6, v2, v6, vcc
	v_cndmask_b32_e32 v5, v1, v5, vcc
.LBB14_200:
	s_or_b64 exec, exec, s[8:9]
	v_mov_b32_e32 v1, v5
	v_mov_b32_e32 v2, v6
.LBB14_201:
	s_or_b64 exec, exec, s[0:1]
	v_cmp_eq_u32_e32 vcc, 0, v9
	s_and_saveexec_b64 s[0:1], vcc
	s_cbranch_execz .LBB14_203
; %bb.202:
	s_waitcnt lgkmcnt(1)
	v_lshlrev_b32_e32 v5, 3, v10
	ds_write_b64 v5, v[1:2]
.LBB14_203:
	s_or_b64 exec, exec, s[0:1]
	v_cmp_gt_u32_e32 vcc, 4, v0
	s_waitcnt lgkmcnt(0)
	s_barrier
	s_and_saveexec_b64 s[8:9], vcc
	s_cbranch_execz .LBB14_215
; %bb.204:
	v_lshlrev_b32_e32 v1, 3, v9
	ds_read_b64 v[1:2], v1
	v_and_b32_e32 v8, 3, v9
	v_cmp_ne_u32_e32 vcc, 3, v8
	v_addc_co_u32_e32 v5, vcc, 0, v9, vcc
	v_lshlrev_b32_e32 v6, 2, v5
	s_waitcnt lgkmcnt(0)
	ds_bpermute_b32 v5, v6, v1
	ds_bpermute_b32 v6, v6, v2
	s_add_i32 s23, s23, 63
	s_lshr_b32 s18, s23, 6
	v_add_u32_e32 v11, 1, v8
	v_cmp_gt_u32_e32 vcc, s18, v11
	s_and_saveexec_b64 s[0:1], vcc
	s_cbranch_execz .LBB14_210
; %bb.205:
	v_cmp_o_f64_e32 vcc, v[1:2], v[1:2]
	s_and_saveexec_b64 s[14:15], vcc
	s_cbranch_execz .LBB14_209
; %bb.206:
	s_waitcnt lgkmcnt(0)
	v_cmp_o_f64_e32 vcc, v[5:6], v[5:6]
	s_and_saveexec_b64 s[16:17], vcc
	s_cbranch_execz .LBB14_208
; %bb.207:
	v_cmp_lt_f64_e32 vcc, v[1:2], v[5:6]
	v_cndmask_b32_e32 v6, v2, v6, vcc
	v_cndmask_b32_e32 v5, v1, v5, vcc
.LBB14_208:
	s_or_b64 exec, exec, s[16:17]
	v_mov_b32_e32 v1, v5
	v_mov_b32_e32 v2, v6
.LBB14_209:
	s_or_b64 exec, exec, s[14:15]
.LBB14_210:
	s_or_b64 exec, exec, s[0:1]
	v_cmp_o_f64_e32 vcc, v[1:2], v[1:2]
	s_waitcnt lgkmcnt(0)
	v_or_b32_e32 v6, 8, v7
	ds_bpermute_b32 v5, v6, v1
	ds_bpermute_b32 v6, v6, v2
	v_add_u32_e32 v7, 2, v8
	v_cmp_gt_u32_e64 s[0:1], s18, v7
	s_and_b64 s[14:15], s[0:1], vcc
	s_and_saveexec_b64 s[0:1], s[14:15]
	s_cbranch_execz .LBB14_214
; %bb.211:
	s_waitcnt lgkmcnt(0)
	v_cmp_o_f64_e32 vcc, v[5:6], v[5:6]
	s_and_saveexec_b64 s[14:15], vcc
	s_cbranch_execz .LBB14_213
; %bb.212:
	v_cmp_lt_f64_e32 vcc, v[1:2], v[5:6]
	v_cndmask_b32_e32 v6, v2, v6, vcc
	v_cndmask_b32_e32 v5, v1, v5, vcc
.LBB14_213:
	s_or_b64 exec, exec, s[14:15]
	v_mov_b32_e32 v1, v5
	v_mov_b32_e32 v2, v6
.LBB14_214:
	s_or_b64 exec, exec, s[0:1]
.LBB14_215:
	s_or_b64 exec, exec, s[8:9]
	s_branch .LBB14_254
.LBB14_216:
                                        ; implicit-def: $vgpr1_vgpr2
	s_cbranch_execz .LBB14_254
; %bb.217:
	s_waitcnt vmcnt(0) lgkmcnt(1)
	v_mov_b32_dpp v1, v3 quad_perm:[1,0,3,2] row_mask:0xf bank_mask:0xf bound_ctrl:1
	s_waitcnt lgkmcnt(0)
	v_mov_b32_dpp v2, v4 quad_perm:[1,0,3,2] row_mask:0xf bank_mask:0xf bound_ctrl:1
	v_cmp_o_f64_e32 vcc, v[1:2], v[1:2]
	s_and_saveexec_b64 s[0:1], vcc
	s_cbranch_execz .LBB14_221
; %bb.218:
	v_cmp_o_f64_e32 vcc, v[3:4], v[3:4]
	s_and_saveexec_b64 s[8:9], vcc
	s_cbranch_execz .LBB14_220
; %bb.219:
	v_cmp_gt_f64_e32 vcc, v[3:4], v[1:2]
	v_cndmask_b32_e32 v4, v2, v4, vcc
	v_cndmask_b32_e32 v3, v1, v3, vcc
.LBB14_220:
	s_or_b64 exec, exec, s[8:9]
	v_mov_b32_e32 v1, v3
	v_mov_b32_e32 v2, v4
.LBB14_221:
	s_or_b64 exec, exec, s[0:1]
	v_mov_b32_dpp v3, v1 quad_perm:[2,3,0,1] row_mask:0xf bank_mask:0xf bound_ctrl:1
	v_mov_b32_dpp v4, v2 quad_perm:[2,3,0,1] row_mask:0xf bank_mask:0xf bound_ctrl:1
	v_cmp_o_f64_e32 vcc, v[3:4], v[3:4]
	s_and_saveexec_b64 s[0:1], vcc
	s_cbranch_execz .LBB14_225
; %bb.222:
	v_cmp_o_f64_e32 vcc, v[1:2], v[1:2]
	s_and_saveexec_b64 s[8:9], vcc
	s_cbranch_execz .LBB14_224
; %bb.223:
	v_cmp_gt_f64_e32 vcc, v[1:2], v[3:4]
	v_cndmask_b32_e32 v2, v4, v2, vcc
	v_cndmask_b32_e32 v1, v3, v1, vcc
.LBB14_224:
	s_or_b64 exec, exec, s[8:9]
	v_mov_b32_e32 v4, v2
	v_mov_b32_e32 v3, v1
.LBB14_225:
	s_or_b64 exec, exec, s[0:1]
	s_nop 0
	v_mov_b32_dpp v1, v3 row_ror:4 row_mask:0xf bank_mask:0xf bound_ctrl:1
	v_mov_b32_dpp v2, v4 row_ror:4 row_mask:0xf bank_mask:0xf bound_ctrl:1
	v_cmp_o_f64_e32 vcc, v[1:2], v[1:2]
	s_and_saveexec_b64 s[0:1], vcc
	s_cbranch_execz .LBB14_229
; %bb.226:
	v_cmp_o_f64_e32 vcc, v[3:4], v[3:4]
	s_and_saveexec_b64 s[8:9], vcc
	s_cbranch_execz .LBB14_228
; %bb.227:
	v_cmp_gt_f64_e32 vcc, v[3:4], v[1:2]
	v_cndmask_b32_e32 v4, v2, v4, vcc
	v_cndmask_b32_e32 v3, v1, v3, vcc
.LBB14_228:
	s_or_b64 exec, exec, s[8:9]
	v_mov_b32_e32 v1, v3
	v_mov_b32_e32 v2, v4
.LBB14_229:
	s_or_b64 exec, exec, s[0:1]
	v_mov_b32_dpp v3, v1 row_ror:8 row_mask:0xf bank_mask:0xf bound_ctrl:1
	v_mov_b32_dpp v4, v2 row_ror:8 row_mask:0xf bank_mask:0xf bound_ctrl:1
	v_cmp_o_f64_e32 vcc, v[3:4], v[3:4]
	s_and_saveexec_b64 s[0:1], vcc
	s_cbranch_execz .LBB14_233
; %bb.230:
	v_cmp_o_f64_e32 vcc, v[1:2], v[1:2]
	s_and_saveexec_b64 s[8:9], vcc
	s_cbranch_execz .LBB14_232
; %bb.231:
	v_cmp_gt_f64_e32 vcc, v[1:2], v[3:4]
	v_cndmask_b32_e32 v2, v4, v2, vcc
	v_cndmask_b32_e32 v1, v3, v1, vcc
.LBB14_232:
	s_or_b64 exec, exec, s[8:9]
	v_mov_b32_e32 v4, v2
	v_mov_b32_e32 v3, v1
.LBB14_233:
	s_or_b64 exec, exec, s[0:1]
	s_nop 0
	v_mov_b32_dpp v1, v3 row_bcast:15 row_mask:0xf bank_mask:0xf bound_ctrl:1
	v_mov_b32_dpp v2, v4 row_bcast:15 row_mask:0xf bank_mask:0xf bound_ctrl:1
	v_cmp_o_f64_e32 vcc, v[1:2], v[1:2]
	s_and_saveexec_b64 s[0:1], vcc
	s_cbranch_execz .LBB14_237
; %bb.234:
	v_cmp_o_f64_e32 vcc, v[3:4], v[3:4]
	s_and_saveexec_b64 s[8:9], vcc
	s_cbranch_execz .LBB14_236
; %bb.235:
	v_cmp_gt_f64_e32 vcc, v[3:4], v[1:2]
	v_cndmask_b32_e32 v4, v2, v4, vcc
	v_cndmask_b32_e32 v3, v1, v3, vcc
.LBB14_236:
	s_or_b64 exec, exec, s[8:9]
	v_mov_b32_e32 v1, v3
	v_mov_b32_e32 v2, v4
.LBB14_237:
	s_or_b64 exec, exec, s[0:1]
	v_mov_b32_dpp v3, v1 row_bcast:31 row_mask:0xf bank_mask:0xf bound_ctrl:1
	v_mov_b32_dpp v4, v2 row_bcast:31 row_mask:0xf bank_mask:0xf bound_ctrl:1
	v_cmp_o_f64_e32 vcc, v[3:4], v[3:4]
	s_and_saveexec_b64 s[0:1], vcc
	s_cbranch_execz .LBB14_241
; %bb.238:
	v_cmp_o_f64_e32 vcc, v[1:2], v[1:2]
	s_and_saveexec_b64 s[8:9], vcc
	s_cbranch_execz .LBB14_240
; %bb.239:
	v_cmp_gt_f64_e32 vcc, v[1:2], v[3:4]
	v_cndmask_b32_e32 v2, v4, v2, vcc
	v_cndmask_b32_e32 v1, v3, v1, vcc
.LBB14_240:
	s_or_b64 exec, exec, s[8:9]
	v_mov_b32_e32 v4, v2
	v_mov_b32_e32 v3, v1
.LBB14_241:
	s_or_b64 exec, exec, s[0:1]
	v_lshlrev_b32_e32 v5, 2, v9
	v_or_b32_e32 v2, 0xfc, v5
	ds_bpermute_b32 v1, v2, v3
	ds_bpermute_b32 v2, v2, v4
	v_cmp_eq_u32_e32 vcc, 0, v9
	s_and_saveexec_b64 s[0:1], vcc
	s_cbranch_execz .LBB14_243
; %bb.242:
	v_lshlrev_b32_e32 v3, 3, v10
	s_waitcnt lgkmcnt(0)
	ds_write_b64 v3, v[1:2]
.LBB14_243:
	s_or_b64 exec, exec, s[0:1]
	v_cmp_gt_u32_e32 vcc, 64, v0
	s_waitcnt lgkmcnt(0)
	s_barrier
	s_and_saveexec_b64 s[0:1], vcc
	s_cbranch_execz .LBB14_253
; %bb.244:
	v_and_b32_e32 v3, 3, v9
	v_lshlrev_b32_e32 v1, 3, v3
	ds_read_b64 v[1:2], v1
	v_cmp_ne_u32_e32 vcc, 3, v3
	v_addc_co_u32_e32 v3, vcc, 0, v9, vcc
	v_lshlrev_b32_e32 v4, 2, v3
	s_waitcnt lgkmcnt(0)
	v_cmp_o_f64_e32 vcc, v[1:2], v[1:2]
	ds_bpermute_b32 v3, v4, v1
	ds_bpermute_b32 v4, v4, v2
	s_and_saveexec_b64 s[8:9], vcc
	s_cbranch_execz .LBB14_248
; %bb.245:
	s_waitcnt lgkmcnt(0)
	v_cmp_o_f64_e32 vcc, v[3:4], v[3:4]
	s_and_saveexec_b64 s[14:15], vcc
	s_cbranch_execz .LBB14_247
; %bb.246:
	v_cmp_lt_f64_e32 vcc, v[1:2], v[3:4]
	v_cndmask_b32_e32 v4, v2, v4, vcc
	v_cndmask_b32_e32 v3, v1, v3, vcc
.LBB14_247:
	s_or_b64 exec, exec, s[14:15]
	v_mov_b32_e32 v1, v3
	v_mov_b32_e32 v2, v4
.LBB14_248:
	s_or_b64 exec, exec, s[8:9]
	v_cmp_o_f64_e32 vcc, v[1:2], v[1:2]
	s_waitcnt lgkmcnt(0)
	v_or_b32_e32 v4, 8, v5
	ds_bpermute_b32 v3, v4, v1
	ds_bpermute_b32 v4, v4, v2
	s_and_saveexec_b64 s[8:9], vcc
	s_cbranch_execz .LBB14_252
; %bb.249:
	s_waitcnt lgkmcnt(0)
	v_cmp_o_f64_e32 vcc, v[3:4], v[3:4]
	s_and_saveexec_b64 s[14:15], vcc
	s_cbranch_execz .LBB14_251
; %bb.250:
	v_cmp_lt_f64_e32 vcc, v[1:2], v[3:4]
	v_cndmask_b32_e32 v4, v2, v4, vcc
	v_cndmask_b32_e32 v3, v1, v3, vcc
.LBB14_251:
	s_or_b64 exec, exec, s[14:15]
	v_mov_b32_e32 v1, v3
	v_mov_b32_e32 v2, v4
.LBB14_252:
	s_or_b64 exec, exec, s[8:9]
.LBB14_253:
	s_or_b64 exec, exec, s[0:1]
.LBB14_254:
	v_cmp_eq_u32_e32 vcc, 0, v0
                                        ; implicit-def: $vgpr3_vgpr4
	s_and_saveexec_b64 s[0:1], vcc
	s_cbranch_execz .LBB14_260
; %bb.255:
	v_cmp_u_f64_e64 s[8:9], s[2:3], s[2:3]
	s_waitcnt vmcnt(0) lgkmcnt(0)
	v_mov_b32_e32 v4, s3
	v_mov_b32_e32 v3, s2
	s_and_b64 vcc, exec, s[8:9]
	s_cbranch_vccnz .LBB14_259
; %bb.256:
	v_cmp_o_f64_e32 vcc, v[1:2], v[1:2]
	s_and_saveexec_b64 s[8:9], vcc
	s_cbranch_execz .LBB14_258
; %bb.257:
	v_cmp_lt_f64_e32 vcc, s[2:3], v[1:2]
	v_mov_b32_e32 v0, s3
	v_cndmask_b32_e32 v2, v0, v2, vcc
	v_mov_b32_e32 v0, s2
	v_cndmask_b32_e32 v1, v0, v1, vcc
.LBB14_258:
	s_or_b64 exec, exec, s[8:9]
	v_mov_b32_e32 v4, v2
	v_mov_b32_e32 v3, v1
.LBB14_259:
	s_or_b64 s[4:5], s[4:5], exec
.LBB14_260:
	s_or_b64 exec, exec, s[0:1]
	s_and_saveexec_b64 s[0:1], s[4:5]
	s_cbranch_execz .LBB14_262
.LBB14_261:
	s_lshl_b64 s[0:1], s[12:13], 3
	s_add_u32 s2, s10, s0
	s_addc_u32 s3, s11, s1
	s_lshl_b64 s[0:1], s[6:7], 3
	s_add_u32 s0, s2, s0
	s_addc_u32 s1, s3, s1
	v_mov_b32_e32 v0, 0
	s_waitcnt vmcnt(0) lgkmcnt(0)
	global_store_dwordx2 v0, v[3:4], s[0:1]
.LBB14_262:
	s_endpgm
	.section	.rodata,"a",@progbits
	.p2align	6, 0x0
	.amdhsa_kernel _ZN7rocprim17ROCPRIM_400000_NS6detail17trampoline_kernelINS0_14default_configENS1_32segmented_reduce_config_selectorIdEEZNS1_21segmented_reduce_implIS3_PKdPdPKidN6hipcub16HIPCUB_304000_NS6detail27convert_result_type_wrapperIS8_S9_N2at6native12_GLOBAL__N_19CustomMaxEEEEE10hipError_tPvRmT0_T1_jT2_SQ_T4_T3_P12ihipStream_tbEUlT_E_NS1_11comp_targetILNS1_3genE2ELNS1_11target_archE906ELNS1_3gpuE6ELNS1_3repE0EEENS1_30default_config_static_selectorELNS0_4arch9wavefront6targetE1EEEvSP_
		.amdhsa_group_segment_fixed_size 32
		.amdhsa_private_segment_fixed_size 0
		.amdhsa_kernarg_size 56
		.amdhsa_user_sgpr_count 6
		.amdhsa_user_sgpr_private_segment_buffer 1
		.amdhsa_user_sgpr_dispatch_ptr 0
		.amdhsa_user_sgpr_queue_ptr 0
		.amdhsa_user_sgpr_kernarg_segment_ptr 1
		.amdhsa_user_sgpr_dispatch_id 0
		.amdhsa_user_sgpr_flat_scratch_init 0
		.amdhsa_user_sgpr_private_segment_size 0
		.amdhsa_uses_dynamic_stack 0
		.amdhsa_system_sgpr_private_segment_wavefront_offset 0
		.amdhsa_system_sgpr_workgroup_id_x 1
		.amdhsa_system_sgpr_workgroup_id_y 0
		.amdhsa_system_sgpr_workgroup_id_z 0
		.amdhsa_system_sgpr_workgroup_info 0
		.amdhsa_system_vgpr_workitem_id 0
		.amdhsa_next_free_vgpr 26
		.amdhsa_next_free_sgpr 24
		.amdhsa_reserve_vcc 1
		.amdhsa_reserve_flat_scratch 0
		.amdhsa_float_round_mode_32 0
		.amdhsa_float_round_mode_16_64 0
		.amdhsa_float_denorm_mode_32 3
		.amdhsa_float_denorm_mode_16_64 3
		.amdhsa_dx10_clamp 1
		.amdhsa_ieee_mode 1
		.amdhsa_fp16_overflow 0
		.amdhsa_exception_fp_ieee_invalid_op 0
		.amdhsa_exception_fp_denorm_src 0
		.amdhsa_exception_fp_ieee_div_zero 0
		.amdhsa_exception_fp_ieee_overflow 0
		.amdhsa_exception_fp_ieee_underflow 0
		.amdhsa_exception_fp_ieee_inexact 0
		.amdhsa_exception_int_div_zero 0
	.end_amdhsa_kernel
	.section	.text._ZN7rocprim17ROCPRIM_400000_NS6detail17trampoline_kernelINS0_14default_configENS1_32segmented_reduce_config_selectorIdEEZNS1_21segmented_reduce_implIS3_PKdPdPKidN6hipcub16HIPCUB_304000_NS6detail27convert_result_type_wrapperIS8_S9_N2at6native12_GLOBAL__N_19CustomMaxEEEEE10hipError_tPvRmT0_T1_jT2_SQ_T4_T3_P12ihipStream_tbEUlT_E_NS1_11comp_targetILNS1_3genE2ELNS1_11target_archE906ELNS1_3gpuE6ELNS1_3repE0EEENS1_30default_config_static_selectorELNS0_4arch9wavefront6targetE1EEEvSP_,"axG",@progbits,_ZN7rocprim17ROCPRIM_400000_NS6detail17trampoline_kernelINS0_14default_configENS1_32segmented_reduce_config_selectorIdEEZNS1_21segmented_reduce_implIS3_PKdPdPKidN6hipcub16HIPCUB_304000_NS6detail27convert_result_type_wrapperIS8_S9_N2at6native12_GLOBAL__N_19CustomMaxEEEEE10hipError_tPvRmT0_T1_jT2_SQ_T4_T3_P12ihipStream_tbEUlT_E_NS1_11comp_targetILNS1_3genE2ELNS1_11target_archE906ELNS1_3gpuE6ELNS1_3repE0EEENS1_30default_config_static_selectorELNS0_4arch9wavefront6targetE1EEEvSP_,comdat
.Lfunc_end14:
	.size	_ZN7rocprim17ROCPRIM_400000_NS6detail17trampoline_kernelINS0_14default_configENS1_32segmented_reduce_config_selectorIdEEZNS1_21segmented_reduce_implIS3_PKdPdPKidN6hipcub16HIPCUB_304000_NS6detail27convert_result_type_wrapperIS8_S9_N2at6native12_GLOBAL__N_19CustomMaxEEEEE10hipError_tPvRmT0_T1_jT2_SQ_T4_T3_P12ihipStream_tbEUlT_E_NS1_11comp_targetILNS1_3genE2ELNS1_11target_archE906ELNS1_3gpuE6ELNS1_3repE0EEENS1_30default_config_static_selectorELNS0_4arch9wavefront6targetE1EEEvSP_, .Lfunc_end14-_ZN7rocprim17ROCPRIM_400000_NS6detail17trampoline_kernelINS0_14default_configENS1_32segmented_reduce_config_selectorIdEEZNS1_21segmented_reduce_implIS3_PKdPdPKidN6hipcub16HIPCUB_304000_NS6detail27convert_result_type_wrapperIS8_S9_N2at6native12_GLOBAL__N_19CustomMaxEEEEE10hipError_tPvRmT0_T1_jT2_SQ_T4_T3_P12ihipStream_tbEUlT_E_NS1_11comp_targetILNS1_3genE2ELNS1_11target_archE906ELNS1_3gpuE6ELNS1_3repE0EEENS1_30default_config_static_selectorELNS0_4arch9wavefront6targetE1EEEvSP_
                                        ; -- End function
	.set _ZN7rocprim17ROCPRIM_400000_NS6detail17trampoline_kernelINS0_14default_configENS1_32segmented_reduce_config_selectorIdEEZNS1_21segmented_reduce_implIS3_PKdPdPKidN6hipcub16HIPCUB_304000_NS6detail27convert_result_type_wrapperIS8_S9_N2at6native12_GLOBAL__N_19CustomMaxEEEEE10hipError_tPvRmT0_T1_jT2_SQ_T4_T3_P12ihipStream_tbEUlT_E_NS1_11comp_targetILNS1_3genE2ELNS1_11target_archE906ELNS1_3gpuE6ELNS1_3repE0EEENS1_30default_config_static_selectorELNS0_4arch9wavefront6targetE1EEEvSP_.num_vgpr, 26
	.set _ZN7rocprim17ROCPRIM_400000_NS6detail17trampoline_kernelINS0_14default_configENS1_32segmented_reduce_config_selectorIdEEZNS1_21segmented_reduce_implIS3_PKdPdPKidN6hipcub16HIPCUB_304000_NS6detail27convert_result_type_wrapperIS8_S9_N2at6native12_GLOBAL__N_19CustomMaxEEEEE10hipError_tPvRmT0_T1_jT2_SQ_T4_T3_P12ihipStream_tbEUlT_E_NS1_11comp_targetILNS1_3genE2ELNS1_11target_archE906ELNS1_3gpuE6ELNS1_3repE0EEENS1_30default_config_static_selectorELNS0_4arch9wavefront6targetE1EEEvSP_.num_agpr, 0
	.set _ZN7rocprim17ROCPRIM_400000_NS6detail17trampoline_kernelINS0_14default_configENS1_32segmented_reduce_config_selectorIdEEZNS1_21segmented_reduce_implIS3_PKdPdPKidN6hipcub16HIPCUB_304000_NS6detail27convert_result_type_wrapperIS8_S9_N2at6native12_GLOBAL__N_19CustomMaxEEEEE10hipError_tPvRmT0_T1_jT2_SQ_T4_T3_P12ihipStream_tbEUlT_E_NS1_11comp_targetILNS1_3genE2ELNS1_11target_archE906ELNS1_3gpuE6ELNS1_3repE0EEENS1_30default_config_static_selectorELNS0_4arch9wavefront6targetE1EEEvSP_.numbered_sgpr, 24
	.set _ZN7rocprim17ROCPRIM_400000_NS6detail17trampoline_kernelINS0_14default_configENS1_32segmented_reduce_config_selectorIdEEZNS1_21segmented_reduce_implIS3_PKdPdPKidN6hipcub16HIPCUB_304000_NS6detail27convert_result_type_wrapperIS8_S9_N2at6native12_GLOBAL__N_19CustomMaxEEEEE10hipError_tPvRmT0_T1_jT2_SQ_T4_T3_P12ihipStream_tbEUlT_E_NS1_11comp_targetILNS1_3genE2ELNS1_11target_archE906ELNS1_3gpuE6ELNS1_3repE0EEENS1_30default_config_static_selectorELNS0_4arch9wavefront6targetE1EEEvSP_.num_named_barrier, 0
	.set _ZN7rocprim17ROCPRIM_400000_NS6detail17trampoline_kernelINS0_14default_configENS1_32segmented_reduce_config_selectorIdEEZNS1_21segmented_reduce_implIS3_PKdPdPKidN6hipcub16HIPCUB_304000_NS6detail27convert_result_type_wrapperIS8_S9_N2at6native12_GLOBAL__N_19CustomMaxEEEEE10hipError_tPvRmT0_T1_jT2_SQ_T4_T3_P12ihipStream_tbEUlT_E_NS1_11comp_targetILNS1_3genE2ELNS1_11target_archE906ELNS1_3gpuE6ELNS1_3repE0EEENS1_30default_config_static_selectorELNS0_4arch9wavefront6targetE1EEEvSP_.private_seg_size, 0
	.set _ZN7rocprim17ROCPRIM_400000_NS6detail17trampoline_kernelINS0_14default_configENS1_32segmented_reduce_config_selectorIdEEZNS1_21segmented_reduce_implIS3_PKdPdPKidN6hipcub16HIPCUB_304000_NS6detail27convert_result_type_wrapperIS8_S9_N2at6native12_GLOBAL__N_19CustomMaxEEEEE10hipError_tPvRmT0_T1_jT2_SQ_T4_T3_P12ihipStream_tbEUlT_E_NS1_11comp_targetILNS1_3genE2ELNS1_11target_archE906ELNS1_3gpuE6ELNS1_3repE0EEENS1_30default_config_static_selectorELNS0_4arch9wavefront6targetE1EEEvSP_.uses_vcc, 1
	.set _ZN7rocprim17ROCPRIM_400000_NS6detail17trampoline_kernelINS0_14default_configENS1_32segmented_reduce_config_selectorIdEEZNS1_21segmented_reduce_implIS3_PKdPdPKidN6hipcub16HIPCUB_304000_NS6detail27convert_result_type_wrapperIS8_S9_N2at6native12_GLOBAL__N_19CustomMaxEEEEE10hipError_tPvRmT0_T1_jT2_SQ_T4_T3_P12ihipStream_tbEUlT_E_NS1_11comp_targetILNS1_3genE2ELNS1_11target_archE906ELNS1_3gpuE6ELNS1_3repE0EEENS1_30default_config_static_selectorELNS0_4arch9wavefront6targetE1EEEvSP_.uses_flat_scratch, 0
	.set _ZN7rocprim17ROCPRIM_400000_NS6detail17trampoline_kernelINS0_14default_configENS1_32segmented_reduce_config_selectorIdEEZNS1_21segmented_reduce_implIS3_PKdPdPKidN6hipcub16HIPCUB_304000_NS6detail27convert_result_type_wrapperIS8_S9_N2at6native12_GLOBAL__N_19CustomMaxEEEEE10hipError_tPvRmT0_T1_jT2_SQ_T4_T3_P12ihipStream_tbEUlT_E_NS1_11comp_targetILNS1_3genE2ELNS1_11target_archE906ELNS1_3gpuE6ELNS1_3repE0EEENS1_30default_config_static_selectorELNS0_4arch9wavefront6targetE1EEEvSP_.has_dyn_sized_stack, 0
	.set _ZN7rocprim17ROCPRIM_400000_NS6detail17trampoline_kernelINS0_14default_configENS1_32segmented_reduce_config_selectorIdEEZNS1_21segmented_reduce_implIS3_PKdPdPKidN6hipcub16HIPCUB_304000_NS6detail27convert_result_type_wrapperIS8_S9_N2at6native12_GLOBAL__N_19CustomMaxEEEEE10hipError_tPvRmT0_T1_jT2_SQ_T4_T3_P12ihipStream_tbEUlT_E_NS1_11comp_targetILNS1_3genE2ELNS1_11target_archE906ELNS1_3gpuE6ELNS1_3repE0EEENS1_30default_config_static_selectorELNS0_4arch9wavefront6targetE1EEEvSP_.has_recursion, 0
	.set _ZN7rocprim17ROCPRIM_400000_NS6detail17trampoline_kernelINS0_14default_configENS1_32segmented_reduce_config_selectorIdEEZNS1_21segmented_reduce_implIS3_PKdPdPKidN6hipcub16HIPCUB_304000_NS6detail27convert_result_type_wrapperIS8_S9_N2at6native12_GLOBAL__N_19CustomMaxEEEEE10hipError_tPvRmT0_T1_jT2_SQ_T4_T3_P12ihipStream_tbEUlT_E_NS1_11comp_targetILNS1_3genE2ELNS1_11target_archE906ELNS1_3gpuE6ELNS1_3repE0EEENS1_30default_config_static_selectorELNS0_4arch9wavefront6targetE1EEEvSP_.has_indirect_call, 0
	.section	.AMDGPU.csdata,"",@progbits
; Kernel info:
; codeLenInByte = 5416
; TotalNumSgprs: 28
; NumVgprs: 26
; ScratchSize: 0
; MemoryBound: 0
; FloatMode: 240
; IeeeMode: 1
; LDSByteSize: 32 bytes/workgroup (compile time only)
; SGPRBlocks: 3
; VGPRBlocks: 6
; NumSGPRsForWavesPerEU: 28
; NumVGPRsForWavesPerEU: 26
; Occupancy: 9
; WaveLimiterHint : 1
; COMPUTE_PGM_RSRC2:SCRATCH_EN: 0
; COMPUTE_PGM_RSRC2:USER_SGPR: 6
; COMPUTE_PGM_RSRC2:TRAP_HANDLER: 0
; COMPUTE_PGM_RSRC2:TGID_X_EN: 1
; COMPUTE_PGM_RSRC2:TGID_Y_EN: 0
; COMPUTE_PGM_RSRC2:TGID_Z_EN: 0
; COMPUTE_PGM_RSRC2:TIDIG_COMP_CNT: 0
	.section	.text._ZN7rocprim17ROCPRIM_400000_NS6detail17trampoline_kernelINS0_14default_configENS1_32segmented_reduce_config_selectorIdEEZNS1_21segmented_reduce_implIS3_PKdPdPKidN6hipcub16HIPCUB_304000_NS6detail27convert_result_type_wrapperIS8_S9_N2at6native12_GLOBAL__N_19CustomMaxEEEEE10hipError_tPvRmT0_T1_jT2_SQ_T4_T3_P12ihipStream_tbEUlT_E_NS1_11comp_targetILNS1_3genE9ELNS1_11target_archE1100ELNS1_3gpuE3ELNS1_3repE0EEENS1_30default_config_static_selectorELNS0_4arch9wavefront6targetE1EEEvSP_,"axG",@progbits,_ZN7rocprim17ROCPRIM_400000_NS6detail17trampoline_kernelINS0_14default_configENS1_32segmented_reduce_config_selectorIdEEZNS1_21segmented_reduce_implIS3_PKdPdPKidN6hipcub16HIPCUB_304000_NS6detail27convert_result_type_wrapperIS8_S9_N2at6native12_GLOBAL__N_19CustomMaxEEEEE10hipError_tPvRmT0_T1_jT2_SQ_T4_T3_P12ihipStream_tbEUlT_E_NS1_11comp_targetILNS1_3genE9ELNS1_11target_archE1100ELNS1_3gpuE3ELNS1_3repE0EEENS1_30default_config_static_selectorELNS0_4arch9wavefront6targetE1EEEvSP_,comdat
	.globl	_ZN7rocprim17ROCPRIM_400000_NS6detail17trampoline_kernelINS0_14default_configENS1_32segmented_reduce_config_selectorIdEEZNS1_21segmented_reduce_implIS3_PKdPdPKidN6hipcub16HIPCUB_304000_NS6detail27convert_result_type_wrapperIS8_S9_N2at6native12_GLOBAL__N_19CustomMaxEEEEE10hipError_tPvRmT0_T1_jT2_SQ_T4_T3_P12ihipStream_tbEUlT_E_NS1_11comp_targetILNS1_3genE9ELNS1_11target_archE1100ELNS1_3gpuE3ELNS1_3repE0EEENS1_30default_config_static_selectorELNS0_4arch9wavefront6targetE1EEEvSP_ ; -- Begin function _ZN7rocprim17ROCPRIM_400000_NS6detail17trampoline_kernelINS0_14default_configENS1_32segmented_reduce_config_selectorIdEEZNS1_21segmented_reduce_implIS3_PKdPdPKidN6hipcub16HIPCUB_304000_NS6detail27convert_result_type_wrapperIS8_S9_N2at6native12_GLOBAL__N_19CustomMaxEEEEE10hipError_tPvRmT0_T1_jT2_SQ_T4_T3_P12ihipStream_tbEUlT_E_NS1_11comp_targetILNS1_3genE9ELNS1_11target_archE1100ELNS1_3gpuE3ELNS1_3repE0EEENS1_30default_config_static_selectorELNS0_4arch9wavefront6targetE1EEEvSP_
	.p2align	8
	.type	_ZN7rocprim17ROCPRIM_400000_NS6detail17trampoline_kernelINS0_14default_configENS1_32segmented_reduce_config_selectorIdEEZNS1_21segmented_reduce_implIS3_PKdPdPKidN6hipcub16HIPCUB_304000_NS6detail27convert_result_type_wrapperIS8_S9_N2at6native12_GLOBAL__N_19CustomMaxEEEEE10hipError_tPvRmT0_T1_jT2_SQ_T4_T3_P12ihipStream_tbEUlT_E_NS1_11comp_targetILNS1_3genE9ELNS1_11target_archE1100ELNS1_3gpuE3ELNS1_3repE0EEENS1_30default_config_static_selectorELNS0_4arch9wavefront6targetE1EEEvSP_,@function
_ZN7rocprim17ROCPRIM_400000_NS6detail17trampoline_kernelINS0_14default_configENS1_32segmented_reduce_config_selectorIdEEZNS1_21segmented_reduce_implIS3_PKdPdPKidN6hipcub16HIPCUB_304000_NS6detail27convert_result_type_wrapperIS8_S9_N2at6native12_GLOBAL__N_19CustomMaxEEEEE10hipError_tPvRmT0_T1_jT2_SQ_T4_T3_P12ihipStream_tbEUlT_E_NS1_11comp_targetILNS1_3genE9ELNS1_11target_archE1100ELNS1_3gpuE3ELNS1_3repE0EEENS1_30default_config_static_selectorELNS0_4arch9wavefront6targetE1EEEvSP_: ; @_ZN7rocprim17ROCPRIM_400000_NS6detail17trampoline_kernelINS0_14default_configENS1_32segmented_reduce_config_selectorIdEEZNS1_21segmented_reduce_implIS3_PKdPdPKidN6hipcub16HIPCUB_304000_NS6detail27convert_result_type_wrapperIS8_S9_N2at6native12_GLOBAL__N_19CustomMaxEEEEE10hipError_tPvRmT0_T1_jT2_SQ_T4_T3_P12ihipStream_tbEUlT_E_NS1_11comp_targetILNS1_3genE9ELNS1_11target_archE1100ELNS1_3gpuE3ELNS1_3repE0EEENS1_30default_config_static_selectorELNS0_4arch9wavefront6targetE1EEEvSP_
; %bb.0:
	.section	.rodata,"a",@progbits
	.p2align	6, 0x0
	.amdhsa_kernel _ZN7rocprim17ROCPRIM_400000_NS6detail17trampoline_kernelINS0_14default_configENS1_32segmented_reduce_config_selectorIdEEZNS1_21segmented_reduce_implIS3_PKdPdPKidN6hipcub16HIPCUB_304000_NS6detail27convert_result_type_wrapperIS8_S9_N2at6native12_GLOBAL__N_19CustomMaxEEEEE10hipError_tPvRmT0_T1_jT2_SQ_T4_T3_P12ihipStream_tbEUlT_E_NS1_11comp_targetILNS1_3genE9ELNS1_11target_archE1100ELNS1_3gpuE3ELNS1_3repE0EEENS1_30default_config_static_selectorELNS0_4arch9wavefront6targetE1EEEvSP_
		.amdhsa_group_segment_fixed_size 0
		.amdhsa_private_segment_fixed_size 0
		.amdhsa_kernarg_size 56
		.amdhsa_user_sgpr_count 6
		.amdhsa_user_sgpr_private_segment_buffer 1
		.amdhsa_user_sgpr_dispatch_ptr 0
		.amdhsa_user_sgpr_queue_ptr 0
		.amdhsa_user_sgpr_kernarg_segment_ptr 1
		.amdhsa_user_sgpr_dispatch_id 0
		.amdhsa_user_sgpr_flat_scratch_init 0
		.amdhsa_user_sgpr_private_segment_size 0
		.amdhsa_uses_dynamic_stack 0
		.amdhsa_system_sgpr_private_segment_wavefront_offset 0
		.amdhsa_system_sgpr_workgroup_id_x 1
		.amdhsa_system_sgpr_workgroup_id_y 0
		.amdhsa_system_sgpr_workgroup_id_z 0
		.amdhsa_system_sgpr_workgroup_info 0
		.amdhsa_system_vgpr_workitem_id 0
		.amdhsa_next_free_vgpr 1
		.amdhsa_next_free_sgpr 0
		.amdhsa_reserve_vcc 0
		.amdhsa_reserve_flat_scratch 0
		.amdhsa_float_round_mode_32 0
		.amdhsa_float_round_mode_16_64 0
		.amdhsa_float_denorm_mode_32 3
		.amdhsa_float_denorm_mode_16_64 3
		.amdhsa_dx10_clamp 1
		.amdhsa_ieee_mode 1
		.amdhsa_fp16_overflow 0
		.amdhsa_exception_fp_ieee_invalid_op 0
		.amdhsa_exception_fp_denorm_src 0
		.amdhsa_exception_fp_ieee_div_zero 0
		.amdhsa_exception_fp_ieee_overflow 0
		.amdhsa_exception_fp_ieee_underflow 0
		.amdhsa_exception_fp_ieee_inexact 0
		.amdhsa_exception_int_div_zero 0
	.end_amdhsa_kernel
	.section	.text._ZN7rocprim17ROCPRIM_400000_NS6detail17trampoline_kernelINS0_14default_configENS1_32segmented_reduce_config_selectorIdEEZNS1_21segmented_reduce_implIS3_PKdPdPKidN6hipcub16HIPCUB_304000_NS6detail27convert_result_type_wrapperIS8_S9_N2at6native12_GLOBAL__N_19CustomMaxEEEEE10hipError_tPvRmT0_T1_jT2_SQ_T4_T3_P12ihipStream_tbEUlT_E_NS1_11comp_targetILNS1_3genE9ELNS1_11target_archE1100ELNS1_3gpuE3ELNS1_3repE0EEENS1_30default_config_static_selectorELNS0_4arch9wavefront6targetE1EEEvSP_,"axG",@progbits,_ZN7rocprim17ROCPRIM_400000_NS6detail17trampoline_kernelINS0_14default_configENS1_32segmented_reduce_config_selectorIdEEZNS1_21segmented_reduce_implIS3_PKdPdPKidN6hipcub16HIPCUB_304000_NS6detail27convert_result_type_wrapperIS8_S9_N2at6native12_GLOBAL__N_19CustomMaxEEEEE10hipError_tPvRmT0_T1_jT2_SQ_T4_T3_P12ihipStream_tbEUlT_E_NS1_11comp_targetILNS1_3genE9ELNS1_11target_archE1100ELNS1_3gpuE3ELNS1_3repE0EEENS1_30default_config_static_selectorELNS0_4arch9wavefront6targetE1EEEvSP_,comdat
.Lfunc_end15:
	.size	_ZN7rocprim17ROCPRIM_400000_NS6detail17trampoline_kernelINS0_14default_configENS1_32segmented_reduce_config_selectorIdEEZNS1_21segmented_reduce_implIS3_PKdPdPKidN6hipcub16HIPCUB_304000_NS6detail27convert_result_type_wrapperIS8_S9_N2at6native12_GLOBAL__N_19CustomMaxEEEEE10hipError_tPvRmT0_T1_jT2_SQ_T4_T3_P12ihipStream_tbEUlT_E_NS1_11comp_targetILNS1_3genE9ELNS1_11target_archE1100ELNS1_3gpuE3ELNS1_3repE0EEENS1_30default_config_static_selectorELNS0_4arch9wavefront6targetE1EEEvSP_, .Lfunc_end15-_ZN7rocprim17ROCPRIM_400000_NS6detail17trampoline_kernelINS0_14default_configENS1_32segmented_reduce_config_selectorIdEEZNS1_21segmented_reduce_implIS3_PKdPdPKidN6hipcub16HIPCUB_304000_NS6detail27convert_result_type_wrapperIS8_S9_N2at6native12_GLOBAL__N_19CustomMaxEEEEE10hipError_tPvRmT0_T1_jT2_SQ_T4_T3_P12ihipStream_tbEUlT_E_NS1_11comp_targetILNS1_3genE9ELNS1_11target_archE1100ELNS1_3gpuE3ELNS1_3repE0EEENS1_30default_config_static_selectorELNS0_4arch9wavefront6targetE1EEEvSP_
                                        ; -- End function
	.set _ZN7rocprim17ROCPRIM_400000_NS6detail17trampoline_kernelINS0_14default_configENS1_32segmented_reduce_config_selectorIdEEZNS1_21segmented_reduce_implIS3_PKdPdPKidN6hipcub16HIPCUB_304000_NS6detail27convert_result_type_wrapperIS8_S9_N2at6native12_GLOBAL__N_19CustomMaxEEEEE10hipError_tPvRmT0_T1_jT2_SQ_T4_T3_P12ihipStream_tbEUlT_E_NS1_11comp_targetILNS1_3genE9ELNS1_11target_archE1100ELNS1_3gpuE3ELNS1_3repE0EEENS1_30default_config_static_selectorELNS0_4arch9wavefront6targetE1EEEvSP_.num_vgpr, 0
	.set _ZN7rocprim17ROCPRIM_400000_NS6detail17trampoline_kernelINS0_14default_configENS1_32segmented_reduce_config_selectorIdEEZNS1_21segmented_reduce_implIS3_PKdPdPKidN6hipcub16HIPCUB_304000_NS6detail27convert_result_type_wrapperIS8_S9_N2at6native12_GLOBAL__N_19CustomMaxEEEEE10hipError_tPvRmT0_T1_jT2_SQ_T4_T3_P12ihipStream_tbEUlT_E_NS1_11comp_targetILNS1_3genE9ELNS1_11target_archE1100ELNS1_3gpuE3ELNS1_3repE0EEENS1_30default_config_static_selectorELNS0_4arch9wavefront6targetE1EEEvSP_.num_agpr, 0
	.set _ZN7rocprim17ROCPRIM_400000_NS6detail17trampoline_kernelINS0_14default_configENS1_32segmented_reduce_config_selectorIdEEZNS1_21segmented_reduce_implIS3_PKdPdPKidN6hipcub16HIPCUB_304000_NS6detail27convert_result_type_wrapperIS8_S9_N2at6native12_GLOBAL__N_19CustomMaxEEEEE10hipError_tPvRmT0_T1_jT2_SQ_T4_T3_P12ihipStream_tbEUlT_E_NS1_11comp_targetILNS1_3genE9ELNS1_11target_archE1100ELNS1_3gpuE3ELNS1_3repE0EEENS1_30default_config_static_selectorELNS0_4arch9wavefront6targetE1EEEvSP_.numbered_sgpr, 0
	.set _ZN7rocprim17ROCPRIM_400000_NS6detail17trampoline_kernelINS0_14default_configENS1_32segmented_reduce_config_selectorIdEEZNS1_21segmented_reduce_implIS3_PKdPdPKidN6hipcub16HIPCUB_304000_NS6detail27convert_result_type_wrapperIS8_S9_N2at6native12_GLOBAL__N_19CustomMaxEEEEE10hipError_tPvRmT0_T1_jT2_SQ_T4_T3_P12ihipStream_tbEUlT_E_NS1_11comp_targetILNS1_3genE9ELNS1_11target_archE1100ELNS1_3gpuE3ELNS1_3repE0EEENS1_30default_config_static_selectorELNS0_4arch9wavefront6targetE1EEEvSP_.num_named_barrier, 0
	.set _ZN7rocprim17ROCPRIM_400000_NS6detail17trampoline_kernelINS0_14default_configENS1_32segmented_reduce_config_selectorIdEEZNS1_21segmented_reduce_implIS3_PKdPdPKidN6hipcub16HIPCUB_304000_NS6detail27convert_result_type_wrapperIS8_S9_N2at6native12_GLOBAL__N_19CustomMaxEEEEE10hipError_tPvRmT0_T1_jT2_SQ_T4_T3_P12ihipStream_tbEUlT_E_NS1_11comp_targetILNS1_3genE9ELNS1_11target_archE1100ELNS1_3gpuE3ELNS1_3repE0EEENS1_30default_config_static_selectorELNS0_4arch9wavefront6targetE1EEEvSP_.private_seg_size, 0
	.set _ZN7rocprim17ROCPRIM_400000_NS6detail17trampoline_kernelINS0_14default_configENS1_32segmented_reduce_config_selectorIdEEZNS1_21segmented_reduce_implIS3_PKdPdPKidN6hipcub16HIPCUB_304000_NS6detail27convert_result_type_wrapperIS8_S9_N2at6native12_GLOBAL__N_19CustomMaxEEEEE10hipError_tPvRmT0_T1_jT2_SQ_T4_T3_P12ihipStream_tbEUlT_E_NS1_11comp_targetILNS1_3genE9ELNS1_11target_archE1100ELNS1_3gpuE3ELNS1_3repE0EEENS1_30default_config_static_selectorELNS0_4arch9wavefront6targetE1EEEvSP_.uses_vcc, 0
	.set _ZN7rocprim17ROCPRIM_400000_NS6detail17trampoline_kernelINS0_14default_configENS1_32segmented_reduce_config_selectorIdEEZNS1_21segmented_reduce_implIS3_PKdPdPKidN6hipcub16HIPCUB_304000_NS6detail27convert_result_type_wrapperIS8_S9_N2at6native12_GLOBAL__N_19CustomMaxEEEEE10hipError_tPvRmT0_T1_jT2_SQ_T4_T3_P12ihipStream_tbEUlT_E_NS1_11comp_targetILNS1_3genE9ELNS1_11target_archE1100ELNS1_3gpuE3ELNS1_3repE0EEENS1_30default_config_static_selectorELNS0_4arch9wavefront6targetE1EEEvSP_.uses_flat_scratch, 0
	.set _ZN7rocprim17ROCPRIM_400000_NS6detail17trampoline_kernelINS0_14default_configENS1_32segmented_reduce_config_selectorIdEEZNS1_21segmented_reduce_implIS3_PKdPdPKidN6hipcub16HIPCUB_304000_NS6detail27convert_result_type_wrapperIS8_S9_N2at6native12_GLOBAL__N_19CustomMaxEEEEE10hipError_tPvRmT0_T1_jT2_SQ_T4_T3_P12ihipStream_tbEUlT_E_NS1_11comp_targetILNS1_3genE9ELNS1_11target_archE1100ELNS1_3gpuE3ELNS1_3repE0EEENS1_30default_config_static_selectorELNS0_4arch9wavefront6targetE1EEEvSP_.has_dyn_sized_stack, 0
	.set _ZN7rocprim17ROCPRIM_400000_NS6detail17trampoline_kernelINS0_14default_configENS1_32segmented_reduce_config_selectorIdEEZNS1_21segmented_reduce_implIS3_PKdPdPKidN6hipcub16HIPCUB_304000_NS6detail27convert_result_type_wrapperIS8_S9_N2at6native12_GLOBAL__N_19CustomMaxEEEEE10hipError_tPvRmT0_T1_jT2_SQ_T4_T3_P12ihipStream_tbEUlT_E_NS1_11comp_targetILNS1_3genE9ELNS1_11target_archE1100ELNS1_3gpuE3ELNS1_3repE0EEENS1_30default_config_static_selectorELNS0_4arch9wavefront6targetE1EEEvSP_.has_recursion, 0
	.set _ZN7rocprim17ROCPRIM_400000_NS6detail17trampoline_kernelINS0_14default_configENS1_32segmented_reduce_config_selectorIdEEZNS1_21segmented_reduce_implIS3_PKdPdPKidN6hipcub16HIPCUB_304000_NS6detail27convert_result_type_wrapperIS8_S9_N2at6native12_GLOBAL__N_19CustomMaxEEEEE10hipError_tPvRmT0_T1_jT2_SQ_T4_T3_P12ihipStream_tbEUlT_E_NS1_11comp_targetILNS1_3genE9ELNS1_11target_archE1100ELNS1_3gpuE3ELNS1_3repE0EEENS1_30default_config_static_selectorELNS0_4arch9wavefront6targetE1EEEvSP_.has_indirect_call, 0
	.section	.AMDGPU.csdata,"",@progbits
; Kernel info:
; codeLenInByte = 0
; TotalNumSgprs: 4
; NumVgprs: 0
; ScratchSize: 0
; MemoryBound: 0
; FloatMode: 240
; IeeeMode: 1
; LDSByteSize: 0 bytes/workgroup (compile time only)
; SGPRBlocks: 0
; VGPRBlocks: 0
; NumSGPRsForWavesPerEU: 4
; NumVGPRsForWavesPerEU: 1
; Occupancy: 10
; WaveLimiterHint : 0
; COMPUTE_PGM_RSRC2:SCRATCH_EN: 0
; COMPUTE_PGM_RSRC2:USER_SGPR: 6
; COMPUTE_PGM_RSRC2:TRAP_HANDLER: 0
; COMPUTE_PGM_RSRC2:TGID_X_EN: 1
; COMPUTE_PGM_RSRC2:TGID_Y_EN: 0
; COMPUTE_PGM_RSRC2:TGID_Z_EN: 0
; COMPUTE_PGM_RSRC2:TIDIG_COMP_CNT: 0
	.section	.text._ZN7rocprim17ROCPRIM_400000_NS6detail17trampoline_kernelINS0_14default_configENS1_32segmented_reduce_config_selectorIdEEZNS1_21segmented_reduce_implIS3_PKdPdPKidN6hipcub16HIPCUB_304000_NS6detail27convert_result_type_wrapperIS8_S9_N2at6native12_GLOBAL__N_19CustomMaxEEEEE10hipError_tPvRmT0_T1_jT2_SQ_T4_T3_P12ihipStream_tbEUlT_E_NS1_11comp_targetILNS1_3genE8ELNS1_11target_archE1030ELNS1_3gpuE2ELNS1_3repE0EEENS1_30default_config_static_selectorELNS0_4arch9wavefront6targetE1EEEvSP_,"axG",@progbits,_ZN7rocprim17ROCPRIM_400000_NS6detail17trampoline_kernelINS0_14default_configENS1_32segmented_reduce_config_selectorIdEEZNS1_21segmented_reduce_implIS3_PKdPdPKidN6hipcub16HIPCUB_304000_NS6detail27convert_result_type_wrapperIS8_S9_N2at6native12_GLOBAL__N_19CustomMaxEEEEE10hipError_tPvRmT0_T1_jT2_SQ_T4_T3_P12ihipStream_tbEUlT_E_NS1_11comp_targetILNS1_3genE8ELNS1_11target_archE1030ELNS1_3gpuE2ELNS1_3repE0EEENS1_30default_config_static_selectorELNS0_4arch9wavefront6targetE1EEEvSP_,comdat
	.globl	_ZN7rocprim17ROCPRIM_400000_NS6detail17trampoline_kernelINS0_14default_configENS1_32segmented_reduce_config_selectorIdEEZNS1_21segmented_reduce_implIS3_PKdPdPKidN6hipcub16HIPCUB_304000_NS6detail27convert_result_type_wrapperIS8_S9_N2at6native12_GLOBAL__N_19CustomMaxEEEEE10hipError_tPvRmT0_T1_jT2_SQ_T4_T3_P12ihipStream_tbEUlT_E_NS1_11comp_targetILNS1_3genE8ELNS1_11target_archE1030ELNS1_3gpuE2ELNS1_3repE0EEENS1_30default_config_static_selectorELNS0_4arch9wavefront6targetE1EEEvSP_ ; -- Begin function _ZN7rocprim17ROCPRIM_400000_NS6detail17trampoline_kernelINS0_14default_configENS1_32segmented_reduce_config_selectorIdEEZNS1_21segmented_reduce_implIS3_PKdPdPKidN6hipcub16HIPCUB_304000_NS6detail27convert_result_type_wrapperIS8_S9_N2at6native12_GLOBAL__N_19CustomMaxEEEEE10hipError_tPvRmT0_T1_jT2_SQ_T4_T3_P12ihipStream_tbEUlT_E_NS1_11comp_targetILNS1_3genE8ELNS1_11target_archE1030ELNS1_3gpuE2ELNS1_3repE0EEENS1_30default_config_static_selectorELNS0_4arch9wavefront6targetE1EEEvSP_
	.p2align	8
	.type	_ZN7rocprim17ROCPRIM_400000_NS6detail17trampoline_kernelINS0_14default_configENS1_32segmented_reduce_config_selectorIdEEZNS1_21segmented_reduce_implIS3_PKdPdPKidN6hipcub16HIPCUB_304000_NS6detail27convert_result_type_wrapperIS8_S9_N2at6native12_GLOBAL__N_19CustomMaxEEEEE10hipError_tPvRmT0_T1_jT2_SQ_T4_T3_P12ihipStream_tbEUlT_E_NS1_11comp_targetILNS1_3genE8ELNS1_11target_archE1030ELNS1_3gpuE2ELNS1_3repE0EEENS1_30default_config_static_selectorELNS0_4arch9wavefront6targetE1EEEvSP_,@function
_ZN7rocprim17ROCPRIM_400000_NS6detail17trampoline_kernelINS0_14default_configENS1_32segmented_reduce_config_selectorIdEEZNS1_21segmented_reduce_implIS3_PKdPdPKidN6hipcub16HIPCUB_304000_NS6detail27convert_result_type_wrapperIS8_S9_N2at6native12_GLOBAL__N_19CustomMaxEEEEE10hipError_tPvRmT0_T1_jT2_SQ_T4_T3_P12ihipStream_tbEUlT_E_NS1_11comp_targetILNS1_3genE8ELNS1_11target_archE1030ELNS1_3gpuE2ELNS1_3repE0EEENS1_30default_config_static_selectorELNS0_4arch9wavefront6targetE1EEEvSP_: ; @_ZN7rocprim17ROCPRIM_400000_NS6detail17trampoline_kernelINS0_14default_configENS1_32segmented_reduce_config_selectorIdEEZNS1_21segmented_reduce_implIS3_PKdPdPKidN6hipcub16HIPCUB_304000_NS6detail27convert_result_type_wrapperIS8_S9_N2at6native12_GLOBAL__N_19CustomMaxEEEEE10hipError_tPvRmT0_T1_jT2_SQ_T4_T3_P12ihipStream_tbEUlT_E_NS1_11comp_targetILNS1_3genE8ELNS1_11target_archE1030ELNS1_3gpuE2ELNS1_3repE0EEENS1_30default_config_static_selectorELNS0_4arch9wavefront6targetE1EEEvSP_
; %bb.0:
	.section	.rodata,"a",@progbits
	.p2align	6, 0x0
	.amdhsa_kernel _ZN7rocprim17ROCPRIM_400000_NS6detail17trampoline_kernelINS0_14default_configENS1_32segmented_reduce_config_selectorIdEEZNS1_21segmented_reduce_implIS3_PKdPdPKidN6hipcub16HIPCUB_304000_NS6detail27convert_result_type_wrapperIS8_S9_N2at6native12_GLOBAL__N_19CustomMaxEEEEE10hipError_tPvRmT0_T1_jT2_SQ_T4_T3_P12ihipStream_tbEUlT_E_NS1_11comp_targetILNS1_3genE8ELNS1_11target_archE1030ELNS1_3gpuE2ELNS1_3repE0EEENS1_30default_config_static_selectorELNS0_4arch9wavefront6targetE1EEEvSP_
		.amdhsa_group_segment_fixed_size 0
		.amdhsa_private_segment_fixed_size 0
		.amdhsa_kernarg_size 56
		.amdhsa_user_sgpr_count 6
		.amdhsa_user_sgpr_private_segment_buffer 1
		.amdhsa_user_sgpr_dispatch_ptr 0
		.amdhsa_user_sgpr_queue_ptr 0
		.amdhsa_user_sgpr_kernarg_segment_ptr 1
		.amdhsa_user_sgpr_dispatch_id 0
		.amdhsa_user_sgpr_flat_scratch_init 0
		.amdhsa_user_sgpr_private_segment_size 0
		.amdhsa_uses_dynamic_stack 0
		.amdhsa_system_sgpr_private_segment_wavefront_offset 0
		.amdhsa_system_sgpr_workgroup_id_x 1
		.amdhsa_system_sgpr_workgroup_id_y 0
		.amdhsa_system_sgpr_workgroup_id_z 0
		.amdhsa_system_sgpr_workgroup_info 0
		.amdhsa_system_vgpr_workitem_id 0
		.amdhsa_next_free_vgpr 1
		.amdhsa_next_free_sgpr 0
		.amdhsa_reserve_vcc 0
		.amdhsa_reserve_flat_scratch 0
		.amdhsa_float_round_mode_32 0
		.amdhsa_float_round_mode_16_64 0
		.amdhsa_float_denorm_mode_32 3
		.amdhsa_float_denorm_mode_16_64 3
		.amdhsa_dx10_clamp 1
		.amdhsa_ieee_mode 1
		.amdhsa_fp16_overflow 0
		.amdhsa_exception_fp_ieee_invalid_op 0
		.amdhsa_exception_fp_denorm_src 0
		.amdhsa_exception_fp_ieee_div_zero 0
		.amdhsa_exception_fp_ieee_overflow 0
		.amdhsa_exception_fp_ieee_underflow 0
		.amdhsa_exception_fp_ieee_inexact 0
		.amdhsa_exception_int_div_zero 0
	.end_amdhsa_kernel
	.section	.text._ZN7rocprim17ROCPRIM_400000_NS6detail17trampoline_kernelINS0_14default_configENS1_32segmented_reduce_config_selectorIdEEZNS1_21segmented_reduce_implIS3_PKdPdPKidN6hipcub16HIPCUB_304000_NS6detail27convert_result_type_wrapperIS8_S9_N2at6native12_GLOBAL__N_19CustomMaxEEEEE10hipError_tPvRmT0_T1_jT2_SQ_T4_T3_P12ihipStream_tbEUlT_E_NS1_11comp_targetILNS1_3genE8ELNS1_11target_archE1030ELNS1_3gpuE2ELNS1_3repE0EEENS1_30default_config_static_selectorELNS0_4arch9wavefront6targetE1EEEvSP_,"axG",@progbits,_ZN7rocprim17ROCPRIM_400000_NS6detail17trampoline_kernelINS0_14default_configENS1_32segmented_reduce_config_selectorIdEEZNS1_21segmented_reduce_implIS3_PKdPdPKidN6hipcub16HIPCUB_304000_NS6detail27convert_result_type_wrapperIS8_S9_N2at6native12_GLOBAL__N_19CustomMaxEEEEE10hipError_tPvRmT0_T1_jT2_SQ_T4_T3_P12ihipStream_tbEUlT_E_NS1_11comp_targetILNS1_3genE8ELNS1_11target_archE1030ELNS1_3gpuE2ELNS1_3repE0EEENS1_30default_config_static_selectorELNS0_4arch9wavefront6targetE1EEEvSP_,comdat
.Lfunc_end16:
	.size	_ZN7rocprim17ROCPRIM_400000_NS6detail17trampoline_kernelINS0_14default_configENS1_32segmented_reduce_config_selectorIdEEZNS1_21segmented_reduce_implIS3_PKdPdPKidN6hipcub16HIPCUB_304000_NS6detail27convert_result_type_wrapperIS8_S9_N2at6native12_GLOBAL__N_19CustomMaxEEEEE10hipError_tPvRmT0_T1_jT2_SQ_T4_T3_P12ihipStream_tbEUlT_E_NS1_11comp_targetILNS1_3genE8ELNS1_11target_archE1030ELNS1_3gpuE2ELNS1_3repE0EEENS1_30default_config_static_selectorELNS0_4arch9wavefront6targetE1EEEvSP_, .Lfunc_end16-_ZN7rocprim17ROCPRIM_400000_NS6detail17trampoline_kernelINS0_14default_configENS1_32segmented_reduce_config_selectorIdEEZNS1_21segmented_reduce_implIS3_PKdPdPKidN6hipcub16HIPCUB_304000_NS6detail27convert_result_type_wrapperIS8_S9_N2at6native12_GLOBAL__N_19CustomMaxEEEEE10hipError_tPvRmT0_T1_jT2_SQ_T4_T3_P12ihipStream_tbEUlT_E_NS1_11comp_targetILNS1_3genE8ELNS1_11target_archE1030ELNS1_3gpuE2ELNS1_3repE0EEENS1_30default_config_static_selectorELNS0_4arch9wavefront6targetE1EEEvSP_
                                        ; -- End function
	.set _ZN7rocprim17ROCPRIM_400000_NS6detail17trampoline_kernelINS0_14default_configENS1_32segmented_reduce_config_selectorIdEEZNS1_21segmented_reduce_implIS3_PKdPdPKidN6hipcub16HIPCUB_304000_NS6detail27convert_result_type_wrapperIS8_S9_N2at6native12_GLOBAL__N_19CustomMaxEEEEE10hipError_tPvRmT0_T1_jT2_SQ_T4_T3_P12ihipStream_tbEUlT_E_NS1_11comp_targetILNS1_3genE8ELNS1_11target_archE1030ELNS1_3gpuE2ELNS1_3repE0EEENS1_30default_config_static_selectorELNS0_4arch9wavefront6targetE1EEEvSP_.num_vgpr, 0
	.set _ZN7rocprim17ROCPRIM_400000_NS6detail17trampoline_kernelINS0_14default_configENS1_32segmented_reduce_config_selectorIdEEZNS1_21segmented_reduce_implIS3_PKdPdPKidN6hipcub16HIPCUB_304000_NS6detail27convert_result_type_wrapperIS8_S9_N2at6native12_GLOBAL__N_19CustomMaxEEEEE10hipError_tPvRmT0_T1_jT2_SQ_T4_T3_P12ihipStream_tbEUlT_E_NS1_11comp_targetILNS1_3genE8ELNS1_11target_archE1030ELNS1_3gpuE2ELNS1_3repE0EEENS1_30default_config_static_selectorELNS0_4arch9wavefront6targetE1EEEvSP_.num_agpr, 0
	.set _ZN7rocprim17ROCPRIM_400000_NS6detail17trampoline_kernelINS0_14default_configENS1_32segmented_reduce_config_selectorIdEEZNS1_21segmented_reduce_implIS3_PKdPdPKidN6hipcub16HIPCUB_304000_NS6detail27convert_result_type_wrapperIS8_S9_N2at6native12_GLOBAL__N_19CustomMaxEEEEE10hipError_tPvRmT0_T1_jT2_SQ_T4_T3_P12ihipStream_tbEUlT_E_NS1_11comp_targetILNS1_3genE8ELNS1_11target_archE1030ELNS1_3gpuE2ELNS1_3repE0EEENS1_30default_config_static_selectorELNS0_4arch9wavefront6targetE1EEEvSP_.numbered_sgpr, 0
	.set _ZN7rocprim17ROCPRIM_400000_NS6detail17trampoline_kernelINS0_14default_configENS1_32segmented_reduce_config_selectorIdEEZNS1_21segmented_reduce_implIS3_PKdPdPKidN6hipcub16HIPCUB_304000_NS6detail27convert_result_type_wrapperIS8_S9_N2at6native12_GLOBAL__N_19CustomMaxEEEEE10hipError_tPvRmT0_T1_jT2_SQ_T4_T3_P12ihipStream_tbEUlT_E_NS1_11comp_targetILNS1_3genE8ELNS1_11target_archE1030ELNS1_3gpuE2ELNS1_3repE0EEENS1_30default_config_static_selectorELNS0_4arch9wavefront6targetE1EEEvSP_.num_named_barrier, 0
	.set _ZN7rocprim17ROCPRIM_400000_NS6detail17trampoline_kernelINS0_14default_configENS1_32segmented_reduce_config_selectorIdEEZNS1_21segmented_reduce_implIS3_PKdPdPKidN6hipcub16HIPCUB_304000_NS6detail27convert_result_type_wrapperIS8_S9_N2at6native12_GLOBAL__N_19CustomMaxEEEEE10hipError_tPvRmT0_T1_jT2_SQ_T4_T3_P12ihipStream_tbEUlT_E_NS1_11comp_targetILNS1_3genE8ELNS1_11target_archE1030ELNS1_3gpuE2ELNS1_3repE0EEENS1_30default_config_static_selectorELNS0_4arch9wavefront6targetE1EEEvSP_.private_seg_size, 0
	.set _ZN7rocprim17ROCPRIM_400000_NS6detail17trampoline_kernelINS0_14default_configENS1_32segmented_reduce_config_selectorIdEEZNS1_21segmented_reduce_implIS3_PKdPdPKidN6hipcub16HIPCUB_304000_NS6detail27convert_result_type_wrapperIS8_S9_N2at6native12_GLOBAL__N_19CustomMaxEEEEE10hipError_tPvRmT0_T1_jT2_SQ_T4_T3_P12ihipStream_tbEUlT_E_NS1_11comp_targetILNS1_3genE8ELNS1_11target_archE1030ELNS1_3gpuE2ELNS1_3repE0EEENS1_30default_config_static_selectorELNS0_4arch9wavefront6targetE1EEEvSP_.uses_vcc, 0
	.set _ZN7rocprim17ROCPRIM_400000_NS6detail17trampoline_kernelINS0_14default_configENS1_32segmented_reduce_config_selectorIdEEZNS1_21segmented_reduce_implIS3_PKdPdPKidN6hipcub16HIPCUB_304000_NS6detail27convert_result_type_wrapperIS8_S9_N2at6native12_GLOBAL__N_19CustomMaxEEEEE10hipError_tPvRmT0_T1_jT2_SQ_T4_T3_P12ihipStream_tbEUlT_E_NS1_11comp_targetILNS1_3genE8ELNS1_11target_archE1030ELNS1_3gpuE2ELNS1_3repE0EEENS1_30default_config_static_selectorELNS0_4arch9wavefront6targetE1EEEvSP_.uses_flat_scratch, 0
	.set _ZN7rocprim17ROCPRIM_400000_NS6detail17trampoline_kernelINS0_14default_configENS1_32segmented_reduce_config_selectorIdEEZNS1_21segmented_reduce_implIS3_PKdPdPKidN6hipcub16HIPCUB_304000_NS6detail27convert_result_type_wrapperIS8_S9_N2at6native12_GLOBAL__N_19CustomMaxEEEEE10hipError_tPvRmT0_T1_jT2_SQ_T4_T3_P12ihipStream_tbEUlT_E_NS1_11comp_targetILNS1_3genE8ELNS1_11target_archE1030ELNS1_3gpuE2ELNS1_3repE0EEENS1_30default_config_static_selectorELNS0_4arch9wavefront6targetE1EEEvSP_.has_dyn_sized_stack, 0
	.set _ZN7rocprim17ROCPRIM_400000_NS6detail17trampoline_kernelINS0_14default_configENS1_32segmented_reduce_config_selectorIdEEZNS1_21segmented_reduce_implIS3_PKdPdPKidN6hipcub16HIPCUB_304000_NS6detail27convert_result_type_wrapperIS8_S9_N2at6native12_GLOBAL__N_19CustomMaxEEEEE10hipError_tPvRmT0_T1_jT2_SQ_T4_T3_P12ihipStream_tbEUlT_E_NS1_11comp_targetILNS1_3genE8ELNS1_11target_archE1030ELNS1_3gpuE2ELNS1_3repE0EEENS1_30default_config_static_selectorELNS0_4arch9wavefront6targetE1EEEvSP_.has_recursion, 0
	.set _ZN7rocprim17ROCPRIM_400000_NS6detail17trampoline_kernelINS0_14default_configENS1_32segmented_reduce_config_selectorIdEEZNS1_21segmented_reduce_implIS3_PKdPdPKidN6hipcub16HIPCUB_304000_NS6detail27convert_result_type_wrapperIS8_S9_N2at6native12_GLOBAL__N_19CustomMaxEEEEE10hipError_tPvRmT0_T1_jT2_SQ_T4_T3_P12ihipStream_tbEUlT_E_NS1_11comp_targetILNS1_3genE8ELNS1_11target_archE1030ELNS1_3gpuE2ELNS1_3repE0EEENS1_30default_config_static_selectorELNS0_4arch9wavefront6targetE1EEEvSP_.has_indirect_call, 0
	.section	.AMDGPU.csdata,"",@progbits
; Kernel info:
; codeLenInByte = 0
; TotalNumSgprs: 4
; NumVgprs: 0
; ScratchSize: 0
; MemoryBound: 0
; FloatMode: 240
; IeeeMode: 1
; LDSByteSize: 0 bytes/workgroup (compile time only)
; SGPRBlocks: 0
; VGPRBlocks: 0
; NumSGPRsForWavesPerEU: 4
; NumVGPRsForWavesPerEU: 1
; Occupancy: 10
; WaveLimiterHint : 0
; COMPUTE_PGM_RSRC2:SCRATCH_EN: 0
; COMPUTE_PGM_RSRC2:USER_SGPR: 6
; COMPUTE_PGM_RSRC2:TRAP_HANDLER: 0
; COMPUTE_PGM_RSRC2:TGID_X_EN: 1
; COMPUTE_PGM_RSRC2:TGID_Y_EN: 0
; COMPUTE_PGM_RSRC2:TGID_Z_EN: 0
; COMPUTE_PGM_RSRC2:TIDIG_COMP_CNT: 0
	.section	.text._ZN7rocprim17ROCPRIM_400000_NS6detail17trampoline_kernelINS0_14default_configENS1_32segmented_reduce_config_selectorIdEEZNS1_21segmented_reduce_implIS3_PKdPdPKidN6hipcub16HIPCUB_304000_NS6detail27convert_result_type_wrapperIS8_S9_N2at6native12_GLOBAL__N_19CustomSumEEEEE10hipError_tPvRmT0_T1_jT2_SQ_T4_T3_P12ihipStream_tbEUlT_E_NS1_11comp_targetILNS1_3genE0ELNS1_11target_archE4294967295ELNS1_3gpuE0ELNS1_3repE0EEENS1_30default_config_static_selectorELNS0_4arch9wavefront6targetE1EEEvSP_,"axG",@progbits,_ZN7rocprim17ROCPRIM_400000_NS6detail17trampoline_kernelINS0_14default_configENS1_32segmented_reduce_config_selectorIdEEZNS1_21segmented_reduce_implIS3_PKdPdPKidN6hipcub16HIPCUB_304000_NS6detail27convert_result_type_wrapperIS8_S9_N2at6native12_GLOBAL__N_19CustomSumEEEEE10hipError_tPvRmT0_T1_jT2_SQ_T4_T3_P12ihipStream_tbEUlT_E_NS1_11comp_targetILNS1_3genE0ELNS1_11target_archE4294967295ELNS1_3gpuE0ELNS1_3repE0EEENS1_30default_config_static_selectorELNS0_4arch9wavefront6targetE1EEEvSP_,comdat
	.globl	_ZN7rocprim17ROCPRIM_400000_NS6detail17trampoline_kernelINS0_14default_configENS1_32segmented_reduce_config_selectorIdEEZNS1_21segmented_reduce_implIS3_PKdPdPKidN6hipcub16HIPCUB_304000_NS6detail27convert_result_type_wrapperIS8_S9_N2at6native12_GLOBAL__N_19CustomSumEEEEE10hipError_tPvRmT0_T1_jT2_SQ_T4_T3_P12ihipStream_tbEUlT_E_NS1_11comp_targetILNS1_3genE0ELNS1_11target_archE4294967295ELNS1_3gpuE0ELNS1_3repE0EEENS1_30default_config_static_selectorELNS0_4arch9wavefront6targetE1EEEvSP_ ; -- Begin function _ZN7rocprim17ROCPRIM_400000_NS6detail17trampoline_kernelINS0_14default_configENS1_32segmented_reduce_config_selectorIdEEZNS1_21segmented_reduce_implIS3_PKdPdPKidN6hipcub16HIPCUB_304000_NS6detail27convert_result_type_wrapperIS8_S9_N2at6native12_GLOBAL__N_19CustomSumEEEEE10hipError_tPvRmT0_T1_jT2_SQ_T4_T3_P12ihipStream_tbEUlT_E_NS1_11comp_targetILNS1_3genE0ELNS1_11target_archE4294967295ELNS1_3gpuE0ELNS1_3repE0EEENS1_30default_config_static_selectorELNS0_4arch9wavefront6targetE1EEEvSP_
	.p2align	8
	.type	_ZN7rocprim17ROCPRIM_400000_NS6detail17trampoline_kernelINS0_14default_configENS1_32segmented_reduce_config_selectorIdEEZNS1_21segmented_reduce_implIS3_PKdPdPKidN6hipcub16HIPCUB_304000_NS6detail27convert_result_type_wrapperIS8_S9_N2at6native12_GLOBAL__N_19CustomSumEEEEE10hipError_tPvRmT0_T1_jT2_SQ_T4_T3_P12ihipStream_tbEUlT_E_NS1_11comp_targetILNS1_3genE0ELNS1_11target_archE4294967295ELNS1_3gpuE0ELNS1_3repE0EEENS1_30default_config_static_selectorELNS0_4arch9wavefront6targetE1EEEvSP_,@function
_ZN7rocprim17ROCPRIM_400000_NS6detail17trampoline_kernelINS0_14default_configENS1_32segmented_reduce_config_selectorIdEEZNS1_21segmented_reduce_implIS3_PKdPdPKidN6hipcub16HIPCUB_304000_NS6detail27convert_result_type_wrapperIS8_S9_N2at6native12_GLOBAL__N_19CustomSumEEEEE10hipError_tPvRmT0_T1_jT2_SQ_T4_T3_P12ihipStream_tbEUlT_E_NS1_11comp_targetILNS1_3genE0ELNS1_11target_archE4294967295ELNS1_3gpuE0ELNS1_3repE0EEENS1_30default_config_static_selectorELNS0_4arch9wavefront6targetE1EEEvSP_: ; @_ZN7rocprim17ROCPRIM_400000_NS6detail17trampoline_kernelINS0_14default_configENS1_32segmented_reduce_config_selectorIdEEZNS1_21segmented_reduce_implIS3_PKdPdPKidN6hipcub16HIPCUB_304000_NS6detail27convert_result_type_wrapperIS8_S9_N2at6native12_GLOBAL__N_19CustomSumEEEEE10hipError_tPvRmT0_T1_jT2_SQ_T4_T3_P12ihipStream_tbEUlT_E_NS1_11comp_targetILNS1_3genE0ELNS1_11target_archE4294967295ELNS1_3gpuE0ELNS1_3repE0EEENS1_30default_config_static_selectorELNS0_4arch9wavefront6targetE1EEEvSP_
; %bb.0:
	.section	.rodata,"a",@progbits
	.p2align	6, 0x0
	.amdhsa_kernel _ZN7rocprim17ROCPRIM_400000_NS6detail17trampoline_kernelINS0_14default_configENS1_32segmented_reduce_config_selectorIdEEZNS1_21segmented_reduce_implIS3_PKdPdPKidN6hipcub16HIPCUB_304000_NS6detail27convert_result_type_wrapperIS8_S9_N2at6native12_GLOBAL__N_19CustomSumEEEEE10hipError_tPvRmT0_T1_jT2_SQ_T4_T3_P12ihipStream_tbEUlT_E_NS1_11comp_targetILNS1_3genE0ELNS1_11target_archE4294967295ELNS1_3gpuE0ELNS1_3repE0EEENS1_30default_config_static_selectorELNS0_4arch9wavefront6targetE1EEEvSP_
		.amdhsa_group_segment_fixed_size 0
		.amdhsa_private_segment_fixed_size 0
		.amdhsa_kernarg_size 56
		.amdhsa_user_sgpr_count 6
		.amdhsa_user_sgpr_private_segment_buffer 1
		.amdhsa_user_sgpr_dispatch_ptr 0
		.amdhsa_user_sgpr_queue_ptr 0
		.amdhsa_user_sgpr_kernarg_segment_ptr 1
		.amdhsa_user_sgpr_dispatch_id 0
		.amdhsa_user_sgpr_flat_scratch_init 0
		.amdhsa_user_sgpr_private_segment_size 0
		.amdhsa_uses_dynamic_stack 0
		.amdhsa_system_sgpr_private_segment_wavefront_offset 0
		.amdhsa_system_sgpr_workgroup_id_x 1
		.amdhsa_system_sgpr_workgroup_id_y 0
		.amdhsa_system_sgpr_workgroup_id_z 0
		.amdhsa_system_sgpr_workgroup_info 0
		.amdhsa_system_vgpr_workitem_id 0
		.amdhsa_next_free_vgpr 1
		.amdhsa_next_free_sgpr 0
		.amdhsa_reserve_vcc 0
		.amdhsa_reserve_flat_scratch 0
		.amdhsa_float_round_mode_32 0
		.amdhsa_float_round_mode_16_64 0
		.amdhsa_float_denorm_mode_32 3
		.amdhsa_float_denorm_mode_16_64 3
		.amdhsa_dx10_clamp 1
		.amdhsa_ieee_mode 1
		.amdhsa_fp16_overflow 0
		.amdhsa_exception_fp_ieee_invalid_op 0
		.amdhsa_exception_fp_denorm_src 0
		.amdhsa_exception_fp_ieee_div_zero 0
		.amdhsa_exception_fp_ieee_overflow 0
		.amdhsa_exception_fp_ieee_underflow 0
		.amdhsa_exception_fp_ieee_inexact 0
		.amdhsa_exception_int_div_zero 0
	.end_amdhsa_kernel
	.section	.text._ZN7rocprim17ROCPRIM_400000_NS6detail17trampoline_kernelINS0_14default_configENS1_32segmented_reduce_config_selectorIdEEZNS1_21segmented_reduce_implIS3_PKdPdPKidN6hipcub16HIPCUB_304000_NS6detail27convert_result_type_wrapperIS8_S9_N2at6native12_GLOBAL__N_19CustomSumEEEEE10hipError_tPvRmT0_T1_jT2_SQ_T4_T3_P12ihipStream_tbEUlT_E_NS1_11comp_targetILNS1_3genE0ELNS1_11target_archE4294967295ELNS1_3gpuE0ELNS1_3repE0EEENS1_30default_config_static_selectorELNS0_4arch9wavefront6targetE1EEEvSP_,"axG",@progbits,_ZN7rocprim17ROCPRIM_400000_NS6detail17trampoline_kernelINS0_14default_configENS1_32segmented_reduce_config_selectorIdEEZNS1_21segmented_reduce_implIS3_PKdPdPKidN6hipcub16HIPCUB_304000_NS6detail27convert_result_type_wrapperIS8_S9_N2at6native12_GLOBAL__N_19CustomSumEEEEE10hipError_tPvRmT0_T1_jT2_SQ_T4_T3_P12ihipStream_tbEUlT_E_NS1_11comp_targetILNS1_3genE0ELNS1_11target_archE4294967295ELNS1_3gpuE0ELNS1_3repE0EEENS1_30default_config_static_selectorELNS0_4arch9wavefront6targetE1EEEvSP_,comdat
.Lfunc_end17:
	.size	_ZN7rocprim17ROCPRIM_400000_NS6detail17trampoline_kernelINS0_14default_configENS1_32segmented_reduce_config_selectorIdEEZNS1_21segmented_reduce_implIS3_PKdPdPKidN6hipcub16HIPCUB_304000_NS6detail27convert_result_type_wrapperIS8_S9_N2at6native12_GLOBAL__N_19CustomSumEEEEE10hipError_tPvRmT0_T1_jT2_SQ_T4_T3_P12ihipStream_tbEUlT_E_NS1_11comp_targetILNS1_3genE0ELNS1_11target_archE4294967295ELNS1_3gpuE0ELNS1_3repE0EEENS1_30default_config_static_selectorELNS0_4arch9wavefront6targetE1EEEvSP_, .Lfunc_end17-_ZN7rocprim17ROCPRIM_400000_NS6detail17trampoline_kernelINS0_14default_configENS1_32segmented_reduce_config_selectorIdEEZNS1_21segmented_reduce_implIS3_PKdPdPKidN6hipcub16HIPCUB_304000_NS6detail27convert_result_type_wrapperIS8_S9_N2at6native12_GLOBAL__N_19CustomSumEEEEE10hipError_tPvRmT0_T1_jT2_SQ_T4_T3_P12ihipStream_tbEUlT_E_NS1_11comp_targetILNS1_3genE0ELNS1_11target_archE4294967295ELNS1_3gpuE0ELNS1_3repE0EEENS1_30default_config_static_selectorELNS0_4arch9wavefront6targetE1EEEvSP_
                                        ; -- End function
	.set _ZN7rocprim17ROCPRIM_400000_NS6detail17trampoline_kernelINS0_14default_configENS1_32segmented_reduce_config_selectorIdEEZNS1_21segmented_reduce_implIS3_PKdPdPKidN6hipcub16HIPCUB_304000_NS6detail27convert_result_type_wrapperIS8_S9_N2at6native12_GLOBAL__N_19CustomSumEEEEE10hipError_tPvRmT0_T1_jT2_SQ_T4_T3_P12ihipStream_tbEUlT_E_NS1_11comp_targetILNS1_3genE0ELNS1_11target_archE4294967295ELNS1_3gpuE0ELNS1_3repE0EEENS1_30default_config_static_selectorELNS0_4arch9wavefront6targetE1EEEvSP_.num_vgpr, 0
	.set _ZN7rocprim17ROCPRIM_400000_NS6detail17trampoline_kernelINS0_14default_configENS1_32segmented_reduce_config_selectorIdEEZNS1_21segmented_reduce_implIS3_PKdPdPKidN6hipcub16HIPCUB_304000_NS6detail27convert_result_type_wrapperIS8_S9_N2at6native12_GLOBAL__N_19CustomSumEEEEE10hipError_tPvRmT0_T1_jT2_SQ_T4_T3_P12ihipStream_tbEUlT_E_NS1_11comp_targetILNS1_3genE0ELNS1_11target_archE4294967295ELNS1_3gpuE0ELNS1_3repE0EEENS1_30default_config_static_selectorELNS0_4arch9wavefront6targetE1EEEvSP_.num_agpr, 0
	.set _ZN7rocprim17ROCPRIM_400000_NS6detail17trampoline_kernelINS0_14default_configENS1_32segmented_reduce_config_selectorIdEEZNS1_21segmented_reduce_implIS3_PKdPdPKidN6hipcub16HIPCUB_304000_NS6detail27convert_result_type_wrapperIS8_S9_N2at6native12_GLOBAL__N_19CustomSumEEEEE10hipError_tPvRmT0_T1_jT2_SQ_T4_T3_P12ihipStream_tbEUlT_E_NS1_11comp_targetILNS1_3genE0ELNS1_11target_archE4294967295ELNS1_3gpuE0ELNS1_3repE0EEENS1_30default_config_static_selectorELNS0_4arch9wavefront6targetE1EEEvSP_.numbered_sgpr, 0
	.set _ZN7rocprim17ROCPRIM_400000_NS6detail17trampoline_kernelINS0_14default_configENS1_32segmented_reduce_config_selectorIdEEZNS1_21segmented_reduce_implIS3_PKdPdPKidN6hipcub16HIPCUB_304000_NS6detail27convert_result_type_wrapperIS8_S9_N2at6native12_GLOBAL__N_19CustomSumEEEEE10hipError_tPvRmT0_T1_jT2_SQ_T4_T3_P12ihipStream_tbEUlT_E_NS1_11comp_targetILNS1_3genE0ELNS1_11target_archE4294967295ELNS1_3gpuE0ELNS1_3repE0EEENS1_30default_config_static_selectorELNS0_4arch9wavefront6targetE1EEEvSP_.num_named_barrier, 0
	.set _ZN7rocprim17ROCPRIM_400000_NS6detail17trampoline_kernelINS0_14default_configENS1_32segmented_reduce_config_selectorIdEEZNS1_21segmented_reduce_implIS3_PKdPdPKidN6hipcub16HIPCUB_304000_NS6detail27convert_result_type_wrapperIS8_S9_N2at6native12_GLOBAL__N_19CustomSumEEEEE10hipError_tPvRmT0_T1_jT2_SQ_T4_T3_P12ihipStream_tbEUlT_E_NS1_11comp_targetILNS1_3genE0ELNS1_11target_archE4294967295ELNS1_3gpuE0ELNS1_3repE0EEENS1_30default_config_static_selectorELNS0_4arch9wavefront6targetE1EEEvSP_.private_seg_size, 0
	.set _ZN7rocprim17ROCPRIM_400000_NS6detail17trampoline_kernelINS0_14default_configENS1_32segmented_reduce_config_selectorIdEEZNS1_21segmented_reduce_implIS3_PKdPdPKidN6hipcub16HIPCUB_304000_NS6detail27convert_result_type_wrapperIS8_S9_N2at6native12_GLOBAL__N_19CustomSumEEEEE10hipError_tPvRmT0_T1_jT2_SQ_T4_T3_P12ihipStream_tbEUlT_E_NS1_11comp_targetILNS1_3genE0ELNS1_11target_archE4294967295ELNS1_3gpuE0ELNS1_3repE0EEENS1_30default_config_static_selectorELNS0_4arch9wavefront6targetE1EEEvSP_.uses_vcc, 0
	.set _ZN7rocprim17ROCPRIM_400000_NS6detail17trampoline_kernelINS0_14default_configENS1_32segmented_reduce_config_selectorIdEEZNS1_21segmented_reduce_implIS3_PKdPdPKidN6hipcub16HIPCUB_304000_NS6detail27convert_result_type_wrapperIS8_S9_N2at6native12_GLOBAL__N_19CustomSumEEEEE10hipError_tPvRmT0_T1_jT2_SQ_T4_T3_P12ihipStream_tbEUlT_E_NS1_11comp_targetILNS1_3genE0ELNS1_11target_archE4294967295ELNS1_3gpuE0ELNS1_3repE0EEENS1_30default_config_static_selectorELNS0_4arch9wavefront6targetE1EEEvSP_.uses_flat_scratch, 0
	.set _ZN7rocprim17ROCPRIM_400000_NS6detail17trampoline_kernelINS0_14default_configENS1_32segmented_reduce_config_selectorIdEEZNS1_21segmented_reduce_implIS3_PKdPdPKidN6hipcub16HIPCUB_304000_NS6detail27convert_result_type_wrapperIS8_S9_N2at6native12_GLOBAL__N_19CustomSumEEEEE10hipError_tPvRmT0_T1_jT2_SQ_T4_T3_P12ihipStream_tbEUlT_E_NS1_11comp_targetILNS1_3genE0ELNS1_11target_archE4294967295ELNS1_3gpuE0ELNS1_3repE0EEENS1_30default_config_static_selectorELNS0_4arch9wavefront6targetE1EEEvSP_.has_dyn_sized_stack, 0
	.set _ZN7rocprim17ROCPRIM_400000_NS6detail17trampoline_kernelINS0_14default_configENS1_32segmented_reduce_config_selectorIdEEZNS1_21segmented_reduce_implIS3_PKdPdPKidN6hipcub16HIPCUB_304000_NS6detail27convert_result_type_wrapperIS8_S9_N2at6native12_GLOBAL__N_19CustomSumEEEEE10hipError_tPvRmT0_T1_jT2_SQ_T4_T3_P12ihipStream_tbEUlT_E_NS1_11comp_targetILNS1_3genE0ELNS1_11target_archE4294967295ELNS1_3gpuE0ELNS1_3repE0EEENS1_30default_config_static_selectorELNS0_4arch9wavefront6targetE1EEEvSP_.has_recursion, 0
	.set _ZN7rocprim17ROCPRIM_400000_NS6detail17trampoline_kernelINS0_14default_configENS1_32segmented_reduce_config_selectorIdEEZNS1_21segmented_reduce_implIS3_PKdPdPKidN6hipcub16HIPCUB_304000_NS6detail27convert_result_type_wrapperIS8_S9_N2at6native12_GLOBAL__N_19CustomSumEEEEE10hipError_tPvRmT0_T1_jT2_SQ_T4_T3_P12ihipStream_tbEUlT_E_NS1_11comp_targetILNS1_3genE0ELNS1_11target_archE4294967295ELNS1_3gpuE0ELNS1_3repE0EEENS1_30default_config_static_selectorELNS0_4arch9wavefront6targetE1EEEvSP_.has_indirect_call, 0
	.section	.AMDGPU.csdata,"",@progbits
; Kernel info:
; codeLenInByte = 0
; TotalNumSgprs: 4
; NumVgprs: 0
; ScratchSize: 0
; MemoryBound: 0
; FloatMode: 240
; IeeeMode: 1
; LDSByteSize: 0 bytes/workgroup (compile time only)
; SGPRBlocks: 0
; VGPRBlocks: 0
; NumSGPRsForWavesPerEU: 4
; NumVGPRsForWavesPerEU: 1
; Occupancy: 10
; WaveLimiterHint : 0
; COMPUTE_PGM_RSRC2:SCRATCH_EN: 0
; COMPUTE_PGM_RSRC2:USER_SGPR: 6
; COMPUTE_PGM_RSRC2:TRAP_HANDLER: 0
; COMPUTE_PGM_RSRC2:TGID_X_EN: 1
; COMPUTE_PGM_RSRC2:TGID_Y_EN: 0
; COMPUTE_PGM_RSRC2:TGID_Z_EN: 0
; COMPUTE_PGM_RSRC2:TIDIG_COMP_CNT: 0
	.section	.text._ZN7rocprim17ROCPRIM_400000_NS6detail17trampoline_kernelINS0_14default_configENS1_32segmented_reduce_config_selectorIdEEZNS1_21segmented_reduce_implIS3_PKdPdPKidN6hipcub16HIPCUB_304000_NS6detail27convert_result_type_wrapperIS8_S9_N2at6native12_GLOBAL__N_19CustomSumEEEEE10hipError_tPvRmT0_T1_jT2_SQ_T4_T3_P12ihipStream_tbEUlT_E_NS1_11comp_targetILNS1_3genE5ELNS1_11target_archE942ELNS1_3gpuE9ELNS1_3repE0EEENS1_30default_config_static_selectorELNS0_4arch9wavefront6targetE1EEEvSP_,"axG",@progbits,_ZN7rocprim17ROCPRIM_400000_NS6detail17trampoline_kernelINS0_14default_configENS1_32segmented_reduce_config_selectorIdEEZNS1_21segmented_reduce_implIS3_PKdPdPKidN6hipcub16HIPCUB_304000_NS6detail27convert_result_type_wrapperIS8_S9_N2at6native12_GLOBAL__N_19CustomSumEEEEE10hipError_tPvRmT0_T1_jT2_SQ_T4_T3_P12ihipStream_tbEUlT_E_NS1_11comp_targetILNS1_3genE5ELNS1_11target_archE942ELNS1_3gpuE9ELNS1_3repE0EEENS1_30default_config_static_selectorELNS0_4arch9wavefront6targetE1EEEvSP_,comdat
	.globl	_ZN7rocprim17ROCPRIM_400000_NS6detail17trampoline_kernelINS0_14default_configENS1_32segmented_reduce_config_selectorIdEEZNS1_21segmented_reduce_implIS3_PKdPdPKidN6hipcub16HIPCUB_304000_NS6detail27convert_result_type_wrapperIS8_S9_N2at6native12_GLOBAL__N_19CustomSumEEEEE10hipError_tPvRmT0_T1_jT2_SQ_T4_T3_P12ihipStream_tbEUlT_E_NS1_11comp_targetILNS1_3genE5ELNS1_11target_archE942ELNS1_3gpuE9ELNS1_3repE0EEENS1_30default_config_static_selectorELNS0_4arch9wavefront6targetE1EEEvSP_ ; -- Begin function _ZN7rocprim17ROCPRIM_400000_NS6detail17trampoline_kernelINS0_14default_configENS1_32segmented_reduce_config_selectorIdEEZNS1_21segmented_reduce_implIS3_PKdPdPKidN6hipcub16HIPCUB_304000_NS6detail27convert_result_type_wrapperIS8_S9_N2at6native12_GLOBAL__N_19CustomSumEEEEE10hipError_tPvRmT0_T1_jT2_SQ_T4_T3_P12ihipStream_tbEUlT_E_NS1_11comp_targetILNS1_3genE5ELNS1_11target_archE942ELNS1_3gpuE9ELNS1_3repE0EEENS1_30default_config_static_selectorELNS0_4arch9wavefront6targetE1EEEvSP_
	.p2align	8
	.type	_ZN7rocprim17ROCPRIM_400000_NS6detail17trampoline_kernelINS0_14default_configENS1_32segmented_reduce_config_selectorIdEEZNS1_21segmented_reduce_implIS3_PKdPdPKidN6hipcub16HIPCUB_304000_NS6detail27convert_result_type_wrapperIS8_S9_N2at6native12_GLOBAL__N_19CustomSumEEEEE10hipError_tPvRmT0_T1_jT2_SQ_T4_T3_P12ihipStream_tbEUlT_E_NS1_11comp_targetILNS1_3genE5ELNS1_11target_archE942ELNS1_3gpuE9ELNS1_3repE0EEENS1_30default_config_static_selectorELNS0_4arch9wavefront6targetE1EEEvSP_,@function
_ZN7rocprim17ROCPRIM_400000_NS6detail17trampoline_kernelINS0_14default_configENS1_32segmented_reduce_config_selectorIdEEZNS1_21segmented_reduce_implIS3_PKdPdPKidN6hipcub16HIPCUB_304000_NS6detail27convert_result_type_wrapperIS8_S9_N2at6native12_GLOBAL__N_19CustomSumEEEEE10hipError_tPvRmT0_T1_jT2_SQ_T4_T3_P12ihipStream_tbEUlT_E_NS1_11comp_targetILNS1_3genE5ELNS1_11target_archE942ELNS1_3gpuE9ELNS1_3repE0EEENS1_30default_config_static_selectorELNS0_4arch9wavefront6targetE1EEEvSP_: ; @_ZN7rocprim17ROCPRIM_400000_NS6detail17trampoline_kernelINS0_14default_configENS1_32segmented_reduce_config_selectorIdEEZNS1_21segmented_reduce_implIS3_PKdPdPKidN6hipcub16HIPCUB_304000_NS6detail27convert_result_type_wrapperIS8_S9_N2at6native12_GLOBAL__N_19CustomSumEEEEE10hipError_tPvRmT0_T1_jT2_SQ_T4_T3_P12ihipStream_tbEUlT_E_NS1_11comp_targetILNS1_3genE5ELNS1_11target_archE942ELNS1_3gpuE9ELNS1_3repE0EEENS1_30default_config_static_selectorELNS0_4arch9wavefront6targetE1EEEvSP_
; %bb.0:
	.section	.rodata,"a",@progbits
	.p2align	6, 0x0
	.amdhsa_kernel _ZN7rocprim17ROCPRIM_400000_NS6detail17trampoline_kernelINS0_14default_configENS1_32segmented_reduce_config_selectorIdEEZNS1_21segmented_reduce_implIS3_PKdPdPKidN6hipcub16HIPCUB_304000_NS6detail27convert_result_type_wrapperIS8_S9_N2at6native12_GLOBAL__N_19CustomSumEEEEE10hipError_tPvRmT0_T1_jT2_SQ_T4_T3_P12ihipStream_tbEUlT_E_NS1_11comp_targetILNS1_3genE5ELNS1_11target_archE942ELNS1_3gpuE9ELNS1_3repE0EEENS1_30default_config_static_selectorELNS0_4arch9wavefront6targetE1EEEvSP_
		.amdhsa_group_segment_fixed_size 0
		.amdhsa_private_segment_fixed_size 0
		.amdhsa_kernarg_size 56
		.amdhsa_user_sgpr_count 6
		.amdhsa_user_sgpr_private_segment_buffer 1
		.amdhsa_user_sgpr_dispatch_ptr 0
		.amdhsa_user_sgpr_queue_ptr 0
		.amdhsa_user_sgpr_kernarg_segment_ptr 1
		.amdhsa_user_sgpr_dispatch_id 0
		.amdhsa_user_sgpr_flat_scratch_init 0
		.amdhsa_user_sgpr_private_segment_size 0
		.amdhsa_uses_dynamic_stack 0
		.amdhsa_system_sgpr_private_segment_wavefront_offset 0
		.amdhsa_system_sgpr_workgroup_id_x 1
		.amdhsa_system_sgpr_workgroup_id_y 0
		.amdhsa_system_sgpr_workgroup_id_z 0
		.amdhsa_system_sgpr_workgroup_info 0
		.amdhsa_system_vgpr_workitem_id 0
		.amdhsa_next_free_vgpr 1
		.amdhsa_next_free_sgpr 0
		.amdhsa_reserve_vcc 0
		.amdhsa_reserve_flat_scratch 0
		.amdhsa_float_round_mode_32 0
		.amdhsa_float_round_mode_16_64 0
		.amdhsa_float_denorm_mode_32 3
		.amdhsa_float_denorm_mode_16_64 3
		.amdhsa_dx10_clamp 1
		.amdhsa_ieee_mode 1
		.amdhsa_fp16_overflow 0
		.amdhsa_exception_fp_ieee_invalid_op 0
		.amdhsa_exception_fp_denorm_src 0
		.amdhsa_exception_fp_ieee_div_zero 0
		.amdhsa_exception_fp_ieee_overflow 0
		.amdhsa_exception_fp_ieee_underflow 0
		.amdhsa_exception_fp_ieee_inexact 0
		.amdhsa_exception_int_div_zero 0
	.end_amdhsa_kernel
	.section	.text._ZN7rocprim17ROCPRIM_400000_NS6detail17trampoline_kernelINS0_14default_configENS1_32segmented_reduce_config_selectorIdEEZNS1_21segmented_reduce_implIS3_PKdPdPKidN6hipcub16HIPCUB_304000_NS6detail27convert_result_type_wrapperIS8_S9_N2at6native12_GLOBAL__N_19CustomSumEEEEE10hipError_tPvRmT0_T1_jT2_SQ_T4_T3_P12ihipStream_tbEUlT_E_NS1_11comp_targetILNS1_3genE5ELNS1_11target_archE942ELNS1_3gpuE9ELNS1_3repE0EEENS1_30default_config_static_selectorELNS0_4arch9wavefront6targetE1EEEvSP_,"axG",@progbits,_ZN7rocprim17ROCPRIM_400000_NS6detail17trampoline_kernelINS0_14default_configENS1_32segmented_reduce_config_selectorIdEEZNS1_21segmented_reduce_implIS3_PKdPdPKidN6hipcub16HIPCUB_304000_NS6detail27convert_result_type_wrapperIS8_S9_N2at6native12_GLOBAL__N_19CustomSumEEEEE10hipError_tPvRmT0_T1_jT2_SQ_T4_T3_P12ihipStream_tbEUlT_E_NS1_11comp_targetILNS1_3genE5ELNS1_11target_archE942ELNS1_3gpuE9ELNS1_3repE0EEENS1_30default_config_static_selectorELNS0_4arch9wavefront6targetE1EEEvSP_,comdat
.Lfunc_end18:
	.size	_ZN7rocprim17ROCPRIM_400000_NS6detail17trampoline_kernelINS0_14default_configENS1_32segmented_reduce_config_selectorIdEEZNS1_21segmented_reduce_implIS3_PKdPdPKidN6hipcub16HIPCUB_304000_NS6detail27convert_result_type_wrapperIS8_S9_N2at6native12_GLOBAL__N_19CustomSumEEEEE10hipError_tPvRmT0_T1_jT2_SQ_T4_T3_P12ihipStream_tbEUlT_E_NS1_11comp_targetILNS1_3genE5ELNS1_11target_archE942ELNS1_3gpuE9ELNS1_3repE0EEENS1_30default_config_static_selectorELNS0_4arch9wavefront6targetE1EEEvSP_, .Lfunc_end18-_ZN7rocprim17ROCPRIM_400000_NS6detail17trampoline_kernelINS0_14default_configENS1_32segmented_reduce_config_selectorIdEEZNS1_21segmented_reduce_implIS3_PKdPdPKidN6hipcub16HIPCUB_304000_NS6detail27convert_result_type_wrapperIS8_S9_N2at6native12_GLOBAL__N_19CustomSumEEEEE10hipError_tPvRmT0_T1_jT2_SQ_T4_T3_P12ihipStream_tbEUlT_E_NS1_11comp_targetILNS1_3genE5ELNS1_11target_archE942ELNS1_3gpuE9ELNS1_3repE0EEENS1_30default_config_static_selectorELNS0_4arch9wavefront6targetE1EEEvSP_
                                        ; -- End function
	.set _ZN7rocprim17ROCPRIM_400000_NS6detail17trampoline_kernelINS0_14default_configENS1_32segmented_reduce_config_selectorIdEEZNS1_21segmented_reduce_implIS3_PKdPdPKidN6hipcub16HIPCUB_304000_NS6detail27convert_result_type_wrapperIS8_S9_N2at6native12_GLOBAL__N_19CustomSumEEEEE10hipError_tPvRmT0_T1_jT2_SQ_T4_T3_P12ihipStream_tbEUlT_E_NS1_11comp_targetILNS1_3genE5ELNS1_11target_archE942ELNS1_3gpuE9ELNS1_3repE0EEENS1_30default_config_static_selectorELNS0_4arch9wavefront6targetE1EEEvSP_.num_vgpr, 0
	.set _ZN7rocprim17ROCPRIM_400000_NS6detail17trampoline_kernelINS0_14default_configENS1_32segmented_reduce_config_selectorIdEEZNS1_21segmented_reduce_implIS3_PKdPdPKidN6hipcub16HIPCUB_304000_NS6detail27convert_result_type_wrapperIS8_S9_N2at6native12_GLOBAL__N_19CustomSumEEEEE10hipError_tPvRmT0_T1_jT2_SQ_T4_T3_P12ihipStream_tbEUlT_E_NS1_11comp_targetILNS1_3genE5ELNS1_11target_archE942ELNS1_3gpuE9ELNS1_3repE0EEENS1_30default_config_static_selectorELNS0_4arch9wavefront6targetE1EEEvSP_.num_agpr, 0
	.set _ZN7rocprim17ROCPRIM_400000_NS6detail17trampoline_kernelINS0_14default_configENS1_32segmented_reduce_config_selectorIdEEZNS1_21segmented_reduce_implIS3_PKdPdPKidN6hipcub16HIPCUB_304000_NS6detail27convert_result_type_wrapperIS8_S9_N2at6native12_GLOBAL__N_19CustomSumEEEEE10hipError_tPvRmT0_T1_jT2_SQ_T4_T3_P12ihipStream_tbEUlT_E_NS1_11comp_targetILNS1_3genE5ELNS1_11target_archE942ELNS1_3gpuE9ELNS1_3repE0EEENS1_30default_config_static_selectorELNS0_4arch9wavefront6targetE1EEEvSP_.numbered_sgpr, 0
	.set _ZN7rocprim17ROCPRIM_400000_NS6detail17trampoline_kernelINS0_14default_configENS1_32segmented_reduce_config_selectorIdEEZNS1_21segmented_reduce_implIS3_PKdPdPKidN6hipcub16HIPCUB_304000_NS6detail27convert_result_type_wrapperIS8_S9_N2at6native12_GLOBAL__N_19CustomSumEEEEE10hipError_tPvRmT0_T1_jT2_SQ_T4_T3_P12ihipStream_tbEUlT_E_NS1_11comp_targetILNS1_3genE5ELNS1_11target_archE942ELNS1_3gpuE9ELNS1_3repE0EEENS1_30default_config_static_selectorELNS0_4arch9wavefront6targetE1EEEvSP_.num_named_barrier, 0
	.set _ZN7rocprim17ROCPRIM_400000_NS6detail17trampoline_kernelINS0_14default_configENS1_32segmented_reduce_config_selectorIdEEZNS1_21segmented_reduce_implIS3_PKdPdPKidN6hipcub16HIPCUB_304000_NS6detail27convert_result_type_wrapperIS8_S9_N2at6native12_GLOBAL__N_19CustomSumEEEEE10hipError_tPvRmT0_T1_jT2_SQ_T4_T3_P12ihipStream_tbEUlT_E_NS1_11comp_targetILNS1_3genE5ELNS1_11target_archE942ELNS1_3gpuE9ELNS1_3repE0EEENS1_30default_config_static_selectorELNS0_4arch9wavefront6targetE1EEEvSP_.private_seg_size, 0
	.set _ZN7rocprim17ROCPRIM_400000_NS6detail17trampoline_kernelINS0_14default_configENS1_32segmented_reduce_config_selectorIdEEZNS1_21segmented_reduce_implIS3_PKdPdPKidN6hipcub16HIPCUB_304000_NS6detail27convert_result_type_wrapperIS8_S9_N2at6native12_GLOBAL__N_19CustomSumEEEEE10hipError_tPvRmT0_T1_jT2_SQ_T4_T3_P12ihipStream_tbEUlT_E_NS1_11comp_targetILNS1_3genE5ELNS1_11target_archE942ELNS1_3gpuE9ELNS1_3repE0EEENS1_30default_config_static_selectorELNS0_4arch9wavefront6targetE1EEEvSP_.uses_vcc, 0
	.set _ZN7rocprim17ROCPRIM_400000_NS6detail17trampoline_kernelINS0_14default_configENS1_32segmented_reduce_config_selectorIdEEZNS1_21segmented_reduce_implIS3_PKdPdPKidN6hipcub16HIPCUB_304000_NS6detail27convert_result_type_wrapperIS8_S9_N2at6native12_GLOBAL__N_19CustomSumEEEEE10hipError_tPvRmT0_T1_jT2_SQ_T4_T3_P12ihipStream_tbEUlT_E_NS1_11comp_targetILNS1_3genE5ELNS1_11target_archE942ELNS1_3gpuE9ELNS1_3repE0EEENS1_30default_config_static_selectorELNS0_4arch9wavefront6targetE1EEEvSP_.uses_flat_scratch, 0
	.set _ZN7rocprim17ROCPRIM_400000_NS6detail17trampoline_kernelINS0_14default_configENS1_32segmented_reduce_config_selectorIdEEZNS1_21segmented_reduce_implIS3_PKdPdPKidN6hipcub16HIPCUB_304000_NS6detail27convert_result_type_wrapperIS8_S9_N2at6native12_GLOBAL__N_19CustomSumEEEEE10hipError_tPvRmT0_T1_jT2_SQ_T4_T3_P12ihipStream_tbEUlT_E_NS1_11comp_targetILNS1_3genE5ELNS1_11target_archE942ELNS1_3gpuE9ELNS1_3repE0EEENS1_30default_config_static_selectorELNS0_4arch9wavefront6targetE1EEEvSP_.has_dyn_sized_stack, 0
	.set _ZN7rocprim17ROCPRIM_400000_NS6detail17trampoline_kernelINS0_14default_configENS1_32segmented_reduce_config_selectorIdEEZNS1_21segmented_reduce_implIS3_PKdPdPKidN6hipcub16HIPCUB_304000_NS6detail27convert_result_type_wrapperIS8_S9_N2at6native12_GLOBAL__N_19CustomSumEEEEE10hipError_tPvRmT0_T1_jT2_SQ_T4_T3_P12ihipStream_tbEUlT_E_NS1_11comp_targetILNS1_3genE5ELNS1_11target_archE942ELNS1_3gpuE9ELNS1_3repE0EEENS1_30default_config_static_selectorELNS0_4arch9wavefront6targetE1EEEvSP_.has_recursion, 0
	.set _ZN7rocprim17ROCPRIM_400000_NS6detail17trampoline_kernelINS0_14default_configENS1_32segmented_reduce_config_selectorIdEEZNS1_21segmented_reduce_implIS3_PKdPdPKidN6hipcub16HIPCUB_304000_NS6detail27convert_result_type_wrapperIS8_S9_N2at6native12_GLOBAL__N_19CustomSumEEEEE10hipError_tPvRmT0_T1_jT2_SQ_T4_T3_P12ihipStream_tbEUlT_E_NS1_11comp_targetILNS1_3genE5ELNS1_11target_archE942ELNS1_3gpuE9ELNS1_3repE0EEENS1_30default_config_static_selectorELNS0_4arch9wavefront6targetE1EEEvSP_.has_indirect_call, 0
	.section	.AMDGPU.csdata,"",@progbits
; Kernel info:
; codeLenInByte = 0
; TotalNumSgprs: 4
; NumVgprs: 0
; ScratchSize: 0
; MemoryBound: 0
; FloatMode: 240
; IeeeMode: 1
; LDSByteSize: 0 bytes/workgroup (compile time only)
; SGPRBlocks: 0
; VGPRBlocks: 0
; NumSGPRsForWavesPerEU: 4
; NumVGPRsForWavesPerEU: 1
; Occupancy: 10
; WaveLimiterHint : 0
; COMPUTE_PGM_RSRC2:SCRATCH_EN: 0
; COMPUTE_PGM_RSRC2:USER_SGPR: 6
; COMPUTE_PGM_RSRC2:TRAP_HANDLER: 0
; COMPUTE_PGM_RSRC2:TGID_X_EN: 1
; COMPUTE_PGM_RSRC2:TGID_Y_EN: 0
; COMPUTE_PGM_RSRC2:TGID_Z_EN: 0
; COMPUTE_PGM_RSRC2:TIDIG_COMP_CNT: 0
	.section	.text._ZN7rocprim17ROCPRIM_400000_NS6detail17trampoline_kernelINS0_14default_configENS1_32segmented_reduce_config_selectorIdEEZNS1_21segmented_reduce_implIS3_PKdPdPKidN6hipcub16HIPCUB_304000_NS6detail27convert_result_type_wrapperIS8_S9_N2at6native12_GLOBAL__N_19CustomSumEEEEE10hipError_tPvRmT0_T1_jT2_SQ_T4_T3_P12ihipStream_tbEUlT_E_NS1_11comp_targetILNS1_3genE10ELNS1_11target_archE1201ELNS1_3gpuE5ELNS1_3repE0EEENS1_30default_config_static_selectorELNS0_4arch9wavefront6targetE1EEEvSP_,"axG",@progbits,_ZN7rocprim17ROCPRIM_400000_NS6detail17trampoline_kernelINS0_14default_configENS1_32segmented_reduce_config_selectorIdEEZNS1_21segmented_reduce_implIS3_PKdPdPKidN6hipcub16HIPCUB_304000_NS6detail27convert_result_type_wrapperIS8_S9_N2at6native12_GLOBAL__N_19CustomSumEEEEE10hipError_tPvRmT0_T1_jT2_SQ_T4_T3_P12ihipStream_tbEUlT_E_NS1_11comp_targetILNS1_3genE10ELNS1_11target_archE1201ELNS1_3gpuE5ELNS1_3repE0EEENS1_30default_config_static_selectorELNS0_4arch9wavefront6targetE1EEEvSP_,comdat
	.globl	_ZN7rocprim17ROCPRIM_400000_NS6detail17trampoline_kernelINS0_14default_configENS1_32segmented_reduce_config_selectorIdEEZNS1_21segmented_reduce_implIS3_PKdPdPKidN6hipcub16HIPCUB_304000_NS6detail27convert_result_type_wrapperIS8_S9_N2at6native12_GLOBAL__N_19CustomSumEEEEE10hipError_tPvRmT0_T1_jT2_SQ_T4_T3_P12ihipStream_tbEUlT_E_NS1_11comp_targetILNS1_3genE10ELNS1_11target_archE1201ELNS1_3gpuE5ELNS1_3repE0EEENS1_30default_config_static_selectorELNS0_4arch9wavefront6targetE1EEEvSP_ ; -- Begin function _ZN7rocprim17ROCPRIM_400000_NS6detail17trampoline_kernelINS0_14default_configENS1_32segmented_reduce_config_selectorIdEEZNS1_21segmented_reduce_implIS3_PKdPdPKidN6hipcub16HIPCUB_304000_NS6detail27convert_result_type_wrapperIS8_S9_N2at6native12_GLOBAL__N_19CustomSumEEEEE10hipError_tPvRmT0_T1_jT2_SQ_T4_T3_P12ihipStream_tbEUlT_E_NS1_11comp_targetILNS1_3genE10ELNS1_11target_archE1201ELNS1_3gpuE5ELNS1_3repE0EEENS1_30default_config_static_selectorELNS0_4arch9wavefront6targetE1EEEvSP_
	.p2align	8
	.type	_ZN7rocprim17ROCPRIM_400000_NS6detail17trampoline_kernelINS0_14default_configENS1_32segmented_reduce_config_selectorIdEEZNS1_21segmented_reduce_implIS3_PKdPdPKidN6hipcub16HIPCUB_304000_NS6detail27convert_result_type_wrapperIS8_S9_N2at6native12_GLOBAL__N_19CustomSumEEEEE10hipError_tPvRmT0_T1_jT2_SQ_T4_T3_P12ihipStream_tbEUlT_E_NS1_11comp_targetILNS1_3genE10ELNS1_11target_archE1201ELNS1_3gpuE5ELNS1_3repE0EEENS1_30default_config_static_selectorELNS0_4arch9wavefront6targetE1EEEvSP_,@function
_ZN7rocprim17ROCPRIM_400000_NS6detail17trampoline_kernelINS0_14default_configENS1_32segmented_reduce_config_selectorIdEEZNS1_21segmented_reduce_implIS3_PKdPdPKidN6hipcub16HIPCUB_304000_NS6detail27convert_result_type_wrapperIS8_S9_N2at6native12_GLOBAL__N_19CustomSumEEEEE10hipError_tPvRmT0_T1_jT2_SQ_T4_T3_P12ihipStream_tbEUlT_E_NS1_11comp_targetILNS1_3genE10ELNS1_11target_archE1201ELNS1_3gpuE5ELNS1_3repE0EEENS1_30default_config_static_selectorELNS0_4arch9wavefront6targetE1EEEvSP_: ; @_ZN7rocprim17ROCPRIM_400000_NS6detail17trampoline_kernelINS0_14default_configENS1_32segmented_reduce_config_selectorIdEEZNS1_21segmented_reduce_implIS3_PKdPdPKidN6hipcub16HIPCUB_304000_NS6detail27convert_result_type_wrapperIS8_S9_N2at6native12_GLOBAL__N_19CustomSumEEEEE10hipError_tPvRmT0_T1_jT2_SQ_T4_T3_P12ihipStream_tbEUlT_E_NS1_11comp_targetILNS1_3genE10ELNS1_11target_archE1201ELNS1_3gpuE5ELNS1_3repE0EEENS1_30default_config_static_selectorELNS0_4arch9wavefront6targetE1EEEvSP_
; %bb.0:
	.section	.rodata,"a",@progbits
	.p2align	6, 0x0
	.amdhsa_kernel _ZN7rocprim17ROCPRIM_400000_NS6detail17trampoline_kernelINS0_14default_configENS1_32segmented_reduce_config_selectorIdEEZNS1_21segmented_reduce_implIS3_PKdPdPKidN6hipcub16HIPCUB_304000_NS6detail27convert_result_type_wrapperIS8_S9_N2at6native12_GLOBAL__N_19CustomSumEEEEE10hipError_tPvRmT0_T1_jT2_SQ_T4_T3_P12ihipStream_tbEUlT_E_NS1_11comp_targetILNS1_3genE10ELNS1_11target_archE1201ELNS1_3gpuE5ELNS1_3repE0EEENS1_30default_config_static_selectorELNS0_4arch9wavefront6targetE1EEEvSP_
		.amdhsa_group_segment_fixed_size 0
		.amdhsa_private_segment_fixed_size 0
		.amdhsa_kernarg_size 56
		.amdhsa_user_sgpr_count 6
		.amdhsa_user_sgpr_private_segment_buffer 1
		.amdhsa_user_sgpr_dispatch_ptr 0
		.amdhsa_user_sgpr_queue_ptr 0
		.amdhsa_user_sgpr_kernarg_segment_ptr 1
		.amdhsa_user_sgpr_dispatch_id 0
		.amdhsa_user_sgpr_flat_scratch_init 0
		.amdhsa_user_sgpr_private_segment_size 0
		.amdhsa_uses_dynamic_stack 0
		.amdhsa_system_sgpr_private_segment_wavefront_offset 0
		.amdhsa_system_sgpr_workgroup_id_x 1
		.amdhsa_system_sgpr_workgroup_id_y 0
		.amdhsa_system_sgpr_workgroup_id_z 0
		.amdhsa_system_sgpr_workgroup_info 0
		.amdhsa_system_vgpr_workitem_id 0
		.amdhsa_next_free_vgpr 1
		.amdhsa_next_free_sgpr 0
		.amdhsa_reserve_vcc 0
		.amdhsa_reserve_flat_scratch 0
		.amdhsa_float_round_mode_32 0
		.amdhsa_float_round_mode_16_64 0
		.amdhsa_float_denorm_mode_32 3
		.amdhsa_float_denorm_mode_16_64 3
		.amdhsa_dx10_clamp 1
		.amdhsa_ieee_mode 1
		.amdhsa_fp16_overflow 0
		.amdhsa_exception_fp_ieee_invalid_op 0
		.amdhsa_exception_fp_denorm_src 0
		.amdhsa_exception_fp_ieee_div_zero 0
		.amdhsa_exception_fp_ieee_overflow 0
		.amdhsa_exception_fp_ieee_underflow 0
		.amdhsa_exception_fp_ieee_inexact 0
		.amdhsa_exception_int_div_zero 0
	.end_amdhsa_kernel
	.section	.text._ZN7rocprim17ROCPRIM_400000_NS6detail17trampoline_kernelINS0_14default_configENS1_32segmented_reduce_config_selectorIdEEZNS1_21segmented_reduce_implIS3_PKdPdPKidN6hipcub16HIPCUB_304000_NS6detail27convert_result_type_wrapperIS8_S9_N2at6native12_GLOBAL__N_19CustomSumEEEEE10hipError_tPvRmT0_T1_jT2_SQ_T4_T3_P12ihipStream_tbEUlT_E_NS1_11comp_targetILNS1_3genE10ELNS1_11target_archE1201ELNS1_3gpuE5ELNS1_3repE0EEENS1_30default_config_static_selectorELNS0_4arch9wavefront6targetE1EEEvSP_,"axG",@progbits,_ZN7rocprim17ROCPRIM_400000_NS6detail17trampoline_kernelINS0_14default_configENS1_32segmented_reduce_config_selectorIdEEZNS1_21segmented_reduce_implIS3_PKdPdPKidN6hipcub16HIPCUB_304000_NS6detail27convert_result_type_wrapperIS8_S9_N2at6native12_GLOBAL__N_19CustomSumEEEEE10hipError_tPvRmT0_T1_jT2_SQ_T4_T3_P12ihipStream_tbEUlT_E_NS1_11comp_targetILNS1_3genE10ELNS1_11target_archE1201ELNS1_3gpuE5ELNS1_3repE0EEENS1_30default_config_static_selectorELNS0_4arch9wavefront6targetE1EEEvSP_,comdat
.Lfunc_end19:
	.size	_ZN7rocprim17ROCPRIM_400000_NS6detail17trampoline_kernelINS0_14default_configENS1_32segmented_reduce_config_selectorIdEEZNS1_21segmented_reduce_implIS3_PKdPdPKidN6hipcub16HIPCUB_304000_NS6detail27convert_result_type_wrapperIS8_S9_N2at6native12_GLOBAL__N_19CustomSumEEEEE10hipError_tPvRmT0_T1_jT2_SQ_T4_T3_P12ihipStream_tbEUlT_E_NS1_11comp_targetILNS1_3genE10ELNS1_11target_archE1201ELNS1_3gpuE5ELNS1_3repE0EEENS1_30default_config_static_selectorELNS0_4arch9wavefront6targetE1EEEvSP_, .Lfunc_end19-_ZN7rocprim17ROCPRIM_400000_NS6detail17trampoline_kernelINS0_14default_configENS1_32segmented_reduce_config_selectorIdEEZNS1_21segmented_reduce_implIS3_PKdPdPKidN6hipcub16HIPCUB_304000_NS6detail27convert_result_type_wrapperIS8_S9_N2at6native12_GLOBAL__N_19CustomSumEEEEE10hipError_tPvRmT0_T1_jT2_SQ_T4_T3_P12ihipStream_tbEUlT_E_NS1_11comp_targetILNS1_3genE10ELNS1_11target_archE1201ELNS1_3gpuE5ELNS1_3repE0EEENS1_30default_config_static_selectorELNS0_4arch9wavefront6targetE1EEEvSP_
                                        ; -- End function
	.set _ZN7rocprim17ROCPRIM_400000_NS6detail17trampoline_kernelINS0_14default_configENS1_32segmented_reduce_config_selectorIdEEZNS1_21segmented_reduce_implIS3_PKdPdPKidN6hipcub16HIPCUB_304000_NS6detail27convert_result_type_wrapperIS8_S9_N2at6native12_GLOBAL__N_19CustomSumEEEEE10hipError_tPvRmT0_T1_jT2_SQ_T4_T3_P12ihipStream_tbEUlT_E_NS1_11comp_targetILNS1_3genE10ELNS1_11target_archE1201ELNS1_3gpuE5ELNS1_3repE0EEENS1_30default_config_static_selectorELNS0_4arch9wavefront6targetE1EEEvSP_.num_vgpr, 0
	.set _ZN7rocprim17ROCPRIM_400000_NS6detail17trampoline_kernelINS0_14default_configENS1_32segmented_reduce_config_selectorIdEEZNS1_21segmented_reduce_implIS3_PKdPdPKidN6hipcub16HIPCUB_304000_NS6detail27convert_result_type_wrapperIS8_S9_N2at6native12_GLOBAL__N_19CustomSumEEEEE10hipError_tPvRmT0_T1_jT2_SQ_T4_T3_P12ihipStream_tbEUlT_E_NS1_11comp_targetILNS1_3genE10ELNS1_11target_archE1201ELNS1_3gpuE5ELNS1_3repE0EEENS1_30default_config_static_selectorELNS0_4arch9wavefront6targetE1EEEvSP_.num_agpr, 0
	.set _ZN7rocprim17ROCPRIM_400000_NS6detail17trampoline_kernelINS0_14default_configENS1_32segmented_reduce_config_selectorIdEEZNS1_21segmented_reduce_implIS3_PKdPdPKidN6hipcub16HIPCUB_304000_NS6detail27convert_result_type_wrapperIS8_S9_N2at6native12_GLOBAL__N_19CustomSumEEEEE10hipError_tPvRmT0_T1_jT2_SQ_T4_T3_P12ihipStream_tbEUlT_E_NS1_11comp_targetILNS1_3genE10ELNS1_11target_archE1201ELNS1_3gpuE5ELNS1_3repE0EEENS1_30default_config_static_selectorELNS0_4arch9wavefront6targetE1EEEvSP_.numbered_sgpr, 0
	.set _ZN7rocprim17ROCPRIM_400000_NS6detail17trampoline_kernelINS0_14default_configENS1_32segmented_reduce_config_selectorIdEEZNS1_21segmented_reduce_implIS3_PKdPdPKidN6hipcub16HIPCUB_304000_NS6detail27convert_result_type_wrapperIS8_S9_N2at6native12_GLOBAL__N_19CustomSumEEEEE10hipError_tPvRmT0_T1_jT2_SQ_T4_T3_P12ihipStream_tbEUlT_E_NS1_11comp_targetILNS1_3genE10ELNS1_11target_archE1201ELNS1_3gpuE5ELNS1_3repE0EEENS1_30default_config_static_selectorELNS0_4arch9wavefront6targetE1EEEvSP_.num_named_barrier, 0
	.set _ZN7rocprim17ROCPRIM_400000_NS6detail17trampoline_kernelINS0_14default_configENS1_32segmented_reduce_config_selectorIdEEZNS1_21segmented_reduce_implIS3_PKdPdPKidN6hipcub16HIPCUB_304000_NS6detail27convert_result_type_wrapperIS8_S9_N2at6native12_GLOBAL__N_19CustomSumEEEEE10hipError_tPvRmT0_T1_jT2_SQ_T4_T3_P12ihipStream_tbEUlT_E_NS1_11comp_targetILNS1_3genE10ELNS1_11target_archE1201ELNS1_3gpuE5ELNS1_3repE0EEENS1_30default_config_static_selectorELNS0_4arch9wavefront6targetE1EEEvSP_.private_seg_size, 0
	.set _ZN7rocprim17ROCPRIM_400000_NS6detail17trampoline_kernelINS0_14default_configENS1_32segmented_reduce_config_selectorIdEEZNS1_21segmented_reduce_implIS3_PKdPdPKidN6hipcub16HIPCUB_304000_NS6detail27convert_result_type_wrapperIS8_S9_N2at6native12_GLOBAL__N_19CustomSumEEEEE10hipError_tPvRmT0_T1_jT2_SQ_T4_T3_P12ihipStream_tbEUlT_E_NS1_11comp_targetILNS1_3genE10ELNS1_11target_archE1201ELNS1_3gpuE5ELNS1_3repE0EEENS1_30default_config_static_selectorELNS0_4arch9wavefront6targetE1EEEvSP_.uses_vcc, 0
	.set _ZN7rocprim17ROCPRIM_400000_NS6detail17trampoline_kernelINS0_14default_configENS1_32segmented_reduce_config_selectorIdEEZNS1_21segmented_reduce_implIS3_PKdPdPKidN6hipcub16HIPCUB_304000_NS6detail27convert_result_type_wrapperIS8_S9_N2at6native12_GLOBAL__N_19CustomSumEEEEE10hipError_tPvRmT0_T1_jT2_SQ_T4_T3_P12ihipStream_tbEUlT_E_NS1_11comp_targetILNS1_3genE10ELNS1_11target_archE1201ELNS1_3gpuE5ELNS1_3repE0EEENS1_30default_config_static_selectorELNS0_4arch9wavefront6targetE1EEEvSP_.uses_flat_scratch, 0
	.set _ZN7rocprim17ROCPRIM_400000_NS6detail17trampoline_kernelINS0_14default_configENS1_32segmented_reduce_config_selectorIdEEZNS1_21segmented_reduce_implIS3_PKdPdPKidN6hipcub16HIPCUB_304000_NS6detail27convert_result_type_wrapperIS8_S9_N2at6native12_GLOBAL__N_19CustomSumEEEEE10hipError_tPvRmT0_T1_jT2_SQ_T4_T3_P12ihipStream_tbEUlT_E_NS1_11comp_targetILNS1_3genE10ELNS1_11target_archE1201ELNS1_3gpuE5ELNS1_3repE0EEENS1_30default_config_static_selectorELNS0_4arch9wavefront6targetE1EEEvSP_.has_dyn_sized_stack, 0
	.set _ZN7rocprim17ROCPRIM_400000_NS6detail17trampoline_kernelINS0_14default_configENS1_32segmented_reduce_config_selectorIdEEZNS1_21segmented_reduce_implIS3_PKdPdPKidN6hipcub16HIPCUB_304000_NS6detail27convert_result_type_wrapperIS8_S9_N2at6native12_GLOBAL__N_19CustomSumEEEEE10hipError_tPvRmT0_T1_jT2_SQ_T4_T3_P12ihipStream_tbEUlT_E_NS1_11comp_targetILNS1_3genE10ELNS1_11target_archE1201ELNS1_3gpuE5ELNS1_3repE0EEENS1_30default_config_static_selectorELNS0_4arch9wavefront6targetE1EEEvSP_.has_recursion, 0
	.set _ZN7rocprim17ROCPRIM_400000_NS6detail17trampoline_kernelINS0_14default_configENS1_32segmented_reduce_config_selectorIdEEZNS1_21segmented_reduce_implIS3_PKdPdPKidN6hipcub16HIPCUB_304000_NS6detail27convert_result_type_wrapperIS8_S9_N2at6native12_GLOBAL__N_19CustomSumEEEEE10hipError_tPvRmT0_T1_jT2_SQ_T4_T3_P12ihipStream_tbEUlT_E_NS1_11comp_targetILNS1_3genE10ELNS1_11target_archE1201ELNS1_3gpuE5ELNS1_3repE0EEENS1_30default_config_static_selectorELNS0_4arch9wavefront6targetE1EEEvSP_.has_indirect_call, 0
	.section	.AMDGPU.csdata,"",@progbits
; Kernel info:
; codeLenInByte = 0
; TotalNumSgprs: 4
; NumVgprs: 0
; ScratchSize: 0
; MemoryBound: 0
; FloatMode: 240
; IeeeMode: 1
; LDSByteSize: 0 bytes/workgroup (compile time only)
; SGPRBlocks: 0
; VGPRBlocks: 0
; NumSGPRsForWavesPerEU: 4
; NumVGPRsForWavesPerEU: 1
; Occupancy: 10
; WaveLimiterHint : 0
; COMPUTE_PGM_RSRC2:SCRATCH_EN: 0
; COMPUTE_PGM_RSRC2:USER_SGPR: 6
; COMPUTE_PGM_RSRC2:TRAP_HANDLER: 0
; COMPUTE_PGM_RSRC2:TGID_X_EN: 1
; COMPUTE_PGM_RSRC2:TGID_Y_EN: 0
; COMPUTE_PGM_RSRC2:TGID_Z_EN: 0
; COMPUTE_PGM_RSRC2:TIDIG_COMP_CNT: 0
	.section	.text._ZN7rocprim17ROCPRIM_400000_NS6detail17trampoline_kernelINS0_14default_configENS1_32segmented_reduce_config_selectorIdEEZNS1_21segmented_reduce_implIS3_PKdPdPKidN6hipcub16HIPCUB_304000_NS6detail27convert_result_type_wrapperIS8_S9_N2at6native12_GLOBAL__N_19CustomSumEEEEE10hipError_tPvRmT0_T1_jT2_SQ_T4_T3_P12ihipStream_tbEUlT_E_NS1_11comp_targetILNS1_3genE4ELNS1_11target_archE910ELNS1_3gpuE8ELNS1_3repE0EEENS1_30default_config_static_selectorELNS0_4arch9wavefront6targetE1EEEvSP_,"axG",@progbits,_ZN7rocprim17ROCPRIM_400000_NS6detail17trampoline_kernelINS0_14default_configENS1_32segmented_reduce_config_selectorIdEEZNS1_21segmented_reduce_implIS3_PKdPdPKidN6hipcub16HIPCUB_304000_NS6detail27convert_result_type_wrapperIS8_S9_N2at6native12_GLOBAL__N_19CustomSumEEEEE10hipError_tPvRmT0_T1_jT2_SQ_T4_T3_P12ihipStream_tbEUlT_E_NS1_11comp_targetILNS1_3genE4ELNS1_11target_archE910ELNS1_3gpuE8ELNS1_3repE0EEENS1_30default_config_static_selectorELNS0_4arch9wavefront6targetE1EEEvSP_,comdat
	.globl	_ZN7rocprim17ROCPRIM_400000_NS6detail17trampoline_kernelINS0_14default_configENS1_32segmented_reduce_config_selectorIdEEZNS1_21segmented_reduce_implIS3_PKdPdPKidN6hipcub16HIPCUB_304000_NS6detail27convert_result_type_wrapperIS8_S9_N2at6native12_GLOBAL__N_19CustomSumEEEEE10hipError_tPvRmT0_T1_jT2_SQ_T4_T3_P12ihipStream_tbEUlT_E_NS1_11comp_targetILNS1_3genE4ELNS1_11target_archE910ELNS1_3gpuE8ELNS1_3repE0EEENS1_30default_config_static_selectorELNS0_4arch9wavefront6targetE1EEEvSP_ ; -- Begin function _ZN7rocprim17ROCPRIM_400000_NS6detail17trampoline_kernelINS0_14default_configENS1_32segmented_reduce_config_selectorIdEEZNS1_21segmented_reduce_implIS3_PKdPdPKidN6hipcub16HIPCUB_304000_NS6detail27convert_result_type_wrapperIS8_S9_N2at6native12_GLOBAL__N_19CustomSumEEEEE10hipError_tPvRmT0_T1_jT2_SQ_T4_T3_P12ihipStream_tbEUlT_E_NS1_11comp_targetILNS1_3genE4ELNS1_11target_archE910ELNS1_3gpuE8ELNS1_3repE0EEENS1_30default_config_static_selectorELNS0_4arch9wavefront6targetE1EEEvSP_
	.p2align	8
	.type	_ZN7rocprim17ROCPRIM_400000_NS6detail17trampoline_kernelINS0_14default_configENS1_32segmented_reduce_config_selectorIdEEZNS1_21segmented_reduce_implIS3_PKdPdPKidN6hipcub16HIPCUB_304000_NS6detail27convert_result_type_wrapperIS8_S9_N2at6native12_GLOBAL__N_19CustomSumEEEEE10hipError_tPvRmT0_T1_jT2_SQ_T4_T3_P12ihipStream_tbEUlT_E_NS1_11comp_targetILNS1_3genE4ELNS1_11target_archE910ELNS1_3gpuE8ELNS1_3repE0EEENS1_30default_config_static_selectorELNS0_4arch9wavefront6targetE1EEEvSP_,@function
_ZN7rocprim17ROCPRIM_400000_NS6detail17trampoline_kernelINS0_14default_configENS1_32segmented_reduce_config_selectorIdEEZNS1_21segmented_reduce_implIS3_PKdPdPKidN6hipcub16HIPCUB_304000_NS6detail27convert_result_type_wrapperIS8_S9_N2at6native12_GLOBAL__N_19CustomSumEEEEE10hipError_tPvRmT0_T1_jT2_SQ_T4_T3_P12ihipStream_tbEUlT_E_NS1_11comp_targetILNS1_3genE4ELNS1_11target_archE910ELNS1_3gpuE8ELNS1_3repE0EEENS1_30default_config_static_selectorELNS0_4arch9wavefront6targetE1EEEvSP_: ; @_ZN7rocprim17ROCPRIM_400000_NS6detail17trampoline_kernelINS0_14default_configENS1_32segmented_reduce_config_selectorIdEEZNS1_21segmented_reduce_implIS3_PKdPdPKidN6hipcub16HIPCUB_304000_NS6detail27convert_result_type_wrapperIS8_S9_N2at6native12_GLOBAL__N_19CustomSumEEEEE10hipError_tPvRmT0_T1_jT2_SQ_T4_T3_P12ihipStream_tbEUlT_E_NS1_11comp_targetILNS1_3genE4ELNS1_11target_archE910ELNS1_3gpuE8ELNS1_3repE0EEENS1_30default_config_static_selectorELNS0_4arch9wavefront6targetE1EEEvSP_
; %bb.0:
	.section	.rodata,"a",@progbits
	.p2align	6, 0x0
	.amdhsa_kernel _ZN7rocprim17ROCPRIM_400000_NS6detail17trampoline_kernelINS0_14default_configENS1_32segmented_reduce_config_selectorIdEEZNS1_21segmented_reduce_implIS3_PKdPdPKidN6hipcub16HIPCUB_304000_NS6detail27convert_result_type_wrapperIS8_S9_N2at6native12_GLOBAL__N_19CustomSumEEEEE10hipError_tPvRmT0_T1_jT2_SQ_T4_T3_P12ihipStream_tbEUlT_E_NS1_11comp_targetILNS1_3genE4ELNS1_11target_archE910ELNS1_3gpuE8ELNS1_3repE0EEENS1_30default_config_static_selectorELNS0_4arch9wavefront6targetE1EEEvSP_
		.amdhsa_group_segment_fixed_size 0
		.amdhsa_private_segment_fixed_size 0
		.amdhsa_kernarg_size 56
		.amdhsa_user_sgpr_count 6
		.amdhsa_user_sgpr_private_segment_buffer 1
		.amdhsa_user_sgpr_dispatch_ptr 0
		.amdhsa_user_sgpr_queue_ptr 0
		.amdhsa_user_sgpr_kernarg_segment_ptr 1
		.amdhsa_user_sgpr_dispatch_id 0
		.amdhsa_user_sgpr_flat_scratch_init 0
		.amdhsa_user_sgpr_private_segment_size 0
		.amdhsa_uses_dynamic_stack 0
		.amdhsa_system_sgpr_private_segment_wavefront_offset 0
		.amdhsa_system_sgpr_workgroup_id_x 1
		.amdhsa_system_sgpr_workgroup_id_y 0
		.amdhsa_system_sgpr_workgroup_id_z 0
		.amdhsa_system_sgpr_workgroup_info 0
		.amdhsa_system_vgpr_workitem_id 0
		.amdhsa_next_free_vgpr 1
		.amdhsa_next_free_sgpr 0
		.amdhsa_reserve_vcc 0
		.amdhsa_reserve_flat_scratch 0
		.amdhsa_float_round_mode_32 0
		.amdhsa_float_round_mode_16_64 0
		.amdhsa_float_denorm_mode_32 3
		.amdhsa_float_denorm_mode_16_64 3
		.amdhsa_dx10_clamp 1
		.amdhsa_ieee_mode 1
		.amdhsa_fp16_overflow 0
		.amdhsa_exception_fp_ieee_invalid_op 0
		.amdhsa_exception_fp_denorm_src 0
		.amdhsa_exception_fp_ieee_div_zero 0
		.amdhsa_exception_fp_ieee_overflow 0
		.amdhsa_exception_fp_ieee_underflow 0
		.amdhsa_exception_fp_ieee_inexact 0
		.amdhsa_exception_int_div_zero 0
	.end_amdhsa_kernel
	.section	.text._ZN7rocprim17ROCPRIM_400000_NS6detail17trampoline_kernelINS0_14default_configENS1_32segmented_reduce_config_selectorIdEEZNS1_21segmented_reduce_implIS3_PKdPdPKidN6hipcub16HIPCUB_304000_NS6detail27convert_result_type_wrapperIS8_S9_N2at6native12_GLOBAL__N_19CustomSumEEEEE10hipError_tPvRmT0_T1_jT2_SQ_T4_T3_P12ihipStream_tbEUlT_E_NS1_11comp_targetILNS1_3genE4ELNS1_11target_archE910ELNS1_3gpuE8ELNS1_3repE0EEENS1_30default_config_static_selectorELNS0_4arch9wavefront6targetE1EEEvSP_,"axG",@progbits,_ZN7rocprim17ROCPRIM_400000_NS6detail17trampoline_kernelINS0_14default_configENS1_32segmented_reduce_config_selectorIdEEZNS1_21segmented_reduce_implIS3_PKdPdPKidN6hipcub16HIPCUB_304000_NS6detail27convert_result_type_wrapperIS8_S9_N2at6native12_GLOBAL__N_19CustomSumEEEEE10hipError_tPvRmT0_T1_jT2_SQ_T4_T3_P12ihipStream_tbEUlT_E_NS1_11comp_targetILNS1_3genE4ELNS1_11target_archE910ELNS1_3gpuE8ELNS1_3repE0EEENS1_30default_config_static_selectorELNS0_4arch9wavefront6targetE1EEEvSP_,comdat
.Lfunc_end20:
	.size	_ZN7rocprim17ROCPRIM_400000_NS6detail17trampoline_kernelINS0_14default_configENS1_32segmented_reduce_config_selectorIdEEZNS1_21segmented_reduce_implIS3_PKdPdPKidN6hipcub16HIPCUB_304000_NS6detail27convert_result_type_wrapperIS8_S9_N2at6native12_GLOBAL__N_19CustomSumEEEEE10hipError_tPvRmT0_T1_jT2_SQ_T4_T3_P12ihipStream_tbEUlT_E_NS1_11comp_targetILNS1_3genE4ELNS1_11target_archE910ELNS1_3gpuE8ELNS1_3repE0EEENS1_30default_config_static_selectorELNS0_4arch9wavefront6targetE1EEEvSP_, .Lfunc_end20-_ZN7rocprim17ROCPRIM_400000_NS6detail17trampoline_kernelINS0_14default_configENS1_32segmented_reduce_config_selectorIdEEZNS1_21segmented_reduce_implIS3_PKdPdPKidN6hipcub16HIPCUB_304000_NS6detail27convert_result_type_wrapperIS8_S9_N2at6native12_GLOBAL__N_19CustomSumEEEEE10hipError_tPvRmT0_T1_jT2_SQ_T4_T3_P12ihipStream_tbEUlT_E_NS1_11comp_targetILNS1_3genE4ELNS1_11target_archE910ELNS1_3gpuE8ELNS1_3repE0EEENS1_30default_config_static_selectorELNS0_4arch9wavefront6targetE1EEEvSP_
                                        ; -- End function
	.set _ZN7rocprim17ROCPRIM_400000_NS6detail17trampoline_kernelINS0_14default_configENS1_32segmented_reduce_config_selectorIdEEZNS1_21segmented_reduce_implIS3_PKdPdPKidN6hipcub16HIPCUB_304000_NS6detail27convert_result_type_wrapperIS8_S9_N2at6native12_GLOBAL__N_19CustomSumEEEEE10hipError_tPvRmT0_T1_jT2_SQ_T4_T3_P12ihipStream_tbEUlT_E_NS1_11comp_targetILNS1_3genE4ELNS1_11target_archE910ELNS1_3gpuE8ELNS1_3repE0EEENS1_30default_config_static_selectorELNS0_4arch9wavefront6targetE1EEEvSP_.num_vgpr, 0
	.set _ZN7rocprim17ROCPRIM_400000_NS6detail17trampoline_kernelINS0_14default_configENS1_32segmented_reduce_config_selectorIdEEZNS1_21segmented_reduce_implIS3_PKdPdPKidN6hipcub16HIPCUB_304000_NS6detail27convert_result_type_wrapperIS8_S9_N2at6native12_GLOBAL__N_19CustomSumEEEEE10hipError_tPvRmT0_T1_jT2_SQ_T4_T3_P12ihipStream_tbEUlT_E_NS1_11comp_targetILNS1_3genE4ELNS1_11target_archE910ELNS1_3gpuE8ELNS1_3repE0EEENS1_30default_config_static_selectorELNS0_4arch9wavefront6targetE1EEEvSP_.num_agpr, 0
	.set _ZN7rocprim17ROCPRIM_400000_NS6detail17trampoline_kernelINS0_14default_configENS1_32segmented_reduce_config_selectorIdEEZNS1_21segmented_reduce_implIS3_PKdPdPKidN6hipcub16HIPCUB_304000_NS6detail27convert_result_type_wrapperIS8_S9_N2at6native12_GLOBAL__N_19CustomSumEEEEE10hipError_tPvRmT0_T1_jT2_SQ_T4_T3_P12ihipStream_tbEUlT_E_NS1_11comp_targetILNS1_3genE4ELNS1_11target_archE910ELNS1_3gpuE8ELNS1_3repE0EEENS1_30default_config_static_selectorELNS0_4arch9wavefront6targetE1EEEvSP_.numbered_sgpr, 0
	.set _ZN7rocprim17ROCPRIM_400000_NS6detail17trampoline_kernelINS0_14default_configENS1_32segmented_reduce_config_selectorIdEEZNS1_21segmented_reduce_implIS3_PKdPdPKidN6hipcub16HIPCUB_304000_NS6detail27convert_result_type_wrapperIS8_S9_N2at6native12_GLOBAL__N_19CustomSumEEEEE10hipError_tPvRmT0_T1_jT2_SQ_T4_T3_P12ihipStream_tbEUlT_E_NS1_11comp_targetILNS1_3genE4ELNS1_11target_archE910ELNS1_3gpuE8ELNS1_3repE0EEENS1_30default_config_static_selectorELNS0_4arch9wavefront6targetE1EEEvSP_.num_named_barrier, 0
	.set _ZN7rocprim17ROCPRIM_400000_NS6detail17trampoline_kernelINS0_14default_configENS1_32segmented_reduce_config_selectorIdEEZNS1_21segmented_reduce_implIS3_PKdPdPKidN6hipcub16HIPCUB_304000_NS6detail27convert_result_type_wrapperIS8_S9_N2at6native12_GLOBAL__N_19CustomSumEEEEE10hipError_tPvRmT0_T1_jT2_SQ_T4_T3_P12ihipStream_tbEUlT_E_NS1_11comp_targetILNS1_3genE4ELNS1_11target_archE910ELNS1_3gpuE8ELNS1_3repE0EEENS1_30default_config_static_selectorELNS0_4arch9wavefront6targetE1EEEvSP_.private_seg_size, 0
	.set _ZN7rocprim17ROCPRIM_400000_NS6detail17trampoline_kernelINS0_14default_configENS1_32segmented_reduce_config_selectorIdEEZNS1_21segmented_reduce_implIS3_PKdPdPKidN6hipcub16HIPCUB_304000_NS6detail27convert_result_type_wrapperIS8_S9_N2at6native12_GLOBAL__N_19CustomSumEEEEE10hipError_tPvRmT0_T1_jT2_SQ_T4_T3_P12ihipStream_tbEUlT_E_NS1_11comp_targetILNS1_3genE4ELNS1_11target_archE910ELNS1_3gpuE8ELNS1_3repE0EEENS1_30default_config_static_selectorELNS0_4arch9wavefront6targetE1EEEvSP_.uses_vcc, 0
	.set _ZN7rocprim17ROCPRIM_400000_NS6detail17trampoline_kernelINS0_14default_configENS1_32segmented_reduce_config_selectorIdEEZNS1_21segmented_reduce_implIS3_PKdPdPKidN6hipcub16HIPCUB_304000_NS6detail27convert_result_type_wrapperIS8_S9_N2at6native12_GLOBAL__N_19CustomSumEEEEE10hipError_tPvRmT0_T1_jT2_SQ_T4_T3_P12ihipStream_tbEUlT_E_NS1_11comp_targetILNS1_3genE4ELNS1_11target_archE910ELNS1_3gpuE8ELNS1_3repE0EEENS1_30default_config_static_selectorELNS0_4arch9wavefront6targetE1EEEvSP_.uses_flat_scratch, 0
	.set _ZN7rocprim17ROCPRIM_400000_NS6detail17trampoline_kernelINS0_14default_configENS1_32segmented_reduce_config_selectorIdEEZNS1_21segmented_reduce_implIS3_PKdPdPKidN6hipcub16HIPCUB_304000_NS6detail27convert_result_type_wrapperIS8_S9_N2at6native12_GLOBAL__N_19CustomSumEEEEE10hipError_tPvRmT0_T1_jT2_SQ_T4_T3_P12ihipStream_tbEUlT_E_NS1_11comp_targetILNS1_3genE4ELNS1_11target_archE910ELNS1_3gpuE8ELNS1_3repE0EEENS1_30default_config_static_selectorELNS0_4arch9wavefront6targetE1EEEvSP_.has_dyn_sized_stack, 0
	.set _ZN7rocprim17ROCPRIM_400000_NS6detail17trampoline_kernelINS0_14default_configENS1_32segmented_reduce_config_selectorIdEEZNS1_21segmented_reduce_implIS3_PKdPdPKidN6hipcub16HIPCUB_304000_NS6detail27convert_result_type_wrapperIS8_S9_N2at6native12_GLOBAL__N_19CustomSumEEEEE10hipError_tPvRmT0_T1_jT2_SQ_T4_T3_P12ihipStream_tbEUlT_E_NS1_11comp_targetILNS1_3genE4ELNS1_11target_archE910ELNS1_3gpuE8ELNS1_3repE0EEENS1_30default_config_static_selectorELNS0_4arch9wavefront6targetE1EEEvSP_.has_recursion, 0
	.set _ZN7rocprim17ROCPRIM_400000_NS6detail17trampoline_kernelINS0_14default_configENS1_32segmented_reduce_config_selectorIdEEZNS1_21segmented_reduce_implIS3_PKdPdPKidN6hipcub16HIPCUB_304000_NS6detail27convert_result_type_wrapperIS8_S9_N2at6native12_GLOBAL__N_19CustomSumEEEEE10hipError_tPvRmT0_T1_jT2_SQ_T4_T3_P12ihipStream_tbEUlT_E_NS1_11comp_targetILNS1_3genE4ELNS1_11target_archE910ELNS1_3gpuE8ELNS1_3repE0EEENS1_30default_config_static_selectorELNS0_4arch9wavefront6targetE1EEEvSP_.has_indirect_call, 0
	.section	.AMDGPU.csdata,"",@progbits
; Kernel info:
; codeLenInByte = 0
; TotalNumSgprs: 4
; NumVgprs: 0
; ScratchSize: 0
; MemoryBound: 0
; FloatMode: 240
; IeeeMode: 1
; LDSByteSize: 0 bytes/workgroup (compile time only)
; SGPRBlocks: 0
; VGPRBlocks: 0
; NumSGPRsForWavesPerEU: 4
; NumVGPRsForWavesPerEU: 1
; Occupancy: 10
; WaveLimiterHint : 0
; COMPUTE_PGM_RSRC2:SCRATCH_EN: 0
; COMPUTE_PGM_RSRC2:USER_SGPR: 6
; COMPUTE_PGM_RSRC2:TRAP_HANDLER: 0
; COMPUTE_PGM_RSRC2:TGID_X_EN: 1
; COMPUTE_PGM_RSRC2:TGID_Y_EN: 0
; COMPUTE_PGM_RSRC2:TGID_Z_EN: 0
; COMPUTE_PGM_RSRC2:TIDIG_COMP_CNT: 0
	.section	.text._ZN7rocprim17ROCPRIM_400000_NS6detail17trampoline_kernelINS0_14default_configENS1_32segmented_reduce_config_selectorIdEEZNS1_21segmented_reduce_implIS3_PKdPdPKidN6hipcub16HIPCUB_304000_NS6detail27convert_result_type_wrapperIS8_S9_N2at6native12_GLOBAL__N_19CustomSumEEEEE10hipError_tPvRmT0_T1_jT2_SQ_T4_T3_P12ihipStream_tbEUlT_E_NS1_11comp_targetILNS1_3genE3ELNS1_11target_archE908ELNS1_3gpuE7ELNS1_3repE0EEENS1_30default_config_static_selectorELNS0_4arch9wavefront6targetE1EEEvSP_,"axG",@progbits,_ZN7rocprim17ROCPRIM_400000_NS6detail17trampoline_kernelINS0_14default_configENS1_32segmented_reduce_config_selectorIdEEZNS1_21segmented_reduce_implIS3_PKdPdPKidN6hipcub16HIPCUB_304000_NS6detail27convert_result_type_wrapperIS8_S9_N2at6native12_GLOBAL__N_19CustomSumEEEEE10hipError_tPvRmT0_T1_jT2_SQ_T4_T3_P12ihipStream_tbEUlT_E_NS1_11comp_targetILNS1_3genE3ELNS1_11target_archE908ELNS1_3gpuE7ELNS1_3repE0EEENS1_30default_config_static_selectorELNS0_4arch9wavefront6targetE1EEEvSP_,comdat
	.globl	_ZN7rocprim17ROCPRIM_400000_NS6detail17trampoline_kernelINS0_14default_configENS1_32segmented_reduce_config_selectorIdEEZNS1_21segmented_reduce_implIS3_PKdPdPKidN6hipcub16HIPCUB_304000_NS6detail27convert_result_type_wrapperIS8_S9_N2at6native12_GLOBAL__N_19CustomSumEEEEE10hipError_tPvRmT0_T1_jT2_SQ_T4_T3_P12ihipStream_tbEUlT_E_NS1_11comp_targetILNS1_3genE3ELNS1_11target_archE908ELNS1_3gpuE7ELNS1_3repE0EEENS1_30default_config_static_selectorELNS0_4arch9wavefront6targetE1EEEvSP_ ; -- Begin function _ZN7rocprim17ROCPRIM_400000_NS6detail17trampoline_kernelINS0_14default_configENS1_32segmented_reduce_config_selectorIdEEZNS1_21segmented_reduce_implIS3_PKdPdPKidN6hipcub16HIPCUB_304000_NS6detail27convert_result_type_wrapperIS8_S9_N2at6native12_GLOBAL__N_19CustomSumEEEEE10hipError_tPvRmT0_T1_jT2_SQ_T4_T3_P12ihipStream_tbEUlT_E_NS1_11comp_targetILNS1_3genE3ELNS1_11target_archE908ELNS1_3gpuE7ELNS1_3repE0EEENS1_30default_config_static_selectorELNS0_4arch9wavefront6targetE1EEEvSP_
	.p2align	8
	.type	_ZN7rocprim17ROCPRIM_400000_NS6detail17trampoline_kernelINS0_14default_configENS1_32segmented_reduce_config_selectorIdEEZNS1_21segmented_reduce_implIS3_PKdPdPKidN6hipcub16HIPCUB_304000_NS6detail27convert_result_type_wrapperIS8_S9_N2at6native12_GLOBAL__N_19CustomSumEEEEE10hipError_tPvRmT0_T1_jT2_SQ_T4_T3_P12ihipStream_tbEUlT_E_NS1_11comp_targetILNS1_3genE3ELNS1_11target_archE908ELNS1_3gpuE7ELNS1_3repE0EEENS1_30default_config_static_selectorELNS0_4arch9wavefront6targetE1EEEvSP_,@function
_ZN7rocprim17ROCPRIM_400000_NS6detail17trampoline_kernelINS0_14default_configENS1_32segmented_reduce_config_selectorIdEEZNS1_21segmented_reduce_implIS3_PKdPdPKidN6hipcub16HIPCUB_304000_NS6detail27convert_result_type_wrapperIS8_S9_N2at6native12_GLOBAL__N_19CustomSumEEEEE10hipError_tPvRmT0_T1_jT2_SQ_T4_T3_P12ihipStream_tbEUlT_E_NS1_11comp_targetILNS1_3genE3ELNS1_11target_archE908ELNS1_3gpuE7ELNS1_3repE0EEENS1_30default_config_static_selectorELNS0_4arch9wavefront6targetE1EEEvSP_: ; @_ZN7rocprim17ROCPRIM_400000_NS6detail17trampoline_kernelINS0_14default_configENS1_32segmented_reduce_config_selectorIdEEZNS1_21segmented_reduce_implIS3_PKdPdPKidN6hipcub16HIPCUB_304000_NS6detail27convert_result_type_wrapperIS8_S9_N2at6native12_GLOBAL__N_19CustomSumEEEEE10hipError_tPvRmT0_T1_jT2_SQ_T4_T3_P12ihipStream_tbEUlT_E_NS1_11comp_targetILNS1_3genE3ELNS1_11target_archE908ELNS1_3gpuE7ELNS1_3repE0EEENS1_30default_config_static_selectorELNS0_4arch9wavefront6targetE1EEEvSP_
; %bb.0:
	.section	.rodata,"a",@progbits
	.p2align	6, 0x0
	.amdhsa_kernel _ZN7rocprim17ROCPRIM_400000_NS6detail17trampoline_kernelINS0_14default_configENS1_32segmented_reduce_config_selectorIdEEZNS1_21segmented_reduce_implIS3_PKdPdPKidN6hipcub16HIPCUB_304000_NS6detail27convert_result_type_wrapperIS8_S9_N2at6native12_GLOBAL__N_19CustomSumEEEEE10hipError_tPvRmT0_T1_jT2_SQ_T4_T3_P12ihipStream_tbEUlT_E_NS1_11comp_targetILNS1_3genE3ELNS1_11target_archE908ELNS1_3gpuE7ELNS1_3repE0EEENS1_30default_config_static_selectorELNS0_4arch9wavefront6targetE1EEEvSP_
		.amdhsa_group_segment_fixed_size 0
		.amdhsa_private_segment_fixed_size 0
		.amdhsa_kernarg_size 56
		.amdhsa_user_sgpr_count 6
		.amdhsa_user_sgpr_private_segment_buffer 1
		.amdhsa_user_sgpr_dispatch_ptr 0
		.amdhsa_user_sgpr_queue_ptr 0
		.amdhsa_user_sgpr_kernarg_segment_ptr 1
		.amdhsa_user_sgpr_dispatch_id 0
		.amdhsa_user_sgpr_flat_scratch_init 0
		.amdhsa_user_sgpr_private_segment_size 0
		.amdhsa_uses_dynamic_stack 0
		.amdhsa_system_sgpr_private_segment_wavefront_offset 0
		.amdhsa_system_sgpr_workgroup_id_x 1
		.amdhsa_system_sgpr_workgroup_id_y 0
		.amdhsa_system_sgpr_workgroup_id_z 0
		.amdhsa_system_sgpr_workgroup_info 0
		.amdhsa_system_vgpr_workitem_id 0
		.amdhsa_next_free_vgpr 1
		.amdhsa_next_free_sgpr 0
		.amdhsa_reserve_vcc 0
		.amdhsa_reserve_flat_scratch 0
		.amdhsa_float_round_mode_32 0
		.amdhsa_float_round_mode_16_64 0
		.amdhsa_float_denorm_mode_32 3
		.amdhsa_float_denorm_mode_16_64 3
		.amdhsa_dx10_clamp 1
		.amdhsa_ieee_mode 1
		.amdhsa_fp16_overflow 0
		.amdhsa_exception_fp_ieee_invalid_op 0
		.amdhsa_exception_fp_denorm_src 0
		.amdhsa_exception_fp_ieee_div_zero 0
		.amdhsa_exception_fp_ieee_overflow 0
		.amdhsa_exception_fp_ieee_underflow 0
		.amdhsa_exception_fp_ieee_inexact 0
		.amdhsa_exception_int_div_zero 0
	.end_amdhsa_kernel
	.section	.text._ZN7rocprim17ROCPRIM_400000_NS6detail17trampoline_kernelINS0_14default_configENS1_32segmented_reduce_config_selectorIdEEZNS1_21segmented_reduce_implIS3_PKdPdPKidN6hipcub16HIPCUB_304000_NS6detail27convert_result_type_wrapperIS8_S9_N2at6native12_GLOBAL__N_19CustomSumEEEEE10hipError_tPvRmT0_T1_jT2_SQ_T4_T3_P12ihipStream_tbEUlT_E_NS1_11comp_targetILNS1_3genE3ELNS1_11target_archE908ELNS1_3gpuE7ELNS1_3repE0EEENS1_30default_config_static_selectorELNS0_4arch9wavefront6targetE1EEEvSP_,"axG",@progbits,_ZN7rocprim17ROCPRIM_400000_NS6detail17trampoline_kernelINS0_14default_configENS1_32segmented_reduce_config_selectorIdEEZNS1_21segmented_reduce_implIS3_PKdPdPKidN6hipcub16HIPCUB_304000_NS6detail27convert_result_type_wrapperIS8_S9_N2at6native12_GLOBAL__N_19CustomSumEEEEE10hipError_tPvRmT0_T1_jT2_SQ_T4_T3_P12ihipStream_tbEUlT_E_NS1_11comp_targetILNS1_3genE3ELNS1_11target_archE908ELNS1_3gpuE7ELNS1_3repE0EEENS1_30default_config_static_selectorELNS0_4arch9wavefront6targetE1EEEvSP_,comdat
.Lfunc_end21:
	.size	_ZN7rocprim17ROCPRIM_400000_NS6detail17trampoline_kernelINS0_14default_configENS1_32segmented_reduce_config_selectorIdEEZNS1_21segmented_reduce_implIS3_PKdPdPKidN6hipcub16HIPCUB_304000_NS6detail27convert_result_type_wrapperIS8_S9_N2at6native12_GLOBAL__N_19CustomSumEEEEE10hipError_tPvRmT0_T1_jT2_SQ_T4_T3_P12ihipStream_tbEUlT_E_NS1_11comp_targetILNS1_3genE3ELNS1_11target_archE908ELNS1_3gpuE7ELNS1_3repE0EEENS1_30default_config_static_selectorELNS0_4arch9wavefront6targetE1EEEvSP_, .Lfunc_end21-_ZN7rocprim17ROCPRIM_400000_NS6detail17trampoline_kernelINS0_14default_configENS1_32segmented_reduce_config_selectorIdEEZNS1_21segmented_reduce_implIS3_PKdPdPKidN6hipcub16HIPCUB_304000_NS6detail27convert_result_type_wrapperIS8_S9_N2at6native12_GLOBAL__N_19CustomSumEEEEE10hipError_tPvRmT0_T1_jT2_SQ_T4_T3_P12ihipStream_tbEUlT_E_NS1_11comp_targetILNS1_3genE3ELNS1_11target_archE908ELNS1_3gpuE7ELNS1_3repE0EEENS1_30default_config_static_selectorELNS0_4arch9wavefront6targetE1EEEvSP_
                                        ; -- End function
	.set _ZN7rocprim17ROCPRIM_400000_NS6detail17trampoline_kernelINS0_14default_configENS1_32segmented_reduce_config_selectorIdEEZNS1_21segmented_reduce_implIS3_PKdPdPKidN6hipcub16HIPCUB_304000_NS6detail27convert_result_type_wrapperIS8_S9_N2at6native12_GLOBAL__N_19CustomSumEEEEE10hipError_tPvRmT0_T1_jT2_SQ_T4_T3_P12ihipStream_tbEUlT_E_NS1_11comp_targetILNS1_3genE3ELNS1_11target_archE908ELNS1_3gpuE7ELNS1_3repE0EEENS1_30default_config_static_selectorELNS0_4arch9wavefront6targetE1EEEvSP_.num_vgpr, 0
	.set _ZN7rocprim17ROCPRIM_400000_NS6detail17trampoline_kernelINS0_14default_configENS1_32segmented_reduce_config_selectorIdEEZNS1_21segmented_reduce_implIS3_PKdPdPKidN6hipcub16HIPCUB_304000_NS6detail27convert_result_type_wrapperIS8_S9_N2at6native12_GLOBAL__N_19CustomSumEEEEE10hipError_tPvRmT0_T1_jT2_SQ_T4_T3_P12ihipStream_tbEUlT_E_NS1_11comp_targetILNS1_3genE3ELNS1_11target_archE908ELNS1_3gpuE7ELNS1_3repE0EEENS1_30default_config_static_selectorELNS0_4arch9wavefront6targetE1EEEvSP_.num_agpr, 0
	.set _ZN7rocprim17ROCPRIM_400000_NS6detail17trampoline_kernelINS0_14default_configENS1_32segmented_reduce_config_selectorIdEEZNS1_21segmented_reduce_implIS3_PKdPdPKidN6hipcub16HIPCUB_304000_NS6detail27convert_result_type_wrapperIS8_S9_N2at6native12_GLOBAL__N_19CustomSumEEEEE10hipError_tPvRmT0_T1_jT2_SQ_T4_T3_P12ihipStream_tbEUlT_E_NS1_11comp_targetILNS1_3genE3ELNS1_11target_archE908ELNS1_3gpuE7ELNS1_3repE0EEENS1_30default_config_static_selectorELNS0_4arch9wavefront6targetE1EEEvSP_.numbered_sgpr, 0
	.set _ZN7rocprim17ROCPRIM_400000_NS6detail17trampoline_kernelINS0_14default_configENS1_32segmented_reduce_config_selectorIdEEZNS1_21segmented_reduce_implIS3_PKdPdPKidN6hipcub16HIPCUB_304000_NS6detail27convert_result_type_wrapperIS8_S9_N2at6native12_GLOBAL__N_19CustomSumEEEEE10hipError_tPvRmT0_T1_jT2_SQ_T4_T3_P12ihipStream_tbEUlT_E_NS1_11comp_targetILNS1_3genE3ELNS1_11target_archE908ELNS1_3gpuE7ELNS1_3repE0EEENS1_30default_config_static_selectorELNS0_4arch9wavefront6targetE1EEEvSP_.num_named_barrier, 0
	.set _ZN7rocprim17ROCPRIM_400000_NS6detail17trampoline_kernelINS0_14default_configENS1_32segmented_reduce_config_selectorIdEEZNS1_21segmented_reduce_implIS3_PKdPdPKidN6hipcub16HIPCUB_304000_NS6detail27convert_result_type_wrapperIS8_S9_N2at6native12_GLOBAL__N_19CustomSumEEEEE10hipError_tPvRmT0_T1_jT2_SQ_T4_T3_P12ihipStream_tbEUlT_E_NS1_11comp_targetILNS1_3genE3ELNS1_11target_archE908ELNS1_3gpuE7ELNS1_3repE0EEENS1_30default_config_static_selectorELNS0_4arch9wavefront6targetE1EEEvSP_.private_seg_size, 0
	.set _ZN7rocprim17ROCPRIM_400000_NS6detail17trampoline_kernelINS0_14default_configENS1_32segmented_reduce_config_selectorIdEEZNS1_21segmented_reduce_implIS3_PKdPdPKidN6hipcub16HIPCUB_304000_NS6detail27convert_result_type_wrapperIS8_S9_N2at6native12_GLOBAL__N_19CustomSumEEEEE10hipError_tPvRmT0_T1_jT2_SQ_T4_T3_P12ihipStream_tbEUlT_E_NS1_11comp_targetILNS1_3genE3ELNS1_11target_archE908ELNS1_3gpuE7ELNS1_3repE0EEENS1_30default_config_static_selectorELNS0_4arch9wavefront6targetE1EEEvSP_.uses_vcc, 0
	.set _ZN7rocprim17ROCPRIM_400000_NS6detail17trampoline_kernelINS0_14default_configENS1_32segmented_reduce_config_selectorIdEEZNS1_21segmented_reduce_implIS3_PKdPdPKidN6hipcub16HIPCUB_304000_NS6detail27convert_result_type_wrapperIS8_S9_N2at6native12_GLOBAL__N_19CustomSumEEEEE10hipError_tPvRmT0_T1_jT2_SQ_T4_T3_P12ihipStream_tbEUlT_E_NS1_11comp_targetILNS1_3genE3ELNS1_11target_archE908ELNS1_3gpuE7ELNS1_3repE0EEENS1_30default_config_static_selectorELNS0_4arch9wavefront6targetE1EEEvSP_.uses_flat_scratch, 0
	.set _ZN7rocprim17ROCPRIM_400000_NS6detail17trampoline_kernelINS0_14default_configENS1_32segmented_reduce_config_selectorIdEEZNS1_21segmented_reduce_implIS3_PKdPdPKidN6hipcub16HIPCUB_304000_NS6detail27convert_result_type_wrapperIS8_S9_N2at6native12_GLOBAL__N_19CustomSumEEEEE10hipError_tPvRmT0_T1_jT2_SQ_T4_T3_P12ihipStream_tbEUlT_E_NS1_11comp_targetILNS1_3genE3ELNS1_11target_archE908ELNS1_3gpuE7ELNS1_3repE0EEENS1_30default_config_static_selectorELNS0_4arch9wavefront6targetE1EEEvSP_.has_dyn_sized_stack, 0
	.set _ZN7rocprim17ROCPRIM_400000_NS6detail17trampoline_kernelINS0_14default_configENS1_32segmented_reduce_config_selectorIdEEZNS1_21segmented_reduce_implIS3_PKdPdPKidN6hipcub16HIPCUB_304000_NS6detail27convert_result_type_wrapperIS8_S9_N2at6native12_GLOBAL__N_19CustomSumEEEEE10hipError_tPvRmT0_T1_jT2_SQ_T4_T3_P12ihipStream_tbEUlT_E_NS1_11comp_targetILNS1_3genE3ELNS1_11target_archE908ELNS1_3gpuE7ELNS1_3repE0EEENS1_30default_config_static_selectorELNS0_4arch9wavefront6targetE1EEEvSP_.has_recursion, 0
	.set _ZN7rocprim17ROCPRIM_400000_NS6detail17trampoline_kernelINS0_14default_configENS1_32segmented_reduce_config_selectorIdEEZNS1_21segmented_reduce_implIS3_PKdPdPKidN6hipcub16HIPCUB_304000_NS6detail27convert_result_type_wrapperIS8_S9_N2at6native12_GLOBAL__N_19CustomSumEEEEE10hipError_tPvRmT0_T1_jT2_SQ_T4_T3_P12ihipStream_tbEUlT_E_NS1_11comp_targetILNS1_3genE3ELNS1_11target_archE908ELNS1_3gpuE7ELNS1_3repE0EEENS1_30default_config_static_selectorELNS0_4arch9wavefront6targetE1EEEvSP_.has_indirect_call, 0
	.section	.AMDGPU.csdata,"",@progbits
; Kernel info:
; codeLenInByte = 0
; TotalNumSgprs: 4
; NumVgprs: 0
; ScratchSize: 0
; MemoryBound: 0
; FloatMode: 240
; IeeeMode: 1
; LDSByteSize: 0 bytes/workgroup (compile time only)
; SGPRBlocks: 0
; VGPRBlocks: 0
; NumSGPRsForWavesPerEU: 4
; NumVGPRsForWavesPerEU: 1
; Occupancy: 10
; WaveLimiterHint : 0
; COMPUTE_PGM_RSRC2:SCRATCH_EN: 0
; COMPUTE_PGM_RSRC2:USER_SGPR: 6
; COMPUTE_PGM_RSRC2:TRAP_HANDLER: 0
; COMPUTE_PGM_RSRC2:TGID_X_EN: 1
; COMPUTE_PGM_RSRC2:TGID_Y_EN: 0
; COMPUTE_PGM_RSRC2:TGID_Z_EN: 0
; COMPUTE_PGM_RSRC2:TIDIG_COMP_CNT: 0
	.section	.text._ZN7rocprim17ROCPRIM_400000_NS6detail17trampoline_kernelINS0_14default_configENS1_32segmented_reduce_config_selectorIdEEZNS1_21segmented_reduce_implIS3_PKdPdPKidN6hipcub16HIPCUB_304000_NS6detail27convert_result_type_wrapperIS8_S9_N2at6native12_GLOBAL__N_19CustomSumEEEEE10hipError_tPvRmT0_T1_jT2_SQ_T4_T3_P12ihipStream_tbEUlT_E_NS1_11comp_targetILNS1_3genE2ELNS1_11target_archE906ELNS1_3gpuE6ELNS1_3repE0EEENS1_30default_config_static_selectorELNS0_4arch9wavefront6targetE1EEEvSP_,"axG",@progbits,_ZN7rocprim17ROCPRIM_400000_NS6detail17trampoline_kernelINS0_14default_configENS1_32segmented_reduce_config_selectorIdEEZNS1_21segmented_reduce_implIS3_PKdPdPKidN6hipcub16HIPCUB_304000_NS6detail27convert_result_type_wrapperIS8_S9_N2at6native12_GLOBAL__N_19CustomSumEEEEE10hipError_tPvRmT0_T1_jT2_SQ_T4_T3_P12ihipStream_tbEUlT_E_NS1_11comp_targetILNS1_3genE2ELNS1_11target_archE906ELNS1_3gpuE6ELNS1_3repE0EEENS1_30default_config_static_selectorELNS0_4arch9wavefront6targetE1EEEvSP_,comdat
	.globl	_ZN7rocprim17ROCPRIM_400000_NS6detail17trampoline_kernelINS0_14default_configENS1_32segmented_reduce_config_selectorIdEEZNS1_21segmented_reduce_implIS3_PKdPdPKidN6hipcub16HIPCUB_304000_NS6detail27convert_result_type_wrapperIS8_S9_N2at6native12_GLOBAL__N_19CustomSumEEEEE10hipError_tPvRmT0_T1_jT2_SQ_T4_T3_P12ihipStream_tbEUlT_E_NS1_11comp_targetILNS1_3genE2ELNS1_11target_archE906ELNS1_3gpuE6ELNS1_3repE0EEENS1_30default_config_static_selectorELNS0_4arch9wavefront6targetE1EEEvSP_ ; -- Begin function _ZN7rocprim17ROCPRIM_400000_NS6detail17trampoline_kernelINS0_14default_configENS1_32segmented_reduce_config_selectorIdEEZNS1_21segmented_reduce_implIS3_PKdPdPKidN6hipcub16HIPCUB_304000_NS6detail27convert_result_type_wrapperIS8_S9_N2at6native12_GLOBAL__N_19CustomSumEEEEE10hipError_tPvRmT0_T1_jT2_SQ_T4_T3_P12ihipStream_tbEUlT_E_NS1_11comp_targetILNS1_3genE2ELNS1_11target_archE906ELNS1_3gpuE6ELNS1_3repE0EEENS1_30default_config_static_selectorELNS0_4arch9wavefront6targetE1EEEvSP_
	.p2align	8
	.type	_ZN7rocprim17ROCPRIM_400000_NS6detail17trampoline_kernelINS0_14default_configENS1_32segmented_reduce_config_selectorIdEEZNS1_21segmented_reduce_implIS3_PKdPdPKidN6hipcub16HIPCUB_304000_NS6detail27convert_result_type_wrapperIS8_S9_N2at6native12_GLOBAL__N_19CustomSumEEEEE10hipError_tPvRmT0_T1_jT2_SQ_T4_T3_P12ihipStream_tbEUlT_E_NS1_11comp_targetILNS1_3genE2ELNS1_11target_archE906ELNS1_3gpuE6ELNS1_3repE0EEENS1_30default_config_static_selectorELNS0_4arch9wavefront6targetE1EEEvSP_,@function
_ZN7rocprim17ROCPRIM_400000_NS6detail17trampoline_kernelINS0_14default_configENS1_32segmented_reduce_config_selectorIdEEZNS1_21segmented_reduce_implIS3_PKdPdPKidN6hipcub16HIPCUB_304000_NS6detail27convert_result_type_wrapperIS8_S9_N2at6native12_GLOBAL__N_19CustomSumEEEEE10hipError_tPvRmT0_T1_jT2_SQ_T4_T3_P12ihipStream_tbEUlT_E_NS1_11comp_targetILNS1_3genE2ELNS1_11target_archE906ELNS1_3gpuE6ELNS1_3repE0EEENS1_30default_config_static_selectorELNS0_4arch9wavefront6targetE1EEEvSP_: ; @_ZN7rocprim17ROCPRIM_400000_NS6detail17trampoline_kernelINS0_14default_configENS1_32segmented_reduce_config_selectorIdEEZNS1_21segmented_reduce_implIS3_PKdPdPKidN6hipcub16HIPCUB_304000_NS6detail27convert_result_type_wrapperIS8_S9_N2at6native12_GLOBAL__N_19CustomSumEEEEE10hipError_tPvRmT0_T1_jT2_SQ_T4_T3_P12ihipStream_tbEUlT_E_NS1_11comp_targetILNS1_3genE2ELNS1_11target_archE906ELNS1_3gpuE6ELNS1_3repE0EEENS1_30default_config_static_selectorELNS0_4arch9wavefront6targetE1EEEvSP_
; %bb.0:
	s_load_dwordx8 s[16:23], s[4:5], 0x0
	s_load_dwordx2 s[0:1], s[4:5], 0x20
	s_load_dwordx2 s[24:25], s[4:5], 0x30
	s_mov_b32 s7, 0
	v_cmp_eq_u32_e32 vcc, 0, v0
	s_waitcnt lgkmcnt(0)
	s_lshl_b64 s[2:3], s[20:21], 2
	s_add_u32 s4, s22, s2
	s_addc_u32 s5, s23, s3
	s_add_u32 s8, s0, s2
	s_addc_u32 s9, s1, s3
	s_lshl_b64 s[0:1], s[6:7], 2
	s_add_u32 s2, s4, s0
	s_addc_u32 s3, s5, s1
	s_add_u32 s0, s8, s0
	s_addc_u32 s1, s9, s1
	s_load_dword s26, s[2:3], 0x0
	s_load_dword s33, s[0:1], 0x0
	s_waitcnt lgkmcnt(0)
	s_cmp_gt_i32 s33, s26
	s_cbranch_scc1 .LBB22_3
; %bb.1:
	s_and_b64 s[22:23], vcc, exec
	s_cbranch_execz .LBB22_4
; %bb.2:
	v_mov_b32_e32 v1, s24
	v_mov_b32_e32 v2, s25
	s_and_saveexec_b64 s[0:1], s[22:23]
	s_cbranch_execnz .LBB22_63
	s_branch .LBB22_64
.LBB22_3:
	s_mov_b64 s[22:23], 0
.LBB22_4:
	s_add_i32 s0, s26, 0x800
	s_cmp_le_i32 s0, s33
	s_cbranch_scc0 .LBB22_29
; %bb.5:
	s_ashr_i32 s27, s26, 31
	s_lshl_b64 s[2:3], s[26:27], 3
	s_add_u32 s2, s16, s2
	s_addc_u32 s3, s17, s3
	v_lshlrev_b32_e32 v19, 3, v0
	global_load_dwordx2 v[5:6], v19, s[2:3]
	global_load_dwordx2 v[1:2], v19, s[2:3] offset:2048
	v_mov_b32_e32 v3, s3
	v_add_co_u32_e32 v15, vcc, s2, v19
	v_addc_co_u32_e32 v16, vcc, 0, v3, vcc
	v_add_co_u32_e32 v7, vcc, 0x1000, v15
	v_addc_co_u32_e32 v8, vcc, 0, v16, vcc
	global_load_dwordx2 v[11:12], v[7:8], off
	global_load_dwordx2 v[3:4], v[7:8], off offset:2048
	v_add_co_u32_e32 v9, vcc, 0x2000, v15
	v_addc_co_u32_e32 v10, vcc, 0, v16, vcc
	global_load_dwordx2 v[13:14], v[9:10], off
	global_load_dwordx2 v[7:8], v[9:10], off offset:2048
	;; [unrolled: 4-line block ×3, first 2 shown]
	s_add_i32 s1, s26, 0x1000
	s_cmp_ge_i32 s1, s33
	s_waitcnt vmcnt(6)
	v_add_f64 v[17:18], v[5:6], v[1:2]
	s_waitcnt vmcnt(5)
	v_add_f64 v[17:18], v[17:18], v[11:12]
	s_waitcnt vmcnt(4)
	v_add_f64 v[17:18], v[17:18], v[3:4]
	s_waitcnt vmcnt(3)
	v_add_f64 v[17:18], v[17:18], v[13:14]
	s_waitcnt vmcnt(2)
	v_add_f64 v[17:18], v[17:18], v[7:8]
	s_waitcnt vmcnt(1)
	v_add_f64 v[17:18], v[17:18], v[15:16]
	s_waitcnt vmcnt(0)
	v_add_f64 v[17:18], v[17:18], v[9:10]
	s_cbranch_scc1 .LBB22_8
; %bb.6:
	v_mov_b32_e32 v1, s17
	v_add_co_u32_e32 v20, vcc, s16, v19
	v_addc_co_u32_e32 v21, vcc, 0, v1, vcc
.LBB22_7:                               ; =>This Inner Loop Header: Depth=1
	s_mov_b32 s2, s0
	s_ashr_i32 s3, s0, 31
	s_lshl_b64 s[0:1], s[2:3], 3
	v_mov_b32_e32 v1, s1
	v_add_co_u32_e32 v9, vcc, s0, v20
	v_addc_co_u32_e32 v10, vcc, v21, v1, vcc
	global_load_dwordx2 v[5:6], v[9:10], off
	global_load_dwordx2 v[1:2], v[9:10], off offset:2048
	v_add_co_u32_e32 v7, vcc, 0x1000, v9
	v_addc_co_u32_e32 v8, vcc, 0, v10, vcc
	global_load_dwordx2 v[11:12], v[7:8], off
	global_load_dwordx2 v[3:4], v[7:8], off offset:2048
	;; [unrolled: 4-line block ×4, first 2 shown]
	s_add_i32 s0, s2, 0x800
	s_add_i32 s1, s2, 0x1000
	s_cmp_lt_i32 s1, s33
	s_waitcnt vmcnt(7)
	v_add_f64 v[17:18], v[17:18], v[5:6]
	s_waitcnt vmcnt(6)
	v_add_f64 v[17:18], v[17:18], v[1:2]
	;; [unrolled: 2-line block ×8, first 2 shown]
	s_cbranch_scc1 .LBB22_7
.LBB22_8:
	s_ashr_i32 s1, s0, 31
	s_sub_i32 s27, s33, s0
	s_lshl_b64 s[0:1], s[0:1], 3
	s_add_u32 s28, s16, s0
	s_addc_u32 s29, s17, s1
	v_cmp_gt_u32_e32 vcc, s27, v0
	s_and_saveexec_b64 s[0:1], vcc
	s_cbranch_execz .LBB22_10
; %bb.9:
	global_load_dwordx2 v[5:6], v19, s[28:29]
.LBB22_10:
	s_or_b64 exec, exec, s[0:1]
	v_or_b32_e32 v20, 0x100, v0
	v_cmp_gt_u32_e64 s[0:1], s27, v20
	s_and_saveexec_b64 s[2:3], s[0:1]
	s_cbranch_execz .LBB22_12
; %bb.11:
	global_load_dwordx2 v[1:2], v19, s[28:29] offset:2048
.LBB22_12:
	s_or_b64 exec, exec, s[2:3]
	v_or_b32_e32 v19, 0x200, v0
	v_cmp_gt_u32_e64 s[2:3], s27, v19
	s_and_saveexec_b64 s[4:5], s[2:3]
	s_cbranch_execz .LBB22_14
; %bb.13:
	v_lshlrev_b32_e32 v11, 3, v19
	global_load_dwordx2 v[11:12], v11, s[28:29]
.LBB22_14:
	s_or_b64 exec, exec, s[4:5]
	v_or_b32_e32 v19, 0x300, v0
	v_cmp_gt_u32_e64 s[4:5], s27, v19
	s_and_saveexec_b64 s[8:9], s[4:5]
	s_cbranch_execz .LBB22_16
; %bb.15:
	v_lshlrev_b32_e32 v3, 3, v19
	global_load_dwordx2 v[3:4], v3, s[28:29]
.LBB22_16:
	;; [unrolled: 9-line block ×6, first 2 shown]
	s_or_b64 exec, exec, s[30:31]
	s_waitcnt vmcnt(0)
	v_add_f64 v[5:6], v[17:18], v[5:6]
	v_cndmask_b32_e32 v6, v18, v6, vcc
	v_cndmask_b32_e32 v5, v17, v5, vcc
	v_add_f64 v[1:2], v[1:2], v[5:6]
	v_cndmask_b32_e64 v2, v6, v2, s[0:1]
	v_cndmask_b32_e64 v1, v5, v1, s[0:1]
	v_add_f64 v[5:6], v[11:12], v[1:2]
	v_cndmask_b32_e64 v2, v2, v6, s[2:3]
	v_cndmask_b32_e64 v1, v1, v5, s[2:3]
	;; [unrolled: 3-line block ×7, first 2 shown]
	s_nop 0
	v_mov_b32_dpp v4, v2 quad_perm:[1,0,3,2] row_mask:0xf bank_mask:0xf bound_ctrl:1
	v_mov_b32_dpp v3, v1 quad_perm:[1,0,3,2] row_mask:0xf bank_mask:0xf bound_ctrl:1
	v_add_f64 v[1:2], v[1:2], v[3:4]
	s_nop 1
	v_mov_b32_dpp v3, v1 quad_perm:[2,3,0,1] row_mask:0xf bank_mask:0xf bound_ctrl:1
	v_mov_b32_dpp v4, v2 quad_perm:[2,3,0,1] row_mask:0xf bank_mask:0xf bound_ctrl:1
	v_add_f64 v[1:2], v[1:2], v[3:4]
	s_nop 1
	v_mov_b32_dpp v3, v1 row_ror:4 row_mask:0xf bank_mask:0xf bound_ctrl:1
	v_mov_b32_dpp v4, v2 row_ror:4 row_mask:0xf bank_mask:0xf bound_ctrl:1
	v_add_f64 v[1:2], v[1:2], v[3:4]
	s_nop 1
	v_mov_b32_dpp v3, v1 row_ror:8 row_mask:0xf bank_mask:0xf bound_ctrl:1
	v_mov_b32_dpp v4, v2 row_ror:8 row_mask:0xf bank_mask:0xf bound_ctrl:1
	v_add_f64 v[1:2], v[1:2], v[3:4]
	s_nop 1
	v_mov_b32_dpp v3, v1 row_bcast:15 row_mask:0xf bank_mask:0xf bound_ctrl:1
	v_mov_b32_dpp v4, v2 row_bcast:15 row_mask:0xf bank_mask:0xf bound_ctrl:1
	v_add_f64 v[1:2], v[1:2], v[3:4]
	s_nop 1
	v_mov_b32_dpp v3, v1 row_bcast:31 row_mask:0xf bank_mask:0xf bound_ctrl:1
	v_mov_b32_dpp v4, v2 row_bcast:31 row_mask:0xf bank_mask:0xf bound_ctrl:1
	v_add_f64 v[3:4], v[1:2], v[3:4]
	v_mbcnt_lo_u32_b32 v1, -1, 0
	v_mbcnt_hi_u32_b32 v2, -1, v1
	v_lshlrev_b32_e32 v1, 2, v2
	v_or_b32_e32 v5, 0xfc, v1
	v_cmp_eq_u32_e32 vcc, 0, v2
	ds_bpermute_b32 v3, v5, v3
	ds_bpermute_b32 v4, v5, v4
	s_and_saveexec_b64 s[0:1], vcc
	s_cbranch_execz .LBB22_26
; %bb.25:
	v_lshrrev_b32_e32 v5, 3, v0
	v_and_b32_e32 v5, 24, v5
	s_waitcnt lgkmcnt(0)
	ds_write_b64 v5, v[3:4]
.LBB22_26:
	s_or_b64 exec, exec, s[0:1]
	v_cmp_gt_u32_e32 vcc, 64, v0
	s_waitcnt lgkmcnt(0)
	s_barrier
	s_and_saveexec_b64 s[0:1], vcc
	s_cbranch_execz .LBB22_28
; %bb.27:
	v_and_b32_e32 v5, 3, v2
	v_lshlrev_b32_e32 v3, 3, v5
	ds_read_b64 v[3:4], v3
	v_cmp_ne_u32_e32 vcc, 3, v5
	v_addc_co_u32_e32 v2, vcc, 0, v2, vcc
	v_lshlrev_b32_e32 v2, 2, v2
	s_waitcnt lgkmcnt(0)
	ds_bpermute_b32 v5, v2, v3
	ds_bpermute_b32 v6, v2, v4
	v_or_b32_e32 v1, 8, v1
	s_waitcnt lgkmcnt(0)
	v_add_f64 v[2:3], v[3:4], v[5:6]
	ds_bpermute_b32 v4, v1, v2
	ds_bpermute_b32 v5, v1, v3
	s_waitcnt lgkmcnt(0)
	v_add_f64 v[3:4], v[2:3], v[4:5]
.LBB22_28:
	s_or_b64 exec, exec, s[0:1]
	s_branch .LBB22_60
.LBB22_29:
                                        ; implicit-def: $vgpr3_vgpr4
	s_cbranch_execz .LBB22_60
; %bb.30:
	s_sub_i32 s8, s33, s26
	v_cmp_gt_u32_e32 vcc, s8, v0
                                        ; implicit-def: $vgpr1_vgpr2
	s_and_saveexec_b64 s[0:1], vcc
	s_cbranch_execz .LBB22_36
; %bb.31:
	v_add_u32_e32 v3, s26, v0
	v_ashrrev_i32_e32 v4, 31, v3
	v_lshlrev_b64 v[1:2], 3, v[3:4]
	v_mov_b32_e32 v4, s17
	v_add_co_u32_e32 v1, vcc, s16, v1
	v_addc_co_u32_e32 v2, vcc, v4, v2, vcc
	global_load_dwordx2 v[1:2], v[1:2], off
	v_add_u32_e32 v3, 0x100, v3
	v_cmp_gt_i32_e32 vcc, s33, v3
	s_and_saveexec_b64 s[2:3], vcc
	s_cbranch_execz .LBB22_35
; %bb.32:
	s_mov_b64 s[4:5], 0
	v_mov_b32_e32 v5, s17
.LBB22_33:                              ; =>This Inner Loop Header: Depth=1
	v_ashrrev_i32_e32 v4, 31, v3
	v_lshlrev_b64 v[6:7], 3, v[3:4]
	v_add_u32_e32 v3, 0x100, v3
	v_add_co_u32_e32 v6, vcc, s16, v6
	v_addc_co_u32_e32 v7, vcc, v5, v7, vcc
	global_load_dwordx2 v[6:7], v[6:7], off
	v_cmp_le_i32_e32 vcc, s33, v3
	s_or_b64 s[4:5], vcc, s[4:5]
	s_waitcnt vmcnt(0)
	v_add_f64 v[1:2], v[1:2], v[6:7]
	s_andn2_b64 exec, exec, s[4:5]
	s_cbranch_execnz .LBB22_33
; %bb.34:
	s_or_b64 exec, exec, s[4:5]
.LBB22_35:
	s_or_b64 exec, exec, s[2:3]
.LBB22_36:
	s_or_b64 exec, exec, s[0:1]
	s_cmpk_lt_u32 s8, 0x100
	v_mbcnt_lo_u32_b32 v7, -1, 0
	s_cbranch_scc0 .LBB22_54
; %bb.37:
	v_mbcnt_hi_u32_b32 v8, -1, v7
	v_and_b32_e32 v10, 63, v8
	v_cmp_ne_u32_e32 vcc, 63, v10
	v_addc_co_u32_e32 v4, vcc, 0, v8, vcc
	v_lshlrev_b32_e32 v4, 2, v4
	s_waitcnt vmcnt(0)
	ds_bpermute_b32 v5, v4, v1
	ds_bpermute_b32 v6, v4, v2
	v_and_b32_e32 v3, 0xc0, v0
	v_sub_u32_e64 v9, s8, v3 clamp
	v_add_u32_e32 v3, 1, v10
	v_cmp_lt_u32_e32 vcc, v3, v9
	v_mov_b32_e32 v4, v2
	v_mov_b32_e32 v3, v1
	;; [unrolled: 1-line block ×4, first 2 shown]
	s_and_saveexec_b64 s[0:1], vcc
	s_cbranch_execz .LBB22_39
; %bb.38:
	s_waitcnt lgkmcnt(0)
	v_add_f64 v[3:4], v[1:2], v[5:6]
	v_mov_b32_e32 v11, v4
	v_mov_b32_e32 v12, v3
.LBB22_39:
	s_or_b64 exec, exec, s[0:1]
	v_cmp_gt_u32_e32 vcc, 62, v10
	s_waitcnt lgkmcnt(1)
	v_cndmask_b32_e64 v5, 0, 2, vcc
	s_waitcnt lgkmcnt(0)
	v_add_lshl_u32 v6, v5, v8, 2
	ds_bpermute_b32 v5, v6, v12
	ds_bpermute_b32 v6, v6, v11
	v_add_u32_e32 v13, 2, v10
	v_cmp_lt_u32_e32 vcc, v13, v9
	s_and_saveexec_b64 s[0:1], vcc
	s_cbranch_execz .LBB22_41
; %bb.40:
	s_waitcnt lgkmcnt(0)
	v_add_f64 v[3:4], v[3:4], v[5:6]
	v_mov_b32_e32 v11, v4
	v_mov_b32_e32 v12, v3
.LBB22_41:
	s_or_b64 exec, exec, s[0:1]
	v_cmp_gt_u32_e32 vcc, 60, v10
	s_waitcnt lgkmcnt(1)
	v_cndmask_b32_e64 v5, 0, 4, vcc
	s_waitcnt lgkmcnt(0)
	v_add_lshl_u32 v6, v5, v8, 2
	ds_bpermute_b32 v5, v6, v12
	ds_bpermute_b32 v6, v6, v11
	v_add_u32_e32 v13, 4, v10
	v_cmp_lt_u32_e32 vcc, v13, v9
	s_and_saveexec_b64 s[0:1], vcc
	s_cbranch_execz .LBB22_43
; %bb.42:
	s_waitcnt lgkmcnt(0)
	v_add_f64 v[3:4], v[3:4], v[5:6]
	v_mov_b32_e32 v11, v4
	v_mov_b32_e32 v12, v3
.LBB22_43:
	s_or_b64 exec, exec, s[0:1]
	v_cmp_gt_u32_e32 vcc, 56, v10
	s_waitcnt lgkmcnt(1)
	v_cndmask_b32_e64 v5, 0, 8, vcc
	s_waitcnt lgkmcnt(0)
	v_add_lshl_u32 v6, v5, v8, 2
	ds_bpermute_b32 v5, v6, v12
	ds_bpermute_b32 v6, v6, v11
	v_add_u32_e32 v13, 8, v10
	v_cmp_lt_u32_e32 vcc, v13, v9
	s_and_saveexec_b64 s[0:1], vcc
	s_cbranch_execz .LBB22_45
; %bb.44:
	s_waitcnt lgkmcnt(0)
	v_add_f64 v[3:4], v[3:4], v[5:6]
	v_mov_b32_e32 v11, v4
	v_mov_b32_e32 v12, v3
.LBB22_45:
	s_or_b64 exec, exec, s[0:1]
	v_cmp_gt_u32_e32 vcc, 48, v10
	s_waitcnt lgkmcnt(1)
	v_cndmask_b32_e64 v5, 0, 16, vcc
	s_waitcnt lgkmcnt(0)
	v_add_lshl_u32 v6, v5, v8, 2
	ds_bpermute_b32 v5, v6, v12
	ds_bpermute_b32 v6, v6, v11
	v_add_u32_e32 v13, 16, v10
	v_cmp_lt_u32_e32 vcc, v13, v9
	s_and_saveexec_b64 s[0:1], vcc
	s_cbranch_execz .LBB22_47
; %bb.46:
	s_waitcnt lgkmcnt(0)
	v_add_f64 v[3:4], v[3:4], v[5:6]
	v_mov_b32_e32 v11, v4
	v_mov_b32_e32 v12, v3
.LBB22_47:
	s_or_b64 exec, exec, s[0:1]
	v_lshlrev_b32_e32 v13, 2, v8
	s_waitcnt lgkmcnt(0)
	v_or_b32_e32 v6, 0x80, v13
	ds_bpermute_b32 v5, v6, v12
	ds_bpermute_b32 v6, v6, v11
	v_add_u32_e32 v10, 32, v10
	v_cmp_lt_u32_e32 vcc, v10, v9
	s_waitcnt lgkmcnt(0)
	v_add_f64 v[5:6], v[3:4], v[5:6]
	v_cndmask_b32_e32 v4, v4, v6, vcc
	v_cndmask_b32_e32 v3, v3, v5, vcc
	v_cmp_eq_u32_e32 vcc, 0, v8
	s_and_saveexec_b64 s[0:1], vcc
; %bb.48:
	v_lshrrev_b32_e32 v5, 3, v0
	v_and_b32_e32 v5, 24, v5
	ds_write_b64 v5, v[3:4]
; %bb.49:
	s_or_b64 exec, exec, s[0:1]
	v_cmp_gt_u32_e32 vcc, 4, v0
	s_waitcnt lgkmcnt(0)
	s_barrier
	s_and_saveexec_b64 s[0:1], vcc
	s_cbranch_execz .LBB22_53
; %bb.50:
	v_lshlrev_b32_e32 v3, 3, v8
	ds_read_b64 v[3:4], v3
	v_and_b32_e32 v9, 3, v8
	v_cmp_ne_u32_e32 vcc, 3, v9
	v_addc_co_u32_e32 v5, vcc, 0, v8, vcc
	v_lshlrev_b32_e32 v6, 2, v5
	s_waitcnt lgkmcnt(0)
	ds_bpermute_b32 v5, v6, v3
	ds_bpermute_b32 v6, v6, v4
	s_add_i32 s8, s8, 63
	s_lshr_b32 s4, s8, 6
	v_add_u32_e32 v8, 1, v9
	v_cmp_gt_u32_e32 vcc, s4, v8
	s_and_saveexec_b64 s[2:3], vcc
	s_cbranch_execz .LBB22_52
; %bb.51:
	s_waitcnt lgkmcnt(0)
	v_add_f64 v[3:4], v[3:4], v[5:6]
.LBB22_52:
	s_or_b64 exec, exec, s[2:3]
	s_waitcnt lgkmcnt(0)
	v_or_b32_e32 v6, 8, v13
	ds_bpermute_b32 v5, v6, v3
	ds_bpermute_b32 v6, v6, v4
	v_add_u32_e32 v8, 2, v9
	v_cmp_gt_u32_e32 vcc, s4, v8
	s_waitcnt lgkmcnt(0)
	v_add_f64 v[5:6], v[3:4], v[5:6]
	v_cndmask_b32_e32 v4, v4, v6, vcc
	v_cndmask_b32_e32 v3, v3, v5, vcc
.LBB22_53:
	s_or_b64 exec, exec, s[0:1]
	s_branch .LBB22_60
.LBB22_54:
                                        ; implicit-def: $vgpr3_vgpr4
	s_cbranch_execz .LBB22_60
; %bb.55:
	s_waitcnt vmcnt(0)
	v_mov_b32_dpp v3, v1 quad_perm:[1,0,3,2] row_mask:0xf bank_mask:0xf bound_ctrl:1
	v_mov_b32_dpp v4, v2 quad_perm:[1,0,3,2] row_mask:0xf bank_mask:0xf bound_ctrl:1
	v_add_f64 v[1:2], v[1:2], v[3:4]
	s_nop 1
	v_mov_b32_dpp v3, v1 quad_perm:[2,3,0,1] row_mask:0xf bank_mask:0xf bound_ctrl:1
	v_mov_b32_dpp v4, v2 quad_perm:[2,3,0,1] row_mask:0xf bank_mask:0xf bound_ctrl:1
	v_add_f64 v[1:2], v[1:2], v[3:4]
	s_nop 1
	v_mov_b32_dpp v3, v1 row_ror:4 row_mask:0xf bank_mask:0xf bound_ctrl:1
	v_mov_b32_dpp v4, v2 row_ror:4 row_mask:0xf bank_mask:0xf bound_ctrl:1
	v_add_f64 v[1:2], v[1:2], v[3:4]
	s_nop 1
	v_mov_b32_dpp v3, v1 row_ror:8 row_mask:0xf bank_mask:0xf bound_ctrl:1
	v_mov_b32_dpp v4, v2 row_ror:8 row_mask:0xf bank_mask:0xf bound_ctrl:1
	v_add_f64 v[1:2], v[1:2], v[3:4]
	s_nop 1
	v_mov_b32_dpp v3, v1 row_bcast:15 row_mask:0xf bank_mask:0xf bound_ctrl:1
	v_mov_b32_dpp v4, v2 row_bcast:15 row_mask:0xf bank_mask:0xf bound_ctrl:1
	v_add_f64 v[1:2], v[1:2], v[3:4]
	s_nop 1
	v_mov_b32_dpp v3, v1 row_bcast:31 row_mask:0xf bank_mask:0xf bound_ctrl:1
	v_mov_b32_dpp v4, v2 row_bcast:31 row_mask:0xf bank_mask:0xf bound_ctrl:1
	v_add_f64 v[3:4], v[1:2], v[3:4]
	v_mbcnt_hi_u32_b32 v2, -1, v7
	v_lshlrev_b32_e32 v1, 2, v2
	v_or_b32_e32 v5, 0xfc, v1
	v_cmp_eq_u32_e32 vcc, 0, v2
	ds_bpermute_b32 v3, v5, v3
	ds_bpermute_b32 v4, v5, v4
	s_and_saveexec_b64 s[0:1], vcc
	s_cbranch_execz .LBB22_57
; %bb.56:
	v_lshrrev_b32_e32 v5, 3, v0
	v_and_b32_e32 v5, 24, v5
	s_waitcnt lgkmcnt(0)
	ds_write_b64 v5, v[3:4]
.LBB22_57:
	s_or_b64 exec, exec, s[0:1]
	v_cmp_gt_u32_e32 vcc, 64, v0
	s_waitcnt lgkmcnt(0)
	s_barrier
	s_and_saveexec_b64 s[0:1], vcc
	s_cbranch_execz .LBB22_59
; %bb.58:
	v_and_b32_e32 v5, 3, v2
	v_lshlrev_b32_e32 v3, 3, v5
	ds_read_b64 v[3:4], v3
	v_cmp_ne_u32_e32 vcc, 3, v5
	v_addc_co_u32_e32 v2, vcc, 0, v2, vcc
	v_lshlrev_b32_e32 v2, 2, v2
	s_waitcnt lgkmcnt(0)
	ds_bpermute_b32 v5, v2, v3
	ds_bpermute_b32 v6, v2, v4
	v_or_b32_e32 v1, 8, v1
	s_waitcnt lgkmcnt(0)
	v_add_f64 v[2:3], v[3:4], v[5:6]
	ds_bpermute_b32 v4, v1, v2
	ds_bpermute_b32 v5, v1, v3
	s_waitcnt lgkmcnt(0)
	v_add_f64 v[3:4], v[2:3], v[4:5]
.LBB22_59:
	s_or_b64 exec, exec, s[0:1]
.LBB22_60:
	v_cmp_eq_u32_e32 vcc, 0, v0
                                        ; implicit-def: $vgpr1_vgpr2
	s_and_saveexec_b64 s[0:1], vcc
	s_cbranch_execz .LBB22_62
; %bb.61:
	s_waitcnt vmcnt(0)
	v_add_f64 v[1:2], s[24:25], v[3:4]
	s_or_b64 s[22:23], s[22:23], exec
.LBB22_62:
	s_or_b64 exec, exec, s[0:1]
	s_and_saveexec_b64 s[0:1], s[22:23]
	s_cbranch_execz .LBB22_64
.LBB22_63:
	s_lshl_b64 s[0:1], s[20:21], 3
	s_add_u32 s2, s18, s0
	s_addc_u32 s3, s19, s1
	s_lshl_b64 s[0:1], s[6:7], 3
	s_add_u32 s0, s2, s0
	s_addc_u32 s1, s3, s1
	v_mov_b32_e32 v0, 0
	s_waitcnt vmcnt(0)
	global_store_dwordx2 v0, v[1:2], s[0:1]
.LBB22_64:
	s_endpgm
	.section	.rodata,"a",@progbits
	.p2align	6, 0x0
	.amdhsa_kernel _ZN7rocprim17ROCPRIM_400000_NS6detail17trampoline_kernelINS0_14default_configENS1_32segmented_reduce_config_selectorIdEEZNS1_21segmented_reduce_implIS3_PKdPdPKidN6hipcub16HIPCUB_304000_NS6detail27convert_result_type_wrapperIS8_S9_N2at6native12_GLOBAL__N_19CustomSumEEEEE10hipError_tPvRmT0_T1_jT2_SQ_T4_T3_P12ihipStream_tbEUlT_E_NS1_11comp_targetILNS1_3genE2ELNS1_11target_archE906ELNS1_3gpuE6ELNS1_3repE0EEENS1_30default_config_static_selectorELNS0_4arch9wavefront6targetE1EEEvSP_
		.amdhsa_group_segment_fixed_size 32
		.amdhsa_private_segment_fixed_size 0
		.amdhsa_kernarg_size 56
		.amdhsa_user_sgpr_count 6
		.amdhsa_user_sgpr_private_segment_buffer 1
		.amdhsa_user_sgpr_dispatch_ptr 0
		.amdhsa_user_sgpr_queue_ptr 0
		.amdhsa_user_sgpr_kernarg_segment_ptr 1
		.amdhsa_user_sgpr_dispatch_id 0
		.amdhsa_user_sgpr_flat_scratch_init 0
		.amdhsa_user_sgpr_private_segment_size 0
		.amdhsa_uses_dynamic_stack 0
		.amdhsa_system_sgpr_private_segment_wavefront_offset 0
		.amdhsa_system_sgpr_workgroup_id_x 1
		.amdhsa_system_sgpr_workgroup_id_y 0
		.amdhsa_system_sgpr_workgroup_id_z 0
		.amdhsa_system_sgpr_workgroup_info 0
		.amdhsa_system_vgpr_workitem_id 0
		.amdhsa_next_free_vgpr 24
		.amdhsa_next_free_sgpr 34
		.amdhsa_reserve_vcc 1
		.amdhsa_reserve_flat_scratch 0
		.amdhsa_float_round_mode_32 0
		.amdhsa_float_round_mode_16_64 0
		.amdhsa_float_denorm_mode_32 3
		.amdhsa_float_denorm_mode_16_64 3
		.amdhsa_dx10_clamp 1
		.amdhsa_ieee_mode 1
		.amdhsa_fp16_overflow 0
		.amdhsa_exception_fp_ieee_invalid_op 0
		.amdhsa_exception_fp_denorm_src 0
		.amdhsa_exception_fp_ieee_div_zero 0
		.amdhsa_exception_fp_ieee_overflow 0
		.amdhsa_exception_fp_ieee_underflow 0
		.amdhsa_exception_fp_ieee_inexact 0
		.amdhsa_exception_int_div_zero 0
	.end_amdhsa_kernel
	.section	.text._ZN7rocprim17ROCPRIM_400000_NS6detail17trampoline_kernelINS0_14default_configENS1_32segmented_reduce_config_selectorIdEEZNS1_21segmented_reduce_implIS3_PKdPdPKidN6hipcub16HIPCUB_304000_NS6detail27convert_result_type_wrapperIS8_S9_N2at6native12_GLOBAL__N_19CustomSumEEEEE10hipError_tPvRmT0_T1_jT2_SQ_T4_T3_P12ihipStream_tbEUlT_E_NS1_11comp_targetILNS1_3genE2ELNS1_11target_archE906ELNS1_3gpuE6ELNS1_3repE0EEENS1_30default_config_static_selectorELNS0_4arch9wavefront6targetE1EEEvSP_,"axG",@progbits,_ZN7rocprim17ROCPRIM_400000_NS6detail17trampoline_kernelINS0_14default_configENS1_32segmented_reduce_config_selectorIdEEZNS1_21segmented_reduce_implIS3_PKdPdPKidN6hipcub16HIPCUB_304000_NS6detail27convert_result_type_wrapperIS8_S9_N2at6native12_GLOBAL__N_19CustomSumEEEEE10hipError_tPvRmT0_T1_jT2_SQ_T4_T3_P12ihipStream_tbEUlT_E_NS1_11comp_targetILNS1_3genE2ELNS1_11target_archE906ELNS1_3gpuE6ELNS1_3repE0EEENS1_30default_config_static_selectorELNS0_4arch9wavefront6targetE1EEEvSP_,comdat
.Lfunc_end22:
	.size	_ZN7rocprim17ROCPRIM_400000_NS6detail17trampoline_kernelINS0_14default_configENS1_32segmented_reduce_config_selectorIdEEZNS1_21segmented_reduce_implIS3_PKdPdPKidN6hipcub16HIPCUB_304000_NS6detail27convert_result_type_wrapperIS8_S9_N2at6native12_GLOBAL__N_19CustomSumEEEEE10hipError_tPvRmT0_T1_jT2_SQ_T4_T3_P12ihipStream_tbEUlT_E_NS1_11comp_targetILNS1_3genE2ELNS1_11target_archE906ELNS1_3gpuE6ELNS1_3repE0EEENS1_30default_config_static_selectorELNS0_4arch9wavefront6targetE1EEEvSP_, .Lfunc_end22-_ZN7rocprim17ROCPRIM_400000_NS6detail17trampoline_kernelINS0_14default_configENS1_32segmented_reduce_config_selectorIdEEZNS1_21segmented_reduce_implIS3_PKdPdPKidN6hipcub16HIPCUB_304000_NS6detail27convert_result_type_wrapperIS8_S9_N2at6native12_GLOBAL__N_19CustomSumEEEEE10hipError_tPvRmT0_T1_jT2_SQ_T4_T3_P12ihipStream_tbEUlT_E_NS1_11comp_targetILNS1_3genE2ELNS1_11target_archE906ELNS1_3gpuE6ELNS1_3repE0EEENS1_30default_config_static_selectorELNS0_4arch9wavefront6targetE1EEEvSP_
                                        ; -- End function
	.set _ZN7rocprim17ROCPRIM_400000_NS6detail17trampoline_kernelINS0_14default_configENS1_32segmented_reduce_config_selectorIdEEZNS1_21segmented_reduce_implIS3_PKdPdPKidN6hipcub16HIPCUB_304000_NS6detail27convert_result_type_wrapperIS8_S9_N2at6native12_GLOBAL__N_19CustomSumEEEEE10hipError_tPvRmT0_T1_jT2_SQ_T4_T3_P12ihipStream_tbEUlT_E_NS1_11comp_targetILNS1_3genE2ELNS1_11target_archE906ELNS1_3gpuE6ELNS1_3repE0EEENS1_30default_config_static_selectorELNS0_4arch9wavefront6targetE1EEEvSP_.num_vgpr, 24
	.set _ZN7rocprim17ROCPRIM_400000_NS6detail17trampoline_kernelINS0_14default_configENS1_32segmented_reduce_config_selectorIdEEZNS1_21segmented_reduce_implIS3_PKdPdPKidN6hipcub16HIPCUB_304000_NS6detail27convert_result_type_wrapperIS8_S9_N2at6native12_GLOBAL__N_19CustomSumEEEEE10hipError_tPvRmT0_T1_jT2_SQ_T4_T3_P12ihipStream_tbEUlT_E_NS1_11comp_targetILNS1_3genE2ELNS1_11target_archE906ELNS1_3gpuE6ELNS1_3repE0EEENS1_30default_config_static_selectorELNS0_4arch9wavefront6targetE1EEEvSP_.num_agpr, 0
	.set _ZN7rocprim17ROCPRIM_400000_NS6detail17trampoline_kernelINS0_14default_configENS1_32segmented_reduce_config_selectorIdEEZNS1_21segmented_reduce_implIS3_PKdPdPKidN6hipcub16HIPCUB_304000_NS6detail27convert_result_type_wrapperIS8_S9_N2at6native12_GLOBAL__N_19CustomSumEEEEE10hipError_tPvRmT0_T1_jT2_SQ_T4_T3_P12ihipStream_tbEUlT_E_NS1_11comp_targetILNS1_3genE2ELNS1_11target_archE906ELNS1_3gpuE6ELNS1_3repE0EEENS1_30default_config_static_selectorELNS0_4arch9wavefront6targetE1EEEvSP_.numbered_sgpr, 34
	.set _ZN7rocprim17ROCPRIM_400000_NS6detail17trampoline_kernelINS0_14default_configENS1_32segmented_reduce_config_selectorIdEEZNS1_21segmented_reduce_implIS3_PKdPdPKidN6hipcub16HIPCUB_304000_NS6detail27convert_result_type_wrapperIS8_S9_N2at6native12_GLOBAL__N_19CustomSumEEEEE10hipError_tPvRmT0_T1_jT2_SQ_T4_T3_P12ihipStream_tbEUlT_E_NS1_11comp_targetILNS1_3genE2ELNS1_11target_archE906ELNS1_3gpuE6ELNS1_3repE0EEENS1_30default_config_static_selectorELNS0_4arch9wavefront6targetE1EEEvSP_.num_named_barrier, 0
	.set _ZN7rocprim17ROCPRIM_400000_NS6detail17trampoline_kernelINS0_14default_configENS1_32segmented_reduce_config_selectorIdEEZNS1_21segmented_reduce_implIS3_PKdPdPKidN6hipcub16HIPCUB_304000_NS6detail27convert_result_type_wrapperIS8_S9_N2at6native12_GLOBAL__N_19CustomSumEEEEE10hipError_tPvRmT0_T1_jT2_SQ_T4_T3_P12ihipStream_tbEUlT_E_NS1_11comp_targetILNS1_3genE2ELNS1_11target_archE906ELNS1_3gpuE6ELNS1_3repE0EEENS1_30default_config_static_selectorELNS0_4arch9wavefront6targetE1EEEvSP_.private_seg_size, 0
	.set _ZN7rocprim17ROCPRIM_400000_NS6detail17trampoline_kernelINS0_14default_configENS1_32segmented_reduce_config_selectorIdEEZNS1_21segmented_reduce_implIS3_PKdPdPKidN6hipcub16HIPCUB_304000_NS6detail27convert_result_type_wrapperIS8_S9_N2at6native12_GLOBAL__N_19CustomSumEEEEE10hipError_tPvRmT0_T1_jT2_SQ_T4_T3_P12ihipStream_tbEUlT_E_NS1_11comp_targetILNS1_3genE2ELNS1_11target_archE906ELNS1_3gpuE6ELNS1_3repE0EEENS1_30default_config_static_selectorELNS0_4arch9wavefront6targetE1EEEvSP_.uses_vcc, 1
	.set _ZN7rocprim17ROCPRIM_400000_NS6detail17trampoline_kernelINS0_14default_configENS1_32segmented_reduce_config_selectorIdEEZNS1_21segmented_reduce_implIS3_PKdPdPKidN6hipcub16HIPCUB_304000_NS6detail27convert_result_type_wrapperIS8_S9_N2at6native12_GLOBAL__N_19CustomSumEEEEE10hipError_tPvRmT0_T1_jT2_SQ_T4_T3_P12ihipStream_tbEUlT_E_NS1_11comp_targetILNS1_3genE2ELNS1_11target_archE906ELNS1_3gpuE6ELNS1_3repE0EEENS1_30default_config_static_selectorELNS0_4arch9wavefront6targetE1EEEvSP_.uses_flat_scratch, 0
	.set _ZN7rocprim17ROCPRIM_400000_NS6detail17trampoline_kernelINS0_14default_configENS1_32segmented_reduce_config_selectorIdEEZNS1_21segmented_reduce_implIS3_PKdPdPKidN6hipcub16HIPCUB_304000_NS6detail27convert_result_type_wrapperIS8_S9_N2at6native12_GLOBAL__N_19CustomSumEEEEE10hipError_tPvRmT0_T1_jT2_SQ_T4_T3_P12ihipStream_tbEUlT_E_NS1_11comp_targetILNS1_3genE2ELNS1_11target_archE906ELNS1_3gpuE6ELNS1_3repE0EEENS1_30default_config_static_selectorELNS0_4arch9wavefront6targetE1EEEvSP_.has_dyn_sized_stack, 0
	.set _ZN7rocprim17ROCPRIM_400000_NS6detail17trampoline_kernelINS0_14default_configENS1_32segmented_reduce_config_selectorIdEEZNS1_21segmented_reduce_implIS3_PKdPdPKidN6hipcub16HIPCUB_304000_NS6detail27convert_result_type_wrapperIS8_S9_N2at6native12_GLOBAL__N_19CustomSumEEEEE10hipError_tPvRmT0_T1_jT2_SQ_T4_T3_P12ihipStream_tbEUlT_E_NS1_11comp_targetILNS1_3genE2ELNS1_11target_archE906ELNS1_3gpuE6ELNS1_3repE0EEENS1_30default_config_static_selectorELNS0_4arch9wavefront6targetE1EEEvSP_.has_recursion, 0
	.set _ZN7rocprim17ROCPRIM_400000_NS6detail17trampoline_kernelINS0_14default_configENS1_32segmented_reduce_config_selectorIdEEZNS1_21segmented_reduce_implIS3_PKdPdPKidN6hipcub16HIPCUB_304000_NS6detail27convert_result_type_wrapperIS8_S9_N2at6native12_GLOBAL__N_19CustomSumEEEEE10hipError_tPvRmT0_T1_jT2_SQ_T4_T3_P12ihipStream_tbEUlT_E_NS1_11comp_targetILNS1_3genE2ELNS1_11target_archE906ELNS1_3gpuE6ELNS1_3repE0EEENS1_30default_config_static_selectorELNS0_4arch9wavefront6targetE1EEEvSP_.has_indirect_call, 0
	.section	.AMDGPU.csdata,"",@progbits
; Kernel info:
; codeLenInByte = 2844
; TotalNumSgprs: 38
; NumVgprs: 24
; ScratchSize: 0
; MemoryBound: 1
; FloatMode: 240
; IeeeMode: 1
; LDSByteSize: 32 bytes/workgroup (compile time only)
; SGPRBlocks: 4
; VGPRBlocks: 5
; NumSGPRsForWavesPerEU: 38
; NumVGPRsForWavesPerEU: 24
; Occupancy: 10
; WaveLimiterHint : 1
; COMPUTE_PGM_RSRC2:SCRATCH_EN: 0
; COMPUTE_PGM_RSRC2:USER_SGPR: 6
; COMPUTE_PGM_RSRC2:TRAP_HANDLER: 0
; COMPUTE_PGM_RSRC2:TGID_X_EN: 1
; COMPUTE_PGM_RSRC2:TGID_Y_EN: 0
; COMPUTE_PGM_RSRC2:TGID_Z_EN: 0
; COMPUTE_PGM_RSRC2:TIDIG_COMP_CNT: 0
	.section	.text._ZN7rocprim17ROCPRIM_400000_NS6detail17trampoline_kernelINS0_14default_configENS1_32segmented_reduce_config_selectorIdEEZNS1_21segmented_reduce_implIS3_PKdPdPKidN6hipcub16HIPCUB_304000_NS6detail27convert_result_type_wrapperIS8_S9_N2at6native12_GLOBAL__N_19CustomSumEEEEE10hipError_tPvRmT0_T1_jT2_SQ_T4_T3_P12ihipStream_tbEUlT_E_NS1_11comp_targetILNS1_3genE9ELNS1_11target_archE1100ELNS1_3gpuE3ELNS1_3repE0EEENS1_30default_config_static_selectorELNS0_4arch9wavefront6targetE1EEEvSP_,"axG",@progbits,_ZN7rocprim17ROCPRIM_400000_NS6detail17trampoline_kernelINS0_14default_configENS1_32segmented_reduce_config_selectorIdEEZNS1_21segmented_reduce_implIS3_PKdPdPKidN6hipcub16HIPCUB_304000_NS6detail27convert_result_type_wrapperIS8_S9_N2at6native12_GLOBAL__N_19CustomSumEEEEE10hipError_tPvRmT0_T1_jT2_SQ_T4_T3_P12ihipStream_tbEUlT_E_NS1_11comp_targetILNS1_3genE9ELNS1_11target_archE1100ELNS1_3gpuE3ELNS1_3repE0EEENS1_30default_config_static_selectorELNS0_4arch9wavefront6targetE1EEEvSP_,comdat
	.globl	_ZN7rocprim17ROCPRIM_400000_NS6detail17trampoline_kernelINS0_14default_configENS1_32segmented_reduce_config_selectorIdEEZNS1_21segmented_reduce_implIS3_PKdPdPKidN6hipcub16HIPCUB_304000_NS6detail27convert_result_type_wrapperIS8_S9_N2at6native12_GLOBAL__N_19CustomSumEEEEE10hipError_tPvRmT0_T1_jT2_SQ_T4_T3_P12ihipStream_tbEUlT_E_NS1_11comp_targetILNS1_3genE9ELNS1_11target_archE1100ELNS1_3gpuE3ELNS1_3repE0EEENS1_30default_config_static_selectorELNS0_4arch9wavefront6targetE1EEEvSP_ ; -- Begin function _ZN7rocprim17ROCPRIM_400000_NS6detail17trampoline_kernelINS0_14default_configENS1_32segmented_reduce_config_selectorIdEEZNS1_21segmented_reduce_implIS3_PKdPdPKidN6hipcub16HIPCUB_304000_NS6detail27convert_result_type_wrapperIS8_S9_N2at6native12_GLOBAL__N_19CustomSumEEEEE10hipError_tPvRmT0_T1_jT2_SQ_T4_T3_P12ihipStream_tbEUlT_E_NS1_11comp_targetILNS1_3genE9ELNS1_11target_archE1100ELNS1_3gpuE3ELNS1_3repE0EEENS1_30default_config_static_selectorELNS0_4arch9wavefront6targetE1EEEvSP_
	.p2align	8
	.type	_ZN7rocprim17ROCPRIM_400000_NS6detail17trampoline_kernelINS0_14default_configENS1_32segmented_reduce_config_selectorIdEEZNS1_21segmented_reduce_implIS3_PKdPdPKidN6hipcub16HIPCUB_304000_NS6detail27convert_result_type_wrapperIS8_S9_N2at6native12_GLOBAL__N_19CustomSumEEEEE10hipError_tPvRmT0_T1_jT2_SQ_T4_T3_P12ihipStream_tbEUlT_E_NS1_11comp_targetILNS1_3genE9ELNS1_11target_archE1100ELNS1_3gpuE3ELNS1_3repE0EEENS1_30default_config_static_selectorELNS0_4arch9wavefront6targetE1EEEvSP_,@function
_ZN7rocprim17ROCPRIM_400000_NS6detail17trampoline_kernelINS0_14default_configENS1_32segmented_reduce_config_selectorIdEEZNS1_21segmented_reduce_implIS3_PKdPdPKidN6hipcub16HIPCUB_304000_NS6detail27convert_result_type_wrapperIS8_S9_N2at6native12_GLOBAL__N_19CustomSumEEEEE10hipError_tPvRmT0_T1_jT2_SQ_T4_T3_P12ihipStream_tbEUlT_E_NS1_11comp_targetILNS1_3genE9ELNS1_11target_archE1100ELNS1_3gpuE3ELNS1_3repE0EEENS1_30default_config_static_selectorELNS0_4arch9wavefront6targetE1EEEvSP_: ; @_ZN7rocprim17ROCPRIM_400000_NS6detail17trampoline_kernelINS0_14default_configENS1_32segmented_reduce_config_selectorIdEEZNS1_21segmented_reduce_implIS3_PKdPdPKidN6hipcub16HIPCUB_304000_NS6detail27convert_result_type_wrapperIS8_S9_N2at6native12_GLOBAL__N_19CustomSumEEEEE10hipError_tPvRmT0_T1_jT2_SQ_T4_T3_P12ihipStream_tbEUlT_E_NS1_11comp_targetILNS1_3genE9ELNS1_11target_archE1100ELNS1_3gpuE3ELNS1_3repE0EEENS1_30default_config_static_selectorELNS0_4arch9wavefront6targetE1EEEvSP_
; %bb.0:
	.section	.rodata,"a",@progbits
	.p2align	6, 0x0
	.amdhsa_kernel _ZN7rocprim17ROCPRIM_400000_NS6detail17trampoline_kernelINS0_14default_configENS1_32segmented_reduce_config_selectorIdEEZNS1_21segmented_reduce_implIS3_PKdPdPKidN6hipcub16HIPCUB_304000_NS6detail27convert_result_type_wrapperIS8_S9_N2at6native12_GLOBAL__N_19CustomSumEEEEE10hipError_tPvRmT0_T1_jT2_SQ_T4_T3_P12ihipStream_tbEUlT_E_NS1_11comp_targetILNS1_3genE9ELNS1_11target_archE1100ELNS1_3gpuE3ELNS1_3repE0EEENS1_30default_config_static_selectorELNS0_4arch9wavefront6targetE1EEEvSP_
		.amdhsa_group_segment_fixed_size 0
		.amdhsa_private_segment_fixed_size 0
		.amdhsa_kernarg_size 56
		.amdhsa_user_sgpr_count 6
		.amdhsa_user_sgpr_private_segment_buffer 1
		.amdhsa_user_sgpr_dispatch_ptr 0
		.amdhsa_user_sgpr_queue_ptr 0
		.amdhsa_user_sgpr_kernarg_segment_ptr 1
		.amdhsa_user_sgpr_dispatch_id 0
		.amdhsa_user_sgpr_flat_scratch_init 0
		.amdhsa_user_sgpr_private_segment_size 0
		.amdhsa_uses_dynamic_stack 0
		.amdhsa_system_sgpr_private_segment_wavefront_offset 0
		.amdhsa_system_sgpr_workgroup_id_x 1
		.amdhsa_system_sgpr_workgroup_id_y 0
		.amdhsa_system_sgpr_workgroup_id_z 0
		.amdhsa_system_sgpr_workgroup_info 0
		.amdhsa_system_vgpr_workitem_id 0
		.amdhsa_next_free_vgpr 1
		.amdhsa_next_free_sgpr 0
		.amdhsa_reserve_vcc 0
		.amdhsa_reserve_flat_scratch 0
		.amdhsa_float_round_mode_32 0
		.amdhsa_float_round_mode_16_64 0
		.amdhsa_float_denorm_mode_32 3
		.amdhsa_float_denorm_mode_16_64 3
		.amdhsa_dx10_clamp 1
		.amdhsa_ieee_mode 1
		.amdhsa_fp16_overflow 0
		.amdhsa_exception_fp_ieee_invalid_op 0
		.amdhsa_exception_fp_denorm_src 0
		.amdhsa_exception_fp_ieee_div_zero 0
		.amdhsa_exception_fp_ieee_overflow 0
		.amdhsa_exception_fp_ieee_underflow 0
		.amdhsa_exception_fp_ieee_inexact 0
		.amdhsa_exception_int_div_zero 0
	.end_amdhsa_kernel
	.section	.text._ZN7rocprim17ROCPRIM_400000_NS6detail17trampoline_kernelINS0_14default_configENS1_32segmented_reduce_config_selectorIdEEZNS1_21segmented_reduce_implIS3_PKdPdPKidN6hipcub16HIPCUB_304000_NS6detail27convert_result_type_wrapperIS8_S9_N2at6native12_GLOBAL__N_19CustomSumEEEEE10hipError_tPvRmT0_T1_jT2_SQ_T4_T3_P12ihipStream_tbEUlT_E_NS1_11comp_targetILNS1_3genE9ELNS1_11target_archE1100ELNS1_3gpuE3ELNS1_3repE0EEENS1_30default_config_static_selectorELNS0_4arch9wavefront6targetE1EEEvSP_,"axG",@progbits,_ZN7rocprim17ROCPRIM_400000_NS6detail17trampoline_kernelINS0_14default_configENS1_32segmented_reduce_config_selectorIdEEZNS1_21segmented_reduce_implIS3_PKdPdPKidN6hipcub16HIPCUB_304000_NS6detail27convert_result_type_wrapperIS8_S9_N2at6native12_GLOBAL__N_19CustomSumEEEEE10hipError_tPvRmT0_T1_jT2_SQ_T4_T3_P12ihipStream_tbEUlT_E_NS1_11comp_targetILNS1_3genE9ELNS1_11target_archE1100ELNS1_3gpuE3ELNS1_3repE0EEENS1_30default_config_static_selectorELNS0_4arch9wavefront6targetE1EEEvSP_,comdat
.Lfunc_end23:
	.size	_ZN7rocprim17ROCPRIM_400000_NS6detail17trampoline_kernelINS0_14default_configENS1_32segmented_reduce_config_selectorIdEEZNS1_21segmented_reduce_implIS3_PKdPdPKidN6hipcub16HIPCUB_304000_NS6detail27convert_result_type_wrapperIS8_S9_N2at6native12_GLOBAL__N_19CustomSumEEEEE10hipError_tPvRmT0_T1_jT2_SQ_T4_T3_P12ihipStream_tbEUlT_E_NS1_11comp_targetILNS1_3genE9ELNS1_11target_archE1100ELNS1_3gpuE3ELNS1_3repE0EEENS1_30default_config_static_selectorELNS0_4arch9wavefront6targetE1EEEvSP_, .Lfunc_end23-_ZN7rocprim17ROCPRIM_400000_NS6detail17trampoline_kernelINS0_14default_configENS1_32segmented_reduce_config_selectorIdEEZNS1_21segmented_reduce_implIS3_PKdPdPKidN6hipcub16HIPCUB_304000_NS6detail27convert_result_type_wrapperIS8_S9_N2at6native12_GLOBAL__N_19CustomSumEEEEE10hipError_tPvRmT0_T1_jT2_SQ_T4_T3_P12ihipStream_tbEUlT_E_NS1_11comp_targetILNS1_3genE9ELNS1_11target_archE1100ELNS1_3gpuE3ELNS1_3repE0EEENS1_30default_config_static_selectorELNS0_4arch9wavefront6targetE1EEEvSP_
                                        ; -- End function
	.set _ZN7rocprim17ROCPRIM_400000_NS6detail17trampoline_kernelINS0_14default_configENS1_32segmented_reduce_config_selectorIdEEZNS1_21segmented_reduce_implIS3_PKdPdPKidN6hipcub16HIPCUB_304000_NS6detail27convert_result_type_wrapperIS8_S9_N2at6native12_GLOBAL__N_19CustomSumEEEEE10hipError_tPvRmT0_T1_jT2_SQ_T4_T3_P12ihipStream_tbEUlT_E_NS1_11comp_targetILNS1_3genE9ELNS1_11target_archE1100ELNS1_3gpuE3ELNS1_3repE0EEENS1_30default_config_static_selectorELNS0_4arch9wavefront6targetE1EEEvSP_.num_vgpr, 0
	.set _ZN7rocprim17ROCPRIM_400000_NS6detail17trampoline_kernelINS0_14default_configENS1_32segmented_reduce_config_selectorIdEEZNS1_21segmented_reduce_implIS3_PKdPdPKidN6hipcub16HIPCUB_304000_NS6detail27convert_result_type_wrapperIS8_S9_N2at6native12_GLOBAL__N_19CustomSumEEEEE10hipError_tPvRmT0_T1_jT2_SQ_T4_T3_P12ihipStream_tbEUlT_E_NS1_11comp_targetILNS1_3genE9ELNS1_11target_archE1100ELNS1_3gpuE3ELNS1_3repE0EEENS1_30default_config_static_selectorELNS0_4arch9wavefront6targetE1EEEvSP_.num_agpr, 0
	.set _ZN7rocprim17ROCPRIM_400000_NS6detail17trampoline_kernelINS0_14default_configENS1_32segmented_reduce_config_selectorIdEEZNS1_21segmented_reduce_implIS3_PKdPdPKidN6hipcub16HIPCUB_304000_NS6detail27convert_result_type_wrapperIS8_S9_N2at6native12_GLOBAL__N_19CustomSumEEEEE10hipError_tPvRmT0_T1_jT2_SQ_T4_T3_P12ihipStream_tbEUlT_E_NS1_11comp_targetILNS1_3genE9ELNS1_11target_archE1100ELNS1_3gpuE3ELNS1_3repE0EEENS1_30default_config_static_selectorELNS0_4arch9wavefront6targetE1EEEvSP_.numbered_sgpr, 0
	.set _ZN7rocprim17ROCPRIM_400000_NS6detail17trampoline_kernelINS0_14default_configENS1_32segmented_reduce_config_selectorIdEEZNS1_21segmented_reduce_implIS3_PKdPdPKidN6hipcub16HIPCUB_304000_NS6detail27convert_result_type_wrapperIS8_S9_N2at6native12_GLOBAL__N_19CustomSumEEEEE10hipError_tPvRmT0_T1_jT2_SQ_T4_T3_P12ihipStream_tbEUlT_E_NS1_11comp_targetILNS1_3genE9ELNS1_11target_archE1100ELNS1_3gpuE3ELNS1_3repE0EEENS1_30default_config_static_selectorELNS0_4arch9wavefront6targetE1EEEvSP_.num_named_barrier, 0
	.set _ZN7rocprim17ROCPRIM_400000_NS6detail17trampoline_kernelINS0_14default_configENS1_32segmented_reduce_config_selectorIdEEZNS1_21segmented_reduce_implIS3_PKdPdPKidN6hipcub16HIPCUB_304000_NS6detail27convert_result_type_wrapperIS8_S9_N2at6native12_GLOBAL__N_19CustomSumEEEEE10hipError_tPvRmT0_T1_jT2_SQ_T4_T3_P12ihipStream_tbEUlT_E_NS1_11comp_targetILNS1_3genE9ELNS1_11target_archE1100ELNS1_3gpuE3ELNS1_3repE0EEENS1_30default_config_static_selectorELNS0_4arch9wavefront6targetE1EEEvSP_.private_seg_size, 0
	.set _ZN7rocprim17ROCPRIM_400000_NS6detail17trampoline_kernelINS0_14default_configENS1_32segmented_reduce_config_selectorIdEEZNS1_21segmented_reduce_implIS3_PKdPdPKidN6hipcub16HIPCUB_304000_NS6detail27convert_result_type_wrapperIS8_S9_N2at6native12_GLOBAL__N_19CustomSumEEEEE10hipError_tPvRmT0_T1_jT2_SQ_T4_T3_P12ihipStream_tbEUlT_E_NS1_11comp_targetILNS1_3genE9ELNS1_11target_archE1100ELNS1_3gpuE3ELNS1_3repE0EEENS1_30default_config_static_selectorELNS0_4arch9wavefront6targetE1EEEvSP_.uses_vcc, 0
	.set _ZN7rocprim17ROCPRIM_400000_NS6detail17trampoline_kernelINS0_14default_configENS1_32segmented_reduce_config_selectorIdEEZNS1_21segmented_reduce_implIS3_PKdPdPKidN6hipcub16HIPCUB_304000_NS6detail27convert_result_type_wrapperIS8_S9_N2at6native12_GLOBAL__N_19CustomSumEEEEE10hipError_tPvRmT0_T1_jT2_SQ_T4_T3_P12ihipStream_tbEUlT_E_NS1_11comp_targetILNS1_3genE9ELNS1_11target_archE1100ELNS1_3gpuE3ELNS1_3repE0EEENS1_30default_config_static_selectorELNS0_4arch9wavefront6targetE1EEEvSP_.uses_flat_scratch, 0
	.set _ZN7rocprim17ROCPRIM_400000_NS6detail17trampoline_kernelINS0_14default_configENS1_32segmented_reduce_config_selectorIdEEZNS1_21segmented_reduce_implIS3_PKdPdPKidN6hipcub16HIPCUB_304000_NS6detail27convert_result_type_wrapperIS8_S9_N2at6native12_GLOBAL__N_19CustomSumEEEEE10hipError_tPvRmT0_T1_jT2_SQ_T4_T3_P12ihipStream_tbEUlT_E_NS1_11comp_targetILNS1_3genE9ELNS1_11target_archE1100ELNS1_3gpuE3ELNS1_3repE0EEENS1_30default_config_static_selectorELNS0_4arch9wavefront6targetE1EEEvSP_.has_dyn_sized_stack, 0
	.set _ZN7rocprim17ROCPRIM_400000_NS6detail17trampoline_kernelINS0_14default_configENS1_32segmented_reduce_config_selectorIdEEZNS1_21segmented_reduce_implIS3_PKdPdPKidN6hipcub16HIPCUB_304000_NS6detail27convert_result_type_wrapperIS8_S9_N2at6native12_GLOBAL__N_19CustomSumEEEEE10hipError_tPvRmT0_T1_jT2_SQ_T4_T3_P12ihipStream_tbEUlT_E_NS1_11comp_targetILNS1_3genE9ELNS1_11target_archE1100ELNS1_3gpuE3ELNS1_3repE0EEENS1_30default_config_static_selectorELNS0_4arch9wavefront6targetE1EEEvSP_.has_recursion, 0
	.set _ZN7rocprim17ROCPRIM_400000_NS6detail17trampoline_kernelINS0_14default_configENS1_32segmented_reduce_config_selectorIdEEZNS1_21segmented_reduce_implIS3_PKdPdPKidN6hipcub16HIPCUB_304000_NS6detail27convert_result_type_wrapperIS8_S9_N2at6native12_GLOBAL__N_19CustomSumEEEEE10hipError_tPvRmT0_T1_jT2_SQ_T4_T3_P12ihipStream_tbEUlT_E_NS1_11comp_targetILNS1_3genE9ELNS1_11target_archE1100ELNS1_3gpuE3ELNS1_3repE0EEENS1_30default_config_static_selectorELNS0_4arch9wavefront6targetE1EEEvSP_.has_indirect_call, 0
	.section	.AMDGPU.csdata,"",@progbits
; Kernel info:
; codeLenInByte = 0
; TotalNumSgprs: 4
; NumVgprs: 0
; ScratchSize: 0
; MemoryBound: 0
; FloatMode: 240
; IeeeMode: 1
; LDSByteSize: 0 bytes/workgroup (compile time only)
; SGPRBlocks: 0
; VGPRBlocks: 0
; NumSGPRsForWavesPerEU: 4
; NumVGPRsForWavesPerEU: 1
; Occupancy: 10
; WaveLimiterHint : 0
; COMPUTE_PGM_RSRC2:SCRATCH_EN: 0
; COMPUTE_PGM_RSRC2:USER_SGPR: 6
; COMPUTE_PGM_RSRC2:TRAP_HANDLER: 0
; COMPUTE_PGM_RSRC2:TGID_X_EN: 1
; COMPUTE_PGM_RSRC2:TGID_Y_EN: 0
; COMPUTE_PGM_RSRC2:TGID_Z_EN: 0
; COMPUTE_PGM_RSRC2:TIDIG_COMP_CNT: 0
	.section	.text._ZN7rocprim17ROCPRIM_400000_NS6detail17trampoline_kernelINS0_14default_configENS1_32segmented_reduce_config_selectorIdEEZNS1_21segmented_reduce_implIS3_PKdPdPKidN6hipcub16HIPCUB_304000_NS6detail27convert_result_type_wrapperIS8_S9_N2at6native12_GLOBAL__N_19CustomSumEEEEE10hipError_tPvRmT0_T1_jT2_SQ_T4_T3_P12ihipStream_tbEUlT_E_NS1_11comp_targetILNS1_3genE8ELNS1_11target_archE1030ELNS1_3gpuE2ELNS1_3repE0EEENS1_30default_config_static_selectorELNS0_4arch9wavefront6targetE1EEEvSP_,"axG",@progbits,_ZN7rocprim17ROCPRIM_400000_NS6detail17trampoline_kernelINS0_14default_configENS1_32segmented_reduce_config_selectorIdEEZNS1_21segmented_reduce_implIS3_PKdPdPKidN6hipcub16HIPCUB_304000_NS6detail27convert_result_type_wrapperIS8_S9_N2at6native12_GLOBAL__N_19CustomSumEEEEE10hipError_tPvRmT0_T1_jT2_SQ_T4_T3_P12ihipStream_tbEUlT_E_NS1_11comp_targetILNS1_3genE8ELNS1_11target_archE1030ELNS1_3gpuE2ELNS1_3repE0EEENS1_30default_config_static_selectorELNS0_4arch9wavefront6targetE1EEEvSP_,comdat
	.globl	_ZN7rocprim17ROCPRIM_400000_NS6detail17trampoline_kernelINS0_14default_configENS1_32segmented_reduce_config_selectorIdEEZNS1_21segmented_reduce_implIS3_PKdPdPKidN6hipcub16HIPCUB_304000_NS6detail27convert_result_type_wrapperIS8_S9_N2at6native12_GLOBAL__N_19CustomSumEEEEE10hipError_tPvRmT0_T1_jT2_SQ_T4_T3_P12ihipStream_tbEUlT_E_NS1_11comp_targetILNS1_3genE8ELNS1_11target_archE1030ELNS1_3gpuE2ELNS1_3repE0EEENS1_30default_config_static_selectorELNS0_4arch9wavefront6targetE1EEEvSP_ ; -- Begin function _ZN7rocprim17ROCPRIM_400000_NS6detail17trampoline_kernelINS0_14default_configENS1_32segmented_reduce_config_selectorIdEEZNS1_21segmented_reduce_implIS3_PKdPdPKidN6hipcub16HIPCUB_304000_NS6detail27convert_result_type_wrapperIS8_S9_N2at6native12_GLOBAL__N_19CustomSumEEEEE10hipError_tPvRmT0_T1_jT2_SQ_T4_T3_P12ihipStream_tbEUlT_E_NS1_11comp_targetILNS1_3genE8ELNS1_11target_archE1030ELNS1_3gpuE2ELNS1_3repE0EEENS1_30default_config_static_selectorELNS0_4arch9wavefront6targetE1EEEvSP_
	.p2align	8
	.type	_ZN7rocprim17ROCPRIM_400000_NS6detail17trampoline_kernelINS0_14default_configENS1_32segmented_reduce_config_selectorIdEEZNS1_21segmented_reduce_implIS3_PKdPdPKidN6hipcub16HIPCUB_304000_NS6detail27convert_result_type_wrapperIS8_S9_N2at6native12_GLOBAL__N_19CustomSumEEEEE10hipError_tPvRmT0_T1_jT2_SQ_T4_T3_P12ihipStream_tbEUlT_E_NS1_11comp_targetILNS1_3genE8ELNS1_11target_archE1030ELNS1_3gpuE2ELNS1_3repE0EEENS1_30default_config_static_selectorELNS0_4arch9wavefront6targetE1EEEvSP_,@function
_ZN7rocprim17ROCPRIM_400000_NS6detail17trampoline_kernelINS0_14default_configENS1_32segmented_reduce_config_selectorIdEEZNS1_21segmented_reduce_implIS3_PKdPdPKidN6hipcub16HIPCUB_304000_NS6detail27convert_result_type_wrapperIS8_S9_N2at6native12_GLOBAL__N_19CustomSumEEEEE10hipError_tPvRmT0_T1_jT2_SQ_T4_T3_P12ihipStream_tbEUlT_E_NS1_11comp_targetILNS1_3genE8ELNS1_11target_archE1030ELNS1_3gpuE2ELNS1_3repE0EEENS1_30default_config_static_selectorELNS0_4arch9wavefront6targetE1EEEvSP_: ; @_ZN7rocprim17ROCPRIM_400000_NS6detail17trampoline_kernelINS0_14default_configENS1_32segmented_reduce_config_selectorIdEEZNS1_21segmented_reduce_implIS3_PKdPdPKidN6hipcub16HIPCUB_304000_NS6detail27convert_result_type_wrapperIS8_S9_N2at6native12_GLOBAL__N_19CustomSumEEEEE10hipError_tPvRmT0_T1_jT2_SQ_T4_T3_P12ihipStream_tbEUlT_E_NS1_11comp_targetILNS1_3genE8ELNS1_11target_archE1030ELNS1_3gpuE2ELNS1_3repE0EEENS1_30default_config_static_selectorELNS0_4arch9wavefront6targetE1EEEvSP_
; %bb.0:
	.section	.rodata,"a",@progbits
	.p2align	6, 0x0
	.amdhsa_kernel _ZN7rocprim17ROCPRIM_400000_NS6detail17trampoline_kernelINS0_14default_configENS1_32segmented_reduce_config_selectorIdEEZNS1_21segmented_reduce_implIS3_PKdPdPKidN6hipcub16HIPCUB_304000_NS6detail27convert_result_type_wrapperIS8_S9_N2at6native12_GLOBAL__N_19CustomSumEEEEE10hipError_tPvRmT0_T1_jT2_SQ_T4_T3_P12ihipStream_tbEUlT_E_NS1_11comp_targetILNS1_3genE8ELNS1_11target_archE1030ELNS1_3gpuE2ELNS1_3repE0EEENS1_30default_config_static_selectorELNS0_4arch9wavefront6targetE1EEEvSP_
		.amdhsa_group_segment_fixed_size 0
		.amdhsa_private_segment_fixed_size 0
		.amdhsa_kernarg_size 56
		.amdhsa_user_sgpr_count 6
		.amdhsa_user_sgpr_private_segment_buffer 1
		.amdhsa_user_sgpr_dispatch_ptr 0
		.amdhsa_user_sgpr_queue_ptr 0
		.amdhsa_user_sgpr_kernarg_segment_ptr 1
		.amdhsa_user_sgpr_dispatch_id 0
		.amdhsa_user_sgpr_flat_scratch_init 0
		.amdhsa_user_sgpr_private_segment_size 0
		.amdhsa_uses_dynamic_stack 0
		.amdhsa_system_sgpr_private_segment_wavefront_offset 0
		.amdhsa_system_sgpr_workgroup_id_x 1
		.amdhsa_system_sgpr_workgroup_id_y 0
		.amdhsa_system_sgpr_workgroup_id_z 0
		.amdhsa_system_sgpr_workgroup_info 0
		.amdhsa_system_vgpr_workitem_id 0
		.amdhsa_next_free_vgpr 1
		.amdhsa_next_free_sgpr 0
		.amdhsa_reserve_vcc 0
		.amdhsa_reserve_flat_scratch 0
		.amdhsa_float_round_mode_32 0
		.amdhsa_float_round_mode_16_64 0
		.amdhsa_float_denorm_mode_32 3
		.amdhsa_float_denorm_mode_16_64 3
		.amdhsa_dx10_clamp 1
		.amdhsa_ieee_mode 1
		.amdhsa_fp16_overflow 0
		.amdhsa_exception_fp_ieee_invalid_op 0
		.amdhsa_exception_fp_denorm_src 0
		.amdhsa_exception_fp_ieee_div_zero 0
		.amdhsa_exception_fp_ieee_overflow 0
		.amdhsa_exception_fp_ieee_underflow 0
		.amdhsa_exception_fp_ieee_inexact 0
		.amdhsa_exception_int_div_zero 0
	.end_amdhsa_kernel
	.section	.text._ZN7rocprim17ROCPRIM_400000_NS6detail17trampoline_kernelINS0_14default_configENS1_32segmented_reduce_config_selectorIdEEZNS1_21segmented_reduce_implIS3_PKdPdPKidN6hipcub16HIPCUB_304000_NS6detail27convert_result_type_wrapperIS8_S9_N2at6native12_GLOBAL__N_19CustomSumEEEEE10hipError_tPvRmT0_T1_jT2_SQ_T4_T3_P12ihipStream_tbEUlT_E_NS1_11comp_targetILNS1_3genE8ELNS1_11target_archE1030ELNS1_3gpuE2ELNS1_3repE0EEENS1_30default_config_static_selectorELNS0_4arch9wavefront6targetE1EEEvSP_,"axG",@progbits,_ZN7rocprim17ROCPRIM_400000_NS6detail17trampoline_kernelINS0_14default_configENS1_32segmented_reduce_config_selectorIdEEZNS1_21segmented_reduce_implIS3_PKdPdPKidN6hipcub16HIPCUB_304000_NS6detail27convert_result_type_wrapperIS8_S9_N2at6native12_GLOBAL__N_19CustomSumEEEEE10hipError_tPvRmT0_T1_jT2_SQ_T4_T3_P12ihipStream_tbEUlT_E_NS1_11comp_targetILNS1_3genE8ELNS1_11target_archE1030ELNS1_3gpuE2ELNS1_3repE0EEENS1_30default_config_static_selectorELNS0_4arch9wavefront6targetE1EEEvSP_,comdat
.Lfunc_end24:
	.size	_ZN7rocprim17ROCPRIM_400000_NS6detail17trampoline_kernelINS0_14default_configENS1_32segmented_reduce_config_selectorIdEEZNS1_21segmented_reduce_implIS3_PKdPdPKidN6hipcub16HIPCUB_304000_NS6detail27convert_result_type_wrapperIS8_S9_N2at6native12_GLOBAL__N_19CustomSumEEEEE10hipError_tPvRmT0_T1_jT2_SQ_T4_T3_P12ihipStream_tbEUlT_E_NS1_11comp_targetILNS1_3genE8ELNS1_11target_archE1030ELNS1_3gpuE2ELNS1_3repE0EEENS1_30default_config_static_selectorELNS0_4arch9wavefront6targetE1EEEvSP_, .Lfunc_end24-_ZN7rocprim17ROCPRIM_400000_NS6detail17trampoline_kernelINS0_14default_configENS1_32segmented_reduce_config_selectorIdEEZNS1_21segmented_reduce_implIS3_PKdPdPKidN6hipcub16HIPCUB_304000_NS6detail27convert_result_type_wrapperIS8_S9_N2at6native12_GLOBAL__N_19CustomSumEEEEE10hipError_tPvRmT0_T1_jT2_SQ_T4_T3_P12ihipStream_tbEUlT_E_NS1_11comp_targetILNS1_3genE8ELNS1_11target_archE1030ELNS1_3gpuE2ELNS1_3repE0EEENS1_30default_config_static_selectorELNS0_4arch9wavefront6targetE1EEEvSP_
                                        ; -- End function
	.set _ZN7rocprim17ROCPRIM_400000_NS6detail17trampoline_kernelINS0_14default_configENS1_32segmented_reduce_config_selectorIdEEZNS1_21segmented_reduce_implIS3_PKdPdPKidN6hipcub16HIPCUB_304000_NS6detail27convert_result_type_wrapperIS8_S9_N2at6native12_GLOBAL__N_19CustomSumEEEEE10hipError_tPvRmT0_T1_jT2_SQ_T4_T3_P12ihipStream_tbEUlT_E_NS1_11comp_targetILNS1_3genE8ELNS1_11target_archE1030ELNS1_3gpuE2ELNS1_3repE0EEENS1_30default_config_static_selectorELNS0_4arch9wavefront6targetE1EEEvSP_.num_vgpr, 0
	.set _ZN7rocprim17ROCPRIM_400000_NS6detail17trampoline_kernelINS0_14default_configENS1_32segmented_reduce_config_selectorIdEEZNS1_21segmented_reduce_implIS3_PKdPdPKidN6hipcub16HIPCUB_304000_NS6detail27convert_result_type_wrapperIS8_S9_N2at6native12_GLOBAL__N_19CustomSumEEEEE10hipError_tPvRmT0_T1_jT2_SQ_T4_T3_P12ihipStream_tbEUlT_E_NS1_11comp_targetILNS1_3genE8ELNS1_11target_archE1030ELNS1_3gpuE2ELNS1_3repE0EEENS1_30default_config_static_selectorELNS0_4arch9wavefront6targetE1EEEvSP_.num_agpr, 0
	.set _ZN7rocprim17ROCPRIM_400000_NS6detail17trampoline_kernelINS0_14default_configENS1_32segmented_reduce_config_selectorIdEEZNS1_21segmented_reduce_implIS3_PKdPdPKidN6hipcub16HIPCUB_304000_NS6detail27convert_result_type_wrapperIS8_S9_N2at6native12_GLOBAL__N_19CustomSumEEEEE10hipError_tPvRmT0_T1_jT2_SQ_T4_T3_P12ihipStream_tbEUlT_E_NS1_11comp_targetILNS1_3genE8ELNS1_11target_archE1030ELNS1_3gpuE2ELNS1_3repE0EEENS1_30default_config_static_selectorELNS0_4arch9wavefront6targetE1EEEvSP_.numbered_sgpr, 0
	.set _ZN7rocprim17ROCPRIM_400000_NS6detail17trampoline_kernelINS0_14default_configENS1_32segmented_reduce_config_selectorIdEEZNS1_21segmented_reduce_implIS3_PKdPdPKidN6hipcub16HIPCUB_304000_NS6detail27convert_result_type_wrapperIS8_S9_N2at6native12_GLOBAL__N_19CustomSumEEEEE10hipError_tPvRmT0_T1_jT2_SQ_T4_T3_P12ihipStream_tbEUlT_E_NS1_11comp_targetILNS1_3genE8ELNS1_11target_archE1030ELNS1_3gpuE2ELNS1_3repE0EEENS1_30default_config_static_selectorELNS0_4arch9wavefront6targetE1EEEvSP_.num_named_barrier, 0
	.set _ZN7rocprim17ROCPRIM_400000_NS6detail17trampoline_kernelINS0_14default_configENS1_32segmented_reduce_config_selectorIdEEZNS1_21segmented_reduce_implIS3_PKdPdPKidN6hipcub16HIPCUB_304000_NS6detail27convert_result_type_wrapperIS8_S9_N2at6native12_GLOBAL__N_19CustomSumEEEEE10hipError_tPvRmT0_T1_jT2_SQ_T4_T3_P12ihipStream_tbEUlT_E_NS1_11comp_targetILNS1_3genE8ELNS1_11target_archE1030ELNS1_3gpuE2ELNS1_3repE0EEENS1_30default_config_static_selectorELNS0_4arch9wavefront6targetE1EEEvSP_.private_seg_size, 0
	.set _ZN7rocprim17ROCPRIM_400000_NS6detail17trampoline_kernelINS0_14default_configENS1_32segmented_reduce_config_selectorIdEEZNS1_21segmented_reduce_implIS3_PKdPdPKidN6hipcub16HIPCUB_304000_NS6detail27convert_result_type_wrapperIS8_S9_N2at6native12_GLOBAL__N_19CustomSumEEEEE10hipError_tPvRmT0_T1_jT2_SQ_T4_T3_P12ihipStream_tbEUlT_E_NS1_11comp_targetILNS1_3genE8ELNS1_11target_archE1030ELNS1_3gpuE2ELNS1_3repE0EEENS1_30default_config_static_selectorELNS0_4arch9wavefront6targetE1EEEvSP_.uses_vcc, 0
	.set _ZN7rocprim17ROCPRIM_400000_NS6detail17trampoline_kernelINS0_14default_configENS1_32segmented_reduce_config_selectorIdEEZNS1_21segmented_reduce_implIS3_PKdPdPKidN6hipcub16HIPCUB_304000_NS6detail27convert_result_type_wrapperIS8_S9_N2at6native12_GLOBAL__N_19CustomSumEEEEE10hipError_tPvRmT0_T1_jT2_SQ_T4_T3_P12ihipStream_tbEUlT_E_NS1_11comp_targetILNS1_3genE8ELNS1_11target_archE1030ELNS1_3gpuE2ELNS1_3repE0EEENS1_30default_config_static_selectorELNS0_4arch9wavefront6targetE1EEEvSP_.uses_flat_scratch, 0
	.set _ZN7rocprim17ROCPRIM_400000_NS6detail17trampoline_kernelINS0_14default_configENS1_32segmented_reduce_config_selectorIdEEZNS1_21segmented_reduce_implIS3_PKdPdPKidN6hipcub16HIPCUB_304000_NS6detail27convert_result_type_wrapperIS8_S9_N2at6native12_GLOBAL__N_19CustomSumEEEEE10hipError_tPvRmT0_T1_jT2_SQ_T4_T3_P12ihipStream_tbEUlT_E_NS1_11comp_targetILNS1_3genE8ELNS1_11target_archE1030ELNS1_3gpuE2ELNS1_3repE0EEENS1_30default_config_static_selectorELNS0_4arch9wavefront6targetE1EEEvSP_.has_dyn_sized_stack, 0
	.set _ZN7rocprim17ROCPRIM_400000_NS6detail17trampoline_kernelINS0_14default_configENS1_32segmented_reduce_config_selectorIdEEZNS1_21segmented_reduce_implIS3_PKdPdPKidN6hipcub16HIPCUB_304000_NS6detail27convert_result_type_wrapperIS8_S9_N2at6native12_GLOBAL__N_19CustomSumEEEEE10hipError_tPvRmT0_T1_jT2_SQ_T4_T3_P12ihipStream_tbEUlT_E_NS1_11comp_targetILNS1_3genE8ELNS1_11target_archE1030ELNS1_3gpuE2ELNS1_3repE0EEENS1_30default_config_static_selectorELNS0_4arch9wavefront6targetE1EEEvSP_.has_recursion, 0
	.set _ZN7rocprim17ROCPRIM_400000_NS6detail17trampoline_kernelINS0_14default_configENS1_32segmented_reduce_config_selectorIdEEZNS1_21segmented_reduce_implIS3_PKdPdPKidN6hipcub16HIPCUB_304000_NS6detail27convert_result_type_wrapperIS8_S9_N2at6native12_GLOBAL__N_19CustomSumEEEEE10hipError_tPvRmT0_T1_jT2_SQ_T4_T3_P12ihipStream_tbEUlT_E_NS1_11comp_targetILNS1_3genE8ELNS1_11target_archE1030ELNS1_3gpuE2ELNS1_3repE0EEENS1_30default_config_static_selectorELNS0_4arch9wavefront6targetE1EEEvSP_.has_indirect_call, 0
	.section	.AMDGPU.csdata,"",@progbits
; Kernel info:
; codeLenInByte = 0
; TotalNumSgprs: 4
; NumVgprs: 0
; ScratchSize: 0
; MemoryBound: 0
; FloatMode: 240
; IeeeMode: 1
; LDSByteSize: 0 bytes/workgroup (compile time only)
; SGPRBlocks: 0
; VGPRBlocks: 0
; NumSGPRsForWavesPerEU: 4
; NumVGPRsForWavesPerEU: 1
; Occupancy: 10
; WaveLimiterHint : 0
; COMPUTE_PGM_RSRC2:SCRATCH_EN: 0
; COMPUTE_PGM_RSRC2:USER_SGPR: 6
; COMPUTE_PGM_RSRC2:TRAP_HANDLER: 0
; COMPUTE_PGM_RSRC2:TGID_X_EN: 1
; COMPUTE_PGM_RSRC2:TGID_Y_EN: 0
; COMPUTE_PGM_RSRC2:TGID_Z_EN: 0
; COMPUTE_PGM_RSRC2:TIDIG_COMP_CNT: 0
	.section	.text._ZN2at6native12_GLOBAL__N_119post_sum_div_kernelIdiEEvPT_PKT0_lbS3_,"axG",@progbits,_ZN2at6native12_GLOBAL__N_119post_sum_div_kernelIdiEEvPT_PKT0_lbS3_,comdat
	.globl	_ZN2at6native12_GLOBAL__N_119post_sum_div_kernelIdiEEvPT_PKT0_lbS3_ ; -- Begin function _ZN2at6native12_GLOBAL__N_119post_sum_div_kernelIdiEEvPT_PKT0_lbS3_
	.p2align	8
	.type	_ZN2at6native12_GLOBAL__N_119post_sum_div_kernelIdiEEvPT_PKT0_lbS3_,@function
_ZN2at6native12_GLOBAL__N_119post_sum_div_kernelIdiEEvPT_PKT0_lbS3_: ; @_ZN2at6native12_GLOBAL__N_119post_sum_div_kernelIdiEEvPT_PKT0_lbS3_
; %bb.0:
	s_load_dword s7, s[4:5], 0x34
	s_load_dwordx2 s[2:3], s[4:5], 0x10
	s_add_u32 s0, s4, 40
	s_addc_u32 s1, s5, 0
	v_mov_b32_e32 v1, 0
	s_waitcnt lgkmcnt(0)
	s_and_b32 s7, s7, 0xffff
	v_mov_b32_e32 v2, s6
	v_mad_u64_u32 v[2:3], s[8:9], s7, v2, v[0:1]
	v_cmp_gt_i64_e32 vcc, s[2:3], v[2:3]
	s_and_saveexec_b64 s[8:9], vcc
	s_cbranch_execz .LBB25_12
; %bb.1:
	s_load_dword s6, s[4:5], 0x18
	s_load_dword s14, s[0:1], 0x0
	s_load_dwordx2 s[12:13], s[4:5], 0x20
	s_load_dwordx4 s[8:11], s[4:5], 0x0
	v_mov_b32_e32 v0, v1
	s_waitcnt lgkmcnt(0)
	s_bitcmp1_b32 s6, 0
	s_mul_i32 s24, s14, s7
	s_cselect_b32 s5, s13, 0x7ff80000
	s_cselect_b32 s4, s12, 0
	v_mov_b32_e32 v1, v2
	s_mov_b32 s25, s24
	s_mov_b64 s[6:7], 0
	v_mov_b32_e32 v10, s11
                                        ; implicit-def: $sgpr12_sgpr13
                                        ; implicit-def: $sgpr16_sgpr17
                                        ; implicit-def: $sgpr14_sgpr15
.LBB25_2:                               ; =>This Inner Loop Header: Depth=1
	v_ashrrev_i64 v[4:5], 30, v[0:1]
	s_or_b64 s[14:15], s[14:15], exec
	v_add_co_u32_e32 v4, vcc, s10, v4
	v_addc_co_u32_e32 v5, vcc, v10, v5, vcc
	global_load_dword v11, v[4:5], off
	s_or_b64 s[16:17], s[16:17], exec
	s_waitcnt vmcnt(0)
	v_cmp_lt_i32_e32 vcc, -1, v11
	s_and_saveexec_b64 s[18:19], vcc
	s_cbranch_execz .LBB25_10
; %bb.3:                                ;   in Loop: Header=BB25_2 Depth=1
	v_ashrrev_i32_e32 v5, 31, v1
	v_mov_b32_e32 v4, v1
	v_lshlrev_b64 v[4:5], 3, v[4:5]
	v_mov_b32_e32 v6, s9
	v_add_co_u32_e64 v4, s[0:1], s8, v4
	v_addc_co_u32_e64 v5, s[0:1], v6, v5, s[0:1]
	v_mov_b32_e32 v7, s5
	v_cmp_ne_u32_e32 vcc, 0, v11
	s_mov_b64 s[20:21], -1
	v_mov_b32_e32 v6, s4
	s_and_saveexec_b64 s[0:1], vcc
	s_cbranch_execz .LBB25_7
; %bb.4:                                ;   in Loop: Header=BB25_2 Depth=1
	global_load_dwordx2 v[8:9], v[4:5], off
	s_mov_b64 s[20:21], 0
                                        ; implicit-def: $vgpr6_vgpr7
	s_waitcnt vmcnt(0)
	v_cmp_o_f64_e32 vcc, v[8:9], v[8:9]
	s_and_saveexec_b64 s[22:23], vcc
	s_cbranch_execz .LBB25_6
; %bb.5:                                ;   in Loop: Header=BB25_2 Depth=1
	v_cvt_f64_u32_e32 v[6:7], v11
	s_mov_b64 s[20:21], exec
	v_div_scale_f64 v[11:12], s[26:27], v[6:7], v[6:7], v[8:9]
	v_div_scale_f64 v[17:18], vcc, v[8:9], v[6:7], v[8:9]
	v_rcp_f64_e32 v[13:14], v[11:12]
	v_fma_f64 v[15:16], -v[11:12], v[13:14], 1.0
	v_fma_f64 v[13:14], v[13:14], v[15:16], v[13:14]
	v_fma_f64 v[15:16], -v[11:12], v[13:14], 1.0
	v_fma_f64 v[13:14], v[13:14], v[15:16], v[13:14]
	v_mul_f64 v[15:16], v[17:18], v[13:14]
	v_fma_f64 v[11:12], -v[11:12], v[15:16], v[17:18]
	v_div_fmas_f64 v[11:12], v[11:12], v[13:14], v[15:16]
	v_div_fixup_f64 v[6:7], v[11:12], v[6:7], v[8:9]
.LBB25_6:                               ;   in Loop: Header=BB25_2 Depth=1
	s_or_b64 exec, exec, s[22:23]
	s_orn2_b64 s[20:21], s[20:21], exec
.LBB25_7:                               ;   in Loop: Header=BB25_2 Depth=1
	s_or_b64 exec, exec, s[0:1]
	s_and_saveexec_b64 s[0:1], s[20:21]
	s_cbranch_execz .LBB25_9
; %bb.8:                                ;   in Loop: Header=BB25_2 Depth=1
	global_store_dwordx2 v[4:5], v[6:7], off
.LBB25_9:                               ;   in Loop: Header=BB25_2 Depth=1
	s_or_b64 exec, exec, s[0:1]
	v_add_co_u32_e32 v2, vcc, s24, v2
	v_addc_co_u32_e32 v3, vcc, 0, v3, vcc
	v_mov_b32_e32 v4, s25
	v_add_co_u32_e32 v0, vcc, 0, v0
	v_addc_co_u32_e32 v1, vcc, v1, v4, vcc
	v_cmp_le_i64_e32 vcc, s[2:3], v[2:3]
	s_andn2_b64 s[0:1], s[16:17], exec
	s_and_b64 s[16:17], vcc, exec
	s_andn2_b64 s[14:15], s[14:15], exec
	s_or_b64 s[16:17], s[0:1], s[16:17]
.LBB25_10:                              ;   in Loop: Header=BB25_2 Depth=1
	s_or_b64 exec, exec, s[18:19]
	s_and_b64 s[0:1], exec, s[16:17]
	s_or_b64 s[6:7], s[0:1], s[6:7]
	s_andn2_b64 s[0:1], s[12:13], exec
	s_and_b64 s[12:13], s[14:15], exec
	s_or_b64 s[12:13], s[0:1], s[12:13]
	s_andn2_b64 exec, exec, s[6:7]
	s_cbranch_execnz .LBB25_2
; %bb.11:
	s_or_b64 exec, exec, s[6:7]
	s_and_saveexec_b64 s[0:1], s[12:13]
	s_xor_b64 s[0:1], exec, s[0:1]
	s_cbranch_execnz .LBB25_13
.LBB25_12:
	s_endpgm
.LBB25_13:
	s_trap 2
	; divergent unreachable
	s_endpgm
	.section	.rodata,"a",@progbits
	.p2align	6, 0x0
	.amdhsa_kernel _ZN2at6native12_GLOBAL__N_119post_sum_div_kernelIdiEEvPT_PKT0_lbS3_
		.amdhsa_group_segment_fixed_size 0
		.amdhsa_private_segment_fixed_size 0
		.amdhsa_kernarg_size 296
		.amdhsa_user_sgpr_count 6
		.amdhsa_user_sgpr_private_segment_buffer 1
		.amdhsa_user_sgpr_dispatch_ptr 0
		.amdhsa_user_sgpr_queue_ptr 0
		.amdhsa_user_sgpr_kernarg_segment_ptr 1
		.amdhsa_user_sgpr_dispatch_id 0
		.amdhsa_user_sgpr_flat_scratch_init 0
		.amdhsa_user_sgpr_private_segment_size 0
		.amdhsa_uses_dynamic_stack 0
		.amdhsa_system_sgpr_private_segment_wavefront_offset 0
		.amdhsa_system_sgpr_workgroup_id_x 1
		.amdhsa_system_sgpr_workgroup_id_y 0
		.amdhsa_system_sgpr_workgroup_id_z 0
		.amdhsa_system_sgpr_workgroup_info 0
		.amdhsa_system_vgpr_workitem_id 0
		.amdhsa_next_free_vgpr 19
		.amdhsa_next_free_sgpr 28
		.amdhsa_reserve_vcc 1
		.amdhsa_reserve_flat_scratch 0
		.amdhsa_float_round_mode_32 0
		.amdhsa_float_round_mode_16_64 0
		.amdhsa_float_denorm_mode_32 3
		.amdhsa_float_denorm_mode_16_64 3
		.amdhsa_dx10_clamp 1
		.amdhsa_ieee_mode 1
		.amdhsa_fp16_overflow 0
		.amdhsa_exception_fp_ieee_invalid_op 0
		.amdhsa_exception_fp_denorm_src 0
		.amdhsa_exception_fp_ieee_div_zero 0
		.amdhsa_exception_fp_ieee_overflow 0
		.amdhsa_exception_fp_ieee_underflow 0
		.amdhsa_exception_fp_ieee_inexact 0
		.amdhsa_exception_int_div_zero 0
	.end_amdhsa_kernel
	.section	.text._ZN2at6native12_GLOBAL__N_119post_sum_div_kernelIdiEEvPT_PKT0_lbS3_,"axG",@progbits,_ZN2at6native12_GLOBAL__N_119post_sum_div_kernelIdiEEvPT_PKT0_lbS3_,comdat
.Lfunc_end25:
	.size	_ZN2at6native12_GLOBAL__N_119post_sum_div_kernelIdiEEvPT_PKT0_lbS3_, .Lfunc_end25-_ZN2at6native12_GLOBAL__N_119post_sum_div_kernelIdiEEvPT_PKT0_lbS3_
                                        ; -- End function
	.set _ZN2at6native12_GLOBAL__N_119post_sum_div_kernelIdiEEvPT_PKT0_lbS3_.num_vgpr, 19
	.set _ZN2at6native12_GLOBAL__N_119post_sum_div_kernelIdiEEvPT_PKT0_lbS3_.num_agpr, 0
	.set _ZN2at6native12_GLOBAL__N_119post_sum_div_kernelIdiEEvPT_PKT0_lbS3_.numbered_sgpr, 28
	.set _ZN2at6native12_GLOBAL__N_119post_sum_div_kernelIdiEEvPT_PKT0_lbS3_.num_named_barrier, 0
	.set _ZN2at6native12_GLOBAL__N_119post_sum_div_kernelIdiEEvPT_PKT0_lbS3_.private_seg_size, 0
	.set _ZN2at6native12_GLOBAL__N_119post_sum_div_kernelIdiEEvPT_PKT0_lbS3_.uses_vcc, 1
	.set _ZN2at6native12_GLOBAL__N_119post_sum_div_kernelIdiEEvPT_PKT0_lbS3_.uses_flat_scratch, 0
	.set _ZN2at6native12_GLOBAL__N_119post_sum_div_kernelIdiEEvPT_PKT0_lbS3_.has_dyn_sized_stack, 0
	.set _ZN2at6native12_GLOBAL__N_119post_sum_div_kernelIdiEEvPT_PKT0_lbS3_.has_recursion, 0
	.set _ZN2at6native12_GLOBAL__N_119post_sum_div_kernelIdiEEvPT_PKT0_lbS3_.has_indirect_call, 0
	.section	.AMDGPU.csdata,"",@progbits
; Kernel info:
; codeLenInByte = 500
; TotalNumSgprs: 32
; NumVgprs: 19
; ScratchSize: 0
; MemoryBound: 0
; FloatMode: 240
; IeeeMode: 1
; LDSByteSize: 0 bytes/workgroup (compile time only)
; SGPRBlocks: 3
; VGPRBlocks: 4
; NumSGPRsForWavesPerEU: 32
; NumVGPRsForWavesPerEU: 19
; Occupancy: 10
; WaveLimiterHint : 0
; COMPUTE_PGM_RSRC2:SCRATCH_EN: 0
; COMPUTE_PGM_RSRC2:USER_SGPR: 6
; COMPUTE_PGM_RSRC2:TRAP_HANDLER: 0
; COMPUTE_PGM_RSRC2:TGID_X_EN: 1
; COMPUTE_PGM_RSRC2:TGID_Y_EN: 0
; COMPUTE_PGM_RSRC2:TGID_Z_EN: 0
; COMPUTE_PGM_RSRC2:TIDIG_COMP_CNT: 0
	.section	.text._ZN7rocprim17ROCPRIM_400000_NS6detail17trampoline_kernelINS0_14default_configENS1_32segmented_reduce_config_selectorIdEEZNS1_21segmented_reduce_implIS3_PKdPdPKidN6hipcub16HIPCUB_304000_NS6detail27convert_result_type_wrapperIS8_S9_N2at6native12_GLOBAL__N_19CustomMinEEEEE10hipError_tPvRmT0_T1_jT2_SQ_T4_T3_P12ihipStream_tbEUlT_E_NS1_11comp_targetILNS1_3genE0ELNS1_11target_archE4294967295ELNS1_3gpuE0ELNS1_3repE0EEENS1_30default_config_static_selectorELNS0_4arch9wavefront6targetE1EEEvSP_,"axG",@progbits,_ZN7rocprim17ROCPRIM_400000_NS6detail17trampoline_kernelINS0_14default_configENS1_32segmented_reduce_config_selectorIdEEZNS1_21segmented_reduce_implIS3_PKdPdPKidN6hipcub16HIPCUB_304000_NS6detail27convert_result_type_wrapperIS8_S9_N2at6native12_GLOBAL__N_19CustomMinEEEEE10hipError_tPvRmT0_T1_jT2_SQ_T4_T3_P12ihipStream_tbEUlT_E_NS1_11comp_targetILNS1_3genE0ELNS1_11target_archE4294967295ELNS1_3gpuE0ELNS1_3repE0EEENS1_30default_config_static_selectorELNS0_4arch9wavefront6targetE1EEEvSP_,comdat
	.globl	_ZN7rocprim17ROCPRIM_400000_NS6detail17trampoline_kernelINS0_14default_configENS1_32segmented_reduce_config_selectorIdEEZNS1_21segmented_reduce_implIS3_PKdPdPKidN6hipcub16HIPCUB_304000_NS6detail27convert_result_type_wrapperIS8_S9_N2at6native12_GLOBAL__N_19CustomMinEEEEE10hipError_tPvRmT0_T1_jT2_SQ_T4_T3_P12ihipStream_tbEUlT_E_NS1_11comp_targetILNS1_3genE0ELNS1_11target_archE4294967295ELNS1_3gpuE0ELNS1_3repE0EEENS1_30default_config_static_selectorELNS0_4arch9wavefront6targetE1EEEvSP_ ; -- Begin function _ZN7rocprim17ROCPRIM_400000_NS6detail17trampoline_kernelINS0_14default_configENS1_32segmented_reduce_config_selectorIdEEZNS1_21segmented_reduce_implIS3_PKdPdPKidN6hipcub16HIPCUB_304000_NS6detail27convert_result_type_wrapperIS8_S9_N2at6native12_GLOBAL__N_19CustomMinEEEEE10hipError_tPvRmT0_T1_jT2_SQ_T4_T3_P12ihipStream_tbEUlT_E_NS1_11comp_targetILNS1_3genE0ELNS1_11target_archE4294967295ELNS1_3gpuE0ELNS1_3repE0EEENS1_30default_config_static_selectorELNS0_4arch9wavefront6targetE1EEEvSP_
	.p2align	8
	.type	_ZN7rocprim17ROCPRIM_400000_NS6detail17trampoline_kernelINS0_14default_configENS1_32segmented_reduce_config_selectorIdEEZNS1_21segmented_reduce_implIS3_PKdPdPKidN6hipcub16HIPCUB_304000_NS6detail27convert_result_type_wrapperIS8_S9_N2at6native12_GLOBAL__N_19CustomMinEEEEE10hipError_tPvRmT0_T1_jT2_SQ_T4_T3_P12ihipStream_tbEUlT_E_NS1_11comp_targetILNS1_3genE0ELNS1_11target_archE4294967295ELNS1_3gpuE0ELNS1_3repE0EEENS1_30default_config_static_selectorELNS0_4arch9wavefront6targetE1EEEvSP_,@function
_ZN7rocprim17ROCPRIM_400000_NS6detail17trampoline_kernelINS0_14default_configENS1_32segmented_reduce_config_selectorIdEEZNS1_21segmented_reduce_implIS3_PKdPdPKidN6hipcub16HIPCUB_304000_NS6detail27convert_result_type_wrapperIS8_S9_N2at6native12_GLOBAL__N_19CustomMinEEEEE10hipError_tPvRmT0_T1_jT2_SQ_T4_T3_P12ihipStream_tbEUlT_E_NS1_11comp_targetILNS1_3genE0ELNS1_11target_archE4294967295ELNS1_3gpuE0ELNS1_3repE0EEENS1_30default_config_static_selectorELNS0_4arch9wavefront6targetE1EEEvSP_: ; @_ZN7rocprim17ROCPRIM_400000_NS6detail17trampoline_kernelINS0_14default_configENS1_32segmented_reduce_config_selectorIdEEZNS1_21segmented_reduce_implIS3_PKdPdPKidN6hipcub16HIPCUB_304000_NS6detail27convert_result_type_wrapperIS8_S9_N2at6native12_GLOBAL__N_19CustomMinEEEEE10hipError_tPvRmT0_T1_jT2_SQ_T4_T3_P12ihipStream_tbEUlT_E_NS1_11comp_targetILNS1_3genE0ELNS1_11target_archE4294967295ELNS1_3gpuE0ELNS1_3repE0EEENS1_30default_config_static_selectorELNS0_4arch9wavefront6targetE1EEEvSP_
; %bb.0:
	.section	.rodata,"a",@progbits
	.p2align	6, 0x0
	.amdhsa_kernel _ZN7rocprim17ROCPRIM_400000_NS6detail17trampoline_kernelINS0_14default_configENS1_32segmented_reduce_config_selectorIdEEZNS1_21segmented_reduce_implIS3_PKdPdPKidN6hipcub16HIPCUB_304000_NS6detail27convert_result_type_wrapperIS8_S9_N2at6native12_GLOBAL__N_19CustomMinEEEEE10hipError_tPvRmT0_T1_jT2_SQ_T4_T3_P12ihipStream_tbEUlT_E_NS1_11comp_targetILNS1_3genE0ELNS1_11target_archE4294967295ELNS1_3gpuE0ELNS1_3repE0EEENS1_30default_config_static_selectorELNS0_4arch9wavefront6targetE1EEEvSP_
		.amdhsa_group_segment_fixed_size 0
		.amdhsa_private_segment_fixed_size 0
		.amdhsa_kernarg_size 56
		.amdhsa_user_sgpr_count 6
		.amdhsa_user_sgpr_private_segment_buffer 1
		.amdhsa_user_sgpr_dispatch_ptr 0
		.amdhsa_user_sgpr_queue_ptr 0
		.amdhsa_user_sgpr_kernarg_segment_ptr 1
		.amdhsa_user_sgpr_dispatch_id 0
		.amdhsa_user_sgpr_flat_scratch_init 0
		.amdhsa_user_sgpr_private_segment_size 0
		.amdhsa_uses_dynamic_stack 0
		.amdhsa_system_sgpr_private_segment_wavefront_offset 0
		.amdhsa_system_sgpr_workgroup_id_x 1
		.amdhsa_system_sgpr_workgroup_id_y 0
		.amdhsa_system_sgpr_workgroup_id_z 0
		.amdhsa_system_sgpr_workgroup_info 0
		.amdhsa_system_vgpr_workitem_id 0
		.amdhsa_next_free_vgpr 1
		.amdhsa_next_free_sgpr 0
		.amdhsa_reserve_vcc 0
		.amdhsa_reserve_flat_scratch 0
		.amdhsa_float_round_mode_32 0
		.amdhsa_float_round_mode_16_64 0
		.amdhsa_float_denorm_mode_32 3
		.amdhsa_float_denorm_mode_16_64 3
		.amdhsa_dx10_clamp 1
		.amdhsa_ieee_mode 1
		.amdhsa_fp16_overflow 0
		.amdhsa_exception_fp_ieee_invalid_op 0
		.amdhsa_exception_fp_denorm_src 0
		.amdhsa_exception_fp_ieee_div_zero 0
		.amdhsa_exception_fp_ieee_overflow 0
		.amdhsa_exception_fp_ieee_underflow 0
		.amdhsa_exception_fp_ieee_inexact 0
		.amdhsa_exception_int_div_zero 0
	.end_amdhsa_kernel
	.section	.text._ZN7rocprim17ROCPRIM_400000_NS6detail17trampoline_kernelINS0_14default_configENS1_32segmented_reduce_config_selectorIdEEZNS1_21segmented_reduce_implIS3_PKdPdPKidN6hipcub16HIPCUB_304000_NS6detail27convert_result_type_wrapperIS8_S9_N2at6native12_GLOBAL__N_19CustomMinEEEEE10hipError_tPvRmT0_T1_jT2_SQ_T4_T3_P12ihipStream_tbEUlT_E_NS1_11comp_targetILNS1_3genE0ELNS1_11target_archE4294967295ELNS1_3gpuE0ELNS1_3repE0EEENS1_30default_config_static_selectorELNS0_4arch9wavefront6targetE1EEEvSP_,"axG",@progbits,_ZN7rocprim17ROCPRIM_400000_NS6detail17trampoline_kernelINS0_14default_configENS1_32segmented_reduce_config_selectorIdEEZNS1_21segmented_reduce_implIS3_PKdPdPKidN6hipcub16HIPCUB_304000_NS6detail27convert_result_type_wrapperIS8_S9_N2at6native12_GLOBAL__N_19CustomMinEEEEE10hipError_tPvRmT0_T1_jT2_SQ_T4_T3_P12ihipStream_tbEUlT_E_NS1_11comp_targetILNS1_3genE0ELNS1_11target_archE4294967295ELNS1_3gpuE0ELNS1_3repE0EEENS1_30default_config_static_selectorELNS0_4arch9wavefront6targetE1EEEvSP_,comdat
.Lfunc_end26:
	.size	_ZN7rocprim17ROCPRIM_400000_NS6detail17trampoline_kernelINS0_14default_configENS1_32segmented_reduce_config_selectorIdEEZNS1_21segmented_reduce_implIS3_PKdPdPKidN6hipcub16HIPCUB_304000_NS6detail27convert_result_type_wrapperIS8_S9_N2at6native12_GLOBAL__N_19CustomMinEEEEE10hipError_tPvRmT0_T1_jT2_SQ_T4_T3_P12ihipStream_tbEUlT_E_NS1_11comp_targetILNS1_3genE0ELNS1_11target_archE4294967295ELNS1_3gpuE0ELNS1_3repE0EEENS1_30default_config_static_selectorELNS0_4arch9wavefront6targetE1EEEvSP_, .Lfunc_end26-_ZN7rocprim17ROCPRIM_400000_NS6detail17trampoline_kernelINS0_14default_configENS1_32segmented_reduce_config_selectorIdEEZNS1_21segmented_reduce_implIS3_PKdPdPKidN6hipcub16HIPCUB_304000_NS6detail27convert_result_type_wrapperIS8_S9_N2at6native12_GLOBAL__N_19CustomMinEEEEE10hipError_tPvRmT0_T1_jT2_SQ_T4_T3_P12ihipStream_tbEUlT_E_NS1_11comp_targetILNS1_3genE0ELNS1_11target_archE4294967295ELNS1_3gpuE0ELNS1_3repE0EEENS1_30default_config_static_selectorELNS0_4arch9wavefront6targetE1EEEvSP_
                                        ; -- End function
	.set _ZN7rocprim17ROCPRIM_400000_NS6detail17trampoline_kernelINS0_14default_configENS1_32segmented_reduce_config_selectorIdEEZNS1_21segmented_reduce_implIS3_PKdPdPKidN6hipcub16HIPCUB_304000_NS6detail27convert_result_type_wrapperIS8_S9_N2at6native12_GLOBAL__N_19CustomMinEEEEE10hipError_tPvRmT0_T1_jT2_SQ_T4_T3_P12ihipStream_tbEUlT_E_NS1_11comp_targetILNS1_3genE0ELNS1_11target_archE4294967295ELNS1_3gpuE0ELNS1_3repE0EEENS1_30default_config_static_selectorELNS0_4arch9wavefront6targetE1EEEvSP_.num_vgpr, 0
	.set _ZN7rocprim17ROCPRIM_400000_NS6detail17trampoline_kernelINS0_14default_configENS1_32segmented_reduce_config_selectorIdEEZNS1_21segmented_reduce_implIS3_PKdPdPKidN6hipcub16HIPCUB_304000_NS6detail27convert_result_type_wrapperIS8_S9_N2at6native12_GLOBAL__N_19CustomMinEEEEE10hipError_tPvRmT0_T1_jT2_SQ_T4_T3_P12ihipStream_tbEUlT_E_NS1_11comp_targetILNS1_3genE0ELNS1_11target_archE4294967295ELNS1_3gpuE0ELNS1_3repE0EEENS1_30default_config_static_selectorELNS0_4arch9wavefront6targetE1EEEvSP_.num_agpr, 0
	.set _ZN7rocprim17ROCPRIM_400000_NS6detail17trampoline_kernelINS0_14default_configENS1_32segmented_reduce_config_selectorIdEEZNS1_21segmented_reduce_implIS3_PKdPdPKidN6hipcub16HIPCUB_304000_NS6detail27convert_result_type_wrapperIS8_S9_N2at6native12_GLOBAL__N_19CustomMinEEEEE10hipError_tPvRmT0_T1_jT2_SQ_T4_T3_P12ihipStream_tbEUlT_E_NS1_11comp_targetILNS1_3genE0ELNS1_11target_archE4294967295ELNS1_3gpuE0ELNS1_3repE0EEENS1_30default_config_static_selectorELNS0_4arch9wavefront6targetE1EEEvSP_.numbered_sgpr, 0
	.set _ZN7rocprim17ROCPRIM_400000_NS6detail17trampoline_kernelINS0_14default_configENS1_32segmented_reduce_config_selectorIdEEZNS1_21segmented_reduce_implIS3_PKdPdPKidN6hipcub16HIPCUB_304000_NS6detail27convert_result_type_wrapperIS8_S9_N2at6native12_GLOBAL__N_19CustomMinEEEEE10hipError_tPvRmT0_T1_jT2_SQ_T4_T3_P12ihipStream_tbEUlT_E_NS1_11comp_targetILNS1_3genE0ELNS1_11target_archE4294967295ELNS1_3gpuE0ELNS1_3repE0EEENS1_30default_config_static_selectorELNS0_4arch9wavefront6targetE1EEEvSP_.num_named_barrier, 0
	.set _ZN7rocprim17ROCPRIM_400000_NS6detail17trampoline_kernelINS0_14default_configENS1_32segmented_reduce_config_selectorIdEEZNS1_21segmented_reduce_implIS3_PKdPdPKidN6hipcub16HIPCUB_304000_NS6detail27convert_result_type_wrapperIS8_S9_N2at6native12_GLOBAL__N_19CustomMinEEEEE10hipError_tPvRmT0_T1_jT2_SQ_T4_T3_P12ihipStream_tbEUlT_E_NS1_11comp_targetILNS1_3genE0ELNS1_11target_archE4294967295ELNS1_3gpuE0ELNS1_3repE0EEENS1_30default_config_static_selectorELNS0_4arch9wavefront6targetE1EEEvSP_.private_seg_size, 0
	.set _ZN7rocprim17ROCPRIM_400000_NS6detail17trampoline_kernelINS0_14default_configENS1_32segmented_reduce_config_selectorIdEEZNS1_21segmented_reduce_implIS3_PKdPdPKidN6hipcub16HIPCUB_304000_NS6detail27convert_result_type_wrapperIS8_S9_N2at6native12_GLOBAL__N_19CustomMinEEEEE10hipError_tPvRmT0_T1_jT2_SQ_T4_T3_P12ihipStream_tbEUlT_E_NS1_11comp_targetILNS1_3genE0ELNS1_11target_archE4294967295ELNS1_3gpuE0ELNS1_3repE0EEENS1_30default_config_static_selectorELNS0_4arch9wavefront6targetE1EEEvSP_.uses_vcc, 0
	.set _ZN7rocprim17ROCPRIM_400000_NS6detail17trampoline_kernelINS0_14default_configENS1_32segmented_reduce_config_selectorIdEEZNS1_21segmented_reduce_implIS3_PKdPdPKidN6hipcub16HIPCUB_304000_NS6detail27convert_result_type_wrapperIS8_S9_N2at6native12_GLOBAL__N_19CustomMinEEEEE10hipError_tPvRmT0_T1_jT2_SQ_T4_T3_P12ihipStream_tbEUlT_E_NS1_11comp_targetILNS1_3genE0ELNS1_11target_archE4294967295ELNS1_3gpuE0ELNS1_3repE0EEENS1_30default_config_static_selectorELNS0_4arch9wavefront6targetE1EEEvSP_.uses_flat_scratch, 0
	.set _ZN7rocprim17ROCPRIM_400000_NS6detail17trampoline_kernelINS0_14default_configENS1_32segmented_reduce_config_selectorIdEEZNS1_21segmented_reduce_implIS3_PKdPdPKidN6hipcub16HIPCUB_304000_NS6detail27convert_result_type_wrapperIS8_S9_N2at6native12_GLOBAL__N_19CustomMinEEEEE10hipError_tPvRmT0_T1_jT2_SQ_T4_T3_P12ihipStream_tbEUlT_E_NS1_11comp_targetILNS1_3genE0ELNS1_11target_archE4294967295ELNS1_3gpuE0ELNS1_3repE0EEENS1_30default_config_static_selectorELNS0_4arch9wavefront6targetE1EEEvSP_.has_dyn_sized_stack, 0
	.set _ZN7rocprim17ROCPRIM_400000_NS6detail17trampoline_kernelINS0_14default_configENS1_32segmented_reduce_config_selectorIdEEZNS1_21segmented_reduce_implIS3_PKdPdPKidN6hipcub16HIPCUB_304000_NS6detail27convert_result_type_wrapperIS8_S9_N2at6native12_GLOBAL__N_19CustomMinEEEEE10hipError_tPvRmT0_T1_jT2_SQ_T4_T3_P12ihipStream_tbEUlT_E_NS1_11comp_targetILNS1_3genE0ELNS1_11target_archE4294967295ELNS1_3gpuE0ELNS1_3repE0EEENS1_30default_config_static_selectorELNS0_4arch9wavefront6targetE1EEEvSP_.has_recursion, 0
	.set _ZN7rocprim17ROCPRIM_400000_NS6detail17trampoline_kernelINS0_14default_configENS1_32segmented_reduce_config_selectorIdEEZNS1_21segmented_reduce_implIS3_PKdPdPKidN6hipcub16HIPCUB_304000_NS6detail27convert_result_type_wrapperIS8_S9_N2at6native12_GLOBAL__N_19CustomMinEEEEE10hipError_tPvRmT0_T1_jT2_SQ_T4_T3_P12ihipStream_tbEUlT_E_NS1_11comp_targetILNS1_3genE0ELNS1_11target_archE4294967295ELNS1_3gpuE0ELNS1_3repE0EEENS1_30default_config_static_selectorELNS0_4arch9wavefront6targetE1EEEvSP_.has_indirect_call, 0
	.section	.AMDGPU.csdata,"",@progbits
; Kernel info:
; codeLenInByte = 0
; TotalNumSgprs: 4
; NumVgprs: 0
; ScratchSize: 0
; MemoryBound: 0
; FloatMode: 240
; IeeeMode: 1
; LDSByteSize: 0 bytes/workgroup (compile time only)
; SGPRBlocks: 0
; VGPRBlocks: 0
; NumSGPRsForWavesPerEU: 4
; NumVGPRsForWavesPerEU: 1
; Occupancy: 10
; WaveLimiterHint : 0
; COMPUTE_PGM_RSRC2:SCRATCH_EN: 0
; COMPUTE_PGM_RSRC2:USER_SGPR: 6
; COMPUTE_PGM_RSRC2:TRAP_HANDLER: 0
; COMPUTE_PGM_RSRC2:TGID_X_EN: 1
; COMPUTE_PGM_RSRC2:TGID_Y_EN: 0
; COMPUTE_PGM_RSRC2:TGID_Z_EN: 0
; COMPUTE_PGM_RSRC2:TIDIG_COMP_CNT: 0
	.section	.text._ZN7rocprim17ROCPRIM_400000_NS6detail17trampoline_kernelINS0_14default_configENS1_32segmented_reduce_config_selectorIdEEZNS1_21segmented_reduce_implIS3_PKdPdPKidN6hipcub16HIPCUB_304000_NS6detail27convert_result_type_wrapperIS8_S9_N2at6native12_GLOBAL__N_19CustomMinEEEEE10hipError_tPvRmT0_T1_jT2_SQ_T4_T3_P12ihipStream_tbEUlT_E_NS1_11comp_targetILNS1_3genE5ELNS1_11target_archE942ELNS1_3gpuE9ELNS1_3repE0EEENS1_30default_config_static_selectorELNS0_4arch9wavefront6targetE1EEEvSP_,"axG",@progbits,_ZN7rocprim17ROCPRIM_400000_NS6detail17trampoline_kernelINS0_14default_configENS1_32segmented_reduce_config_selectorIdEEZNS1_21segmented_reduce_implIS3_PKdPdPKidN6hipcub16HIPCUB_304000_NS6detail27convert_result_type_wrapperIS8_S9_N2at6native12_GLOBAL__N_19CustomMinEEEEE10hipError_tPvRmT0_T1_jT2_SQ_T4_T3_P12ihipStream_tbEUlT_E_NS1_11comp_targetILNS1_3genE5ELNS1_11target_archE942ELNS1_3gpuE9ELNS1_3repE0EEENS1_30default_config_static_selectorELNS0_4arch9wavefront6targetE1EEEvSP_,comdat
	.globl	_ZN7rocprim17ROCPRIM_400000_NS6detail17trampoline_kernelINS0_14default_configENS1_32segmented_reduce_config_selectorIdEEZNS1_21segmented_reduce_implIS3_PKdPdPKidN6hipcub16HIPCUB_304000_NS6detail27convert_result_type_wrapperIS8_S9_N2at6native12_GLOBAL__N_19CustomMinEEEEE10hipError_tPvRmT0_T1_jT2_SQ_T4_T3_P12ihipStream_tbEUlT_E_NS1_11comp_targetILNS1_3genE5ELNS1_11target_archE942ELNS1_3gpuE9ELNS1_3repE0EEENS1_30default_config_static_selectorELNS0_4arch9wavefront6targetE1EEEvSP_ ; -- Begin function _ZN7rocprim17ROCPRIM_400000_NS6detail17trampoline_kernelINS0_14default_configENS1_32segmented_reduce_config_selectorIdEEZNS1_21segmented_reduce_implIS3_PKdPdPKidN6hipcub16HIPCUB_304000_NS6detail27convert_result_type_wrapperIS8_S9_N2at6native12_GLOBAL__N_19CustomMinEEEEE10hipError_tPvRmT0_T1_jT2_SQ_T4_T3_P12ihipStream_tbEUlT_E_NS1_11comp_targetILNS1_3genE5ELNS1_11target_archE942ELNS1_3gpuE9ELNS1_3repE0EEENS1_30default_config_static_selectorELNS0_4arch9wavefront6targetE1EEEvSP_
	.p2align	8
	.type	_ZN7rocprim17ROCPRIM_400000_NS6detail17trampoline_kernelINS0_14default_configENS1_32segmented_reduce_config_selectorIdEEZNS1_21segmented_reduce_implIS3_PKdPdPKidN6hipcub16HIPCUB_304000_NS6detail27convert_result_type_wrapperIS8_S9_N2at6native12_GLOBAL__N_19CustomMinEEEEE10hipError_tPvRmT0_T1_jT2_SQ_T4_T3_P12ihipStream_tbEUlT_E_NS1_11comp_targetILNS1_3genE5ELNS1_11target_archE942ELNS1_3gpuE9ELNS1_3repE0EEENS1_30default_config_static_selectorELNS0_4arch9wavefront6targetE1EEEvSP_,@function
_ZN7rocprim17ROCPRIM_400000_NS6detail17trampoline_kernelINS0_14default_configENS1_32segmented_reduce_config_selectorIdEEZNS1_21segmented_reduce_implIS3_PKdPdPKidN6hipcub16HIPCUB_304000_NS6detail27convert_result_type_wrapperIS8_S9_N2at6native12_GLOBAL__N_19CustomMinEEEEE10hipError_tPvRmT0_T1_jT2_SQ_T4_T3_P12ihipStream_tbEUlT_E_NS1_11comp_targetILNS1_3genE5ELNS1_11target_archE942ELNS1_3gpuE9ELNS1_3repE0EEENS1_30default_config_static_selectorELNS0_4arch9wavefront6targetE1EEEvSP_: ; @_ZN7rocprim17ROCPRIM_400000_NS6detail17trampoline_kernelINS0_14default_configENS1_32segmented_reduce_config_selectorIdEEZNS1_21segmented_reduce_implIS3_PKdPdPKidN6hipcub16HIPCUB_304000_NS6detail27convert_result_type_wrapperIS8_S9_N2at6native12_GLOBAL__N_19CustomMinEEEEE10hipError_tPvRmT0_T1_jT2_SQ_T4_T3_P12ihipStream_tbEUlT_E_NS1_11comp_targetILNS1_3genE5ELNS1_11target_archE942ELNS1_3gpuE9ELNS1_3repE0EEENS1_30default_config_static_selectorELNS0_4arch9wavefront6targetE1EEEvSP_
; %bb.0:
	.section	.rodata,"a",@progbits
	.p2align	6, 0x0
	.amdhsa_kernel _ZN7rocprim17ROCPRIM_400000_NS6detail17trampoline_kernelINS0_14default_configENS1_32segmented_reduce_config_selectorIdEEZNS1_21segmented_reduce_implIS3_PKdPdPKidN6hipcub16HIPCUB_304000_NS6detail27convert_result_type_wrapperIS8_S9_N2at6native12_GLOBAL__N_19CustomMinEEEEE10hipError_tPvRmT0_T1_jT2_SQ_T4_T3_P12ihipStream_tbEUlT_E_NS1_11comp_targetILNS1_3genE5ELNS1_11target_archE942ELNS1_3gpuE9ELNS1_3repE0EEENS1_30default_config_static_selectorELNS0_4arch9wavefront6targetE1EEEvSP_
		.amdhsa_group_segment_fixed_size 0
		.amdhsa_private_segment_fixed_size 0
		.amdhsa_kernarg_size 56
		.amdhsa_user_sgpr_count 6
		.amdhsa_user_sgpr_private_segment_buffer 1
		.amdhsa_user_sgpr_dispatch_ptr 0
		.amdhsa_user_sgpr_queue_ptr 0
		.amdhsa_user_sgpr_kernarg_segment_ptr 1
		.amdhsa_user_sgpr_dispatch_id 0
		.amdhsa_user_sgpr_flat_scratch_init 0
		.amdhsa_user_sgpr_private_segment_size 0
		.amdhsa_uses_dynamic_stack 0
		.amdhsa_system_sgpr_private_segment_wavefront_offset 0
		.amdhsa_system_sgpr_workgroup_id_x 1
		.amdhsa_system_sgpr_workgroup_id_y 0
		.amdhsa_system_sgpr_workgroup_id_z 0
		.amdhsa_system_sgpr_workgroup_info 0
		.amdhsa_system_vgpr_workitem_id 0
		.amdhsa_next_free_vgpr 1
		.amdhsa_next_free_sgpr 0
		.amdhsa_reserve_vcc 0
		.amdhsa_reserve_flat_scratch 0
		.amdhsa_float_round_mode_32 0
		.amdhsa_float_round_mode_16_64 0
		.amdhsa_float_denorm_mode_32 3
		.amdhsa_float_denorm_mode_16_64 3
		.amdhsa_dx10_clamp 1
		.amdhsa_ieee_mode 1
		.amdhsa_fp16_overflow 0
		.amdhsa_exception_fp_ieee_invalid_op 0
		.amdhsa_exception_fp_denorm_src 0
		.amdhsa_exception_fp_ieee_div_zero 0
		.amdhsa_exception_fp_ieee_overflow 0
		.amdhsa_exception_fp_ieee_underflow 0
		.amdhsa_exception_fp_ieee_inexact 0
		.amdhsa_exception_int_div_zero 0
	.end_amdhsa_kernel
	.section	.text._ZN7rocprim17ROCPRIM_400000_NS6detail17trampoline_kernelINS0_14default_configENS1_32segmented_reduce_config_selectorIdEEZNS1_21segmented_reduce_implIS3_PKdPdPKidN6hipcub16HIPCUB_304000_NS6detail27convert_result_type_wrapperIS8_S9_N2at6native12_GLOBAL__N_19CustomMinEEEEE10hipError_tPvRmT0_T1_jT2_SQ_T4_T3_P12ihipStream_tbEUlT_E_NS1_11comp_targetILNS1_3genE5ELNS1_11target_archE942ELNS1_3gpuE9ELNS1_3repE0EEENS1_30default_config_static_selectorELNS0_4arch9wavefront6targetE1EEEvSP_,"axG",@progbits,_ZN7rocprim17ROCPRIM_400000_NS6detail17trampoline_kernelINS0_14default_configENS1_32segmented_reduce_config_selectorIdEEZNS1_21segmented_reduce_implIS3_PKdPdPKidN6hipcub16HIPCUB_304000_NS6detail27convert_result_type_wrapperIS8_S9_N2at6native12_GLOBAL__N_19CustomMinEEEEE10hipError_tPvRmT0_T1_jT2_SQ_T4_T3_P12ihipStream_tbEUlT_E_NS1_11comp_targetILNS1_3genE5ELNS1_11target_archE942ELNS1_3gpuE9ELNS1_3repE0EEENS1_30default_config_static_selectorELNS0_4arch9wavefront6targetE1EEEvSP_,comdat
.Lfunc_end27:
	.size	_ZN7rocprim17ROCPRIM_400000_NS6detail17trampoline_kernelINS0_14default_configENS1_32segmented_reduce_config_selectorIdEEZNS1_21segmented_reduce_implIS3_PKdPdPKidN6hipcub16HIPCUB_304000_NS6detail27convert_result_type_wrapperIS8_S9_N2at6native12_GLOBAL__N_19CustomMinEEEEE10hipError_tPvRmT0_T1_jT2_SQ_T4_T3_P12ihipStream_tbEUlT_E_NS1_11comp_targetILNS1_3genE5ELNS1_11target_archE942ELNS1_3gpuE9ELNS1_3repE0EEENS1_30default_config_static_selectorELNS0_4arch9wavefront6targetE1EEEvSP_, .Lfunc_end27-_ZN7rocprim17ROCPRIM_400000_NS6detail17trampoline_kernelINS0_14default_configENS1_32segmented_reduce_config_selectorIdEEZNS1_21segmented_reduce_implIS3_PKdPdPKidN6hipcub16HIPCUB_304000_NS6detail27convert_result_type_wrapperIS8_S9_N2at6native12_GLOBAL__N_19CustomMinEEEEE10hipError_tPvRmT0_T1_jT2_SQ_T4_T3_P12ihipStream_tbEUlT_E_NS1_11comp_targetILNS1_3genE5ELNS1_11target_archE942ELNS1_3gpuE9ELNS1_3repE0EEENS1_30default_config_static_selectorELNS0_4arch9wavefront6targetE1EEEvSP_
                                        ; -- End function
	.set _ZN7rocprim17ROCPRIM_400000_NS6detail17trampoline_kernelINS0_14default_configENS1_32segmented_reduce_config_selectorIdEEZNS1_21segmented_reduce_implIS3_PKdPdPKidN6hipcub16HIPCUB_304000_NS6detail27convert_result_type_wrapperIS8_S9_N2at6native12_GLOBAL__N_19CustomMinEEEEE10hipError_tPvRmT0_T1_jT2_SQ_T4_T3_P12ihipStream_tbEUlT_E_NS1_11comp_targetILNS1_3genE5ELNS1_11target_archE942ELNS1_3gpuE9ELNS1_3repE0EEENS1_30default_config_static_selectorELNS0_4arch9wavefront6targetE1EEEvSP_.num_vgpr, 0
	.set _ZN7rocprim17ROCPRIM_400000_NS6detail17trampoline_kernelINS0_14default_configENS1_32segmented_reduce_config_selectorIdEEZNS1_21segmented_reduce_implIS3_PKdPdPKidN6hipcub16HIPCUB_304000_NS6detail27convert_result_type_wrapperIS8_S9_N2at6native12_GLOBAL__N_19CustomMinEEEEE10hipError_tPvRmT0_T1_jT2_SQ_T4_T3_P12ihipStream_tbEUlT_E_NS1_11comp_targetILNS1_3genE5ELNS1_11target_archE942ELNS1_3gpuE9ELNS1_3repE0EEENS1_30default_config_static_selectorELNS0_4arch9wavefront6targetE1EEEvSP_.num_agpr, 0
	.set _ZN7rocprim17ROCPRIM_400000_NS6detail17trampoline_kernelINS0_14default_configENS1_32segmented_reduce_config_selectorIdEEZNS1_21segmented_reduce_implIS3_PKdPdPKidN6hipcub16HIPCUB_304000_NS6detail27convert_result_type_wrapperIS8_S9_N2at6native12_GLOBAL__N_19CustomMinEEEEE10hipError_tPvRmT0_T1_jT2_SQ_T4_T3_P12ihipStream_tbEUlT_E_NS1_11comp_targetILNS1_3genE5ELNS1_11target_archE942ELNS1_3gpuE9ELNS1_3repE0EEENS1_30default_config_static_selectorELNS0_4arch9wavefront6targetE1EEEvSP_.numbered_sgpr, 0
	.set _ZN7rocprim17ROCPRIM_400000_NS6detail17trampoline_kernelINS0_14default_configENS1_32segmented_reduce_config_selectorIdEEZNS1_21segmented_reduce_implIS3_PKdPdPKidN6hipcub16HIPCUB_304000_NS6detail27convert_result_type_wrapperIS8_S9_N2at6native12_GLOBAL__N_19CustomMinEEEEE10hipError_tPvRmT0_T1_jT2_SQ_T4_T3_P12ihipStream_tbEUlT_E_NS1_11comp_targetILNS1_3genE5ELNS1_11target_archE942ELNS1_3gpuE9ELNS1_3repE0EEENS1_30default_config_static_selectorELNS0_4arch9wavefront6targetE1EEEvSP_.num_named_barrier, 0
	.set _ZN7rocprim17ROCPRIM_400000_NS6detail17trampoline_kernelINS0_14default_configENS1_32segmented_reduce_config_selectorIdEEZNS1_21segmented_reduce_implIS3_PKdPdPKidN6hipcub16HIPCUB_304000_NS6detail27convert_result_type_wrapperIS8_S9_N2at6native12_GLOBAL__N_19CustomMinEEEEE10hipError_tPvRmT0_T1_jT2_SQ_T4_T3_P12ihipStream_tbEUlT_E_NS1_11comp_targetILNS1_3genE5ELNS1_11target_archE942ELNS1_3gpuE9ELNS1_3repE0EEENS1_30default_config_static_selectorELNS0_4arch9wavefront6targetE1EEEvSP_.private_seg_size, 0
	.set _ZN7rocprim17ROCPRIM_400000_NS6detail17trampoline_kernelINS0_14default_configENS1_32segmented_reduce_config_selectorIdEEZNS1_21segmented_reduce_implIS3_PKdPdPKidN6hipcub16HIPCUB_304000_NS6detail27convert_result_type_wrapperIS8_S9_N2at6native12_GLOBAL__N_19CustomMinEEEEE10hipError_tPvRmT0_T1_jT2_SQ_T4_T3_P12ihipStream_tbEUlT_E_NS1_11comp_targetILNS1_3genE5ELNS1_11target_archE942ELNS1_3gpuE9ELNS1_3repE0EEENS1_30default_config_static_selectorELNS0_4arch9wavefront6targetE1EEEvSP_.uses_vcc, 0
	.set _ZN7rocprim17ROCPRIM_400000_NS6detail17trampoline_kernelINS0_14default_configENS1_32segmented_reduce_config_selectorIdEEZNS1_21segmented_reduce_implIS3_PKdPdPKidN6hipcub16HIPCUB_304000_NS6detail27convert_result_type_wrapperIS8_S9_N2at6native12_GLOBAL__N_19CustomMinEEEEE10hipError_tPvRmT0_T1_jT2_SQ_T4_T3_P12ihipStream_tbEUlT_E_NS1_11comp_targetILNS1_3genE5ELNS1_11target_archE942ELNS1_3gpuE9ELNS1_3repE0EEENS1_30default_config_static_selectorELNS0_4arch9wavefront6targetE1EEEvSP_.uses_flat_scratch, 0
	.set _ZN7rocprim17ROCPRIM_400000_NS6detail17trampoline_kernelINS0_14default_configENS1_32segmented_reduce_config_selectorIdEEZNS1_21segmented_reduce_implIS3_PKdPdPKidN6hipcub16HIPCUB_304000_NS6detail27convert_result_type_wrapperIS8_S9_N2at6native12_GLOBAL__N_19CustomMinEEEEE10hipError_tPvRmT0_T1_jT2_SQ_T4_T3_P12ihipStream_tbEUlT_E_NS1_11comp_targetILNS1_3genE5ELNS1_11target_archE942ELNS1_3gpuE9ELNS1_3repE0EEENS1_30default_config_static_selectorELNS0_4arch9wavefront6targetE1EEEvSP_.has_dyn_sized_stack, 0
	.set _ZN7rocprim17ROCPRIM_400000_NS6detail17trampoline_kernelINS0_14default_configENS1_32segmented_reduce_config_selectorIdEEZNS1_21segmented_reduce_implIS3_PKdPdPKidN6hipcub16HIPCUB_304000_NS6detail27convert_result_type_wrapperIS8_S9_N2at6native12_GLOBAL__N_19CustomMinEEEEE10hipError_tPvRmT0_T1_jT2_SQ_T4_T3_P12ihipStream_tbEUlT_E_NS1_11comp_targetILNS1_3genE5ELNS1_11target_archE942ELNS1_3gpuE9ELNS1_3repE0EEENS1_30default_config_static_selectorELNS0_4arch9wavefront6targetE1EEEvSP_.has_recursion, 0
	.set _ZN7rocprim17ROCPRIM_400000_NS6detail17trampoline_kernelINS0_14default_configENS1_32segmented_reduce_config_selectorIdEEZNS1_21segmented_reduce_implIS3_PKdPdPKidN6hipcub16HIPCUB_304000_NS6detail27convert_result_type_wrapperIS8_S9_N2at6native12_GLOBAL__N_19CustomMinEEEEE10hipError_tPvRmT0_T1_jT2_SQ_T4_T3_P12ihipStream_tbEUlT_E_NS1_11comp_targetILNS1_3genE5ELNS1_11target_archE942ELNS1_3gpuE9ELNS1_3repE0EEENS1_30default_config_static_selectorELNS0_4arch9wavefront6targetE1EEEvSP_.has_indirect_call, 0
	.section	.AMDGPU.csdata,"",@progbits
; Kernel info:
; codeLenInByte = 0
; TotalNumSgprs: 4
; NumVgprs: 0
; ScratchSize: 0
; MemoryBound: 0
; FloatMode: 240
; IeeeMode: 1
; LDSByteSize: 0 bytes/workgroup (compile time only)
; SGPRBlocks: 0
; VGPRBlocks: 0
; NumSGPRsForWavesPerEU: 4
; NumVGPRsForWavesPerEU: 1
; Occupancy: 10
; WaveLimiterHint : 0
; COMPUTE_PGM_RSRC2:SCRATCH_EN: 0
; COMPUTE_PGM_RSRC2:USER_SGPR: 6
; COMPUTE_PGM_RSRC2:TRAP_HANDLER: 0
; COMPUTE_PGM_RSRC2:TGID_X_EN: 1
; COMPUTE_PGM_RSRC2:TGID_Y_EN: 0
; COMPUTE_PGM_RSRC2:TGID_Z_EN: 0
; COMPUTE_PGM_RSRC2:TIDIG_COMP_CNT: 0
	.section	.text._ZN7rocprim17ROCPRIM_400000_NS6detail17trampoline_kernelINS0_14default_configENS1_32segmented_reduce_config_selectorIdEEZNS1_21segmented_reduce_implIS3_PKdPdPKidN6hipcub16HIPCUB_304000_NS6detail27convert_result_type_wrapperIS8_S9_N2at6native12_GLOBAL__N_19CustomMinEEEEE10hipError_tPvRmT0_T1_jT2_SQ_T4_T3_P12ihipStream_tbEUlT_E_NS1_11comp_targetILNS1_3genE10ELNS1_11target_archE1201ELNS1_3gpuE5ELNS1_3repE0EEENS1_30default_config_static_selectorELNS0_4arch9wavefront6targetE1EEEvSP_,"axG",@progbits,_ZN7rocprim17ROCPRIM_400000_NS6detail17trampoline_kernelINS0_14default_configENS1_32segmented_reduce_config_selectorIdEEZNS1_21segmented_reduce_implIS3_PKdPdPKidN6hipcub16HIPCUB_304000_NS6detail27convert_result_type_wrapperIS8_S9_N2at6native12_GLOBAL__N_19CustomMinEEEEE10hipError_tPvRmT0_T1_jT2_SQ_T4_T3_P12ihipStream_tbEUlT_E_NS1_11comp_targetILNS1_3genE10ELNS1_11target_archE1201ELNS1_3gpuE5ELNS1_3repE0EEENS1_30default_config_static_selectorELNS0_4arch9wavefront6targetE1EEEvSP_,comdat
	.globl	_ZN7rocprim17ROCPRIM_400000_NS6detail17trampoline_kernelINS0_14default_configENS1_32segmented_reduce_config_selectorIdEEZNS1_21segmented_reduce_implIS3_PKdPdPKidN6hipcub16HIPCUB_304000_NS6detail27convert_result_type_wrapperIS8_S9_N2at6native12_GLOBAL__N_19CustomMinEEEEE10hipError_tPvRmT0_T1_jT2_SQ_T4_T3_P12ihipStream_tbEUlT_E_NS1_11comp_targetILNS1_3genE10ELNS1_11target_archE1201ELNS1_3gpuE5ELNS1_3repE0EEENS1_30default_config_static_selectorELNS0_4arch9wavefront6targetE1EEEvSP_ ; -- Begin function _ZN7rocprim17ROCPRIM_400000_NS6detail17trampoline_kernelINS0_14default_configENS1_32segmented_reduce_config_selectorIdEEZNS1_21segmented_reduce_implIS3_PKdPdPKidN6hipcub16HIPCUB_304000_NS6detail27convert_result_type_wrapperIS8_S9_N2at6native12_GLOBAL__N_19CustomMinEEEEE10hipError_tPvRmT0_T1_jT2_SQ_T4_T3_P12ihipStream_tbEUlT_E_NS1_11comp_targetILNS1_3genE10ELNS1_11target_archE1201ELNS1_3gpuE5ELNS1_3repE0EEENS1_30default_config_static_selectorELNS0_4arch9wavefront6targetE1EEEvSP_
	.p2align	8
	.type	_ZN7rocprim17ROCPRIM_400000_NS6detail17trampoline_kernelINS0_14default_configENS1_32segmented_reduce_config_selectorIdEEZNS1_21segmented_reduce_implIS3_PKdPdPKidN6hipcub16HIPCUB_304000_NS6detail27convert_result_type_wrapperIS8_S9_N2at6native12_GLOBAL__N_19CustomMinEEEEE10hipError_tPvRmT0_T1_jT2_SQ_T4_T3_P12ihipStream_tbEUlT_E_NS1_11comp_targetILNS1_3genE10ELNS1_11target_archE1201ELNS1_3gpuE5ELNS1_3repE0EEENS1_30default_config_static_selectorELNS0_4arch9wavefront6targetE1EEEvSP_,@function
_ZN7rocprim17ROCPRIM_400000_NS6detail17trampoline_kernelINS0_14default_configENS1_32segmented_reduce_config_selectorIdEEZNS1_21segmented_reduce_implIS3_PKdPdPKidN6hipcub16HIPCUB_304000_NS6detail27convert_result_type_wrapperIS8_S9_N2at6native12_GLOBAL__N_19CustomMinEEEEE10hipError_tPvRmT0_T1_jT2_SQ_T4_T3_P12ihipStream_tbEUlT_E_NS1_11comp_targetILNS1_3genE10ELNS1_11target_archE1201ELNS1_3gpuE5ELNS1_3repE0EEENS1_30default_config_static_selectorELNS0_4arch9wavefront6targetE1EEEvSP_: ; @_ZN7rocprim17ROCPRIM_400000_NS6detail17trampoline_kernelINS0_14default_configENS1_32segmented_reduce_config_selectorIdEEZNS1_21segmented_reduce_implIS3_PKdPdPKidN6hipcub16HIPCUB_304000_NS6detail27convert_result_type_wrapperIS8_S9_N2at6native12_GLOBAL__N_19CustomMinEEEEE10hipError_tPvRmT0_T1_jT2_SQ_T4_T3_P12ihipStream_tbEUlT_E_NS1_11comp_targetILNS1_3genE10ELNS1_11target_archE1201ELNS1_3gpuE5ELNS1_3repE0EEENS1_30default_config_static_selectorELNS0_4arch9wavefront6targetE1EEEvSP_
; %bb.0:
	.section	.rodata,"a",@progbits
	.p2align	6, 0x0
	.amdhsa_kernel _ZN7rocprim17ROCPRIM_400000_NS6detail17trampoline_kernelINS0_14default_configENS1_32segmented_reduce_config_selectorIdEEZNS1_21segmented_reduce_implIS3_PKdPdPKidN6hipcub16HIPCUB_304000_NS6detail27convert_result_type_wrapperIS8_S9_N2at6native12_GLOBAL__N_19CustomMinEEEEE10hipError_tPvRmT0_T1_jT2_SQ_T4_T3_P12ihipStream_tbEUlT_E_NS1_11comp_targetILNS1_3genE10ELNS1_11target_archE1201ELNS1_3gpuE5ELNS1_3repE0EEENS1_30default_config_static_selectorELNS0_4arch9wavefront6targetE1EEEvSP_
		.amdhsa_group_segment_fixed_size 0
		.amdhsa_private_segment_fixed_size 0
		.amdhsa_kernarg_size 56
		.amdhsa_user_sgpr_count 6
		.amdhsa_user_sgpr_private_segment_buffer 1
		.amdhsa_user_sgpr_dispatch_ptr 0
		.amdhsa_user_sgpr_queue_ptr 0
		.amdhsa_user_sgpr_kernarg_segment_ptr 1
		.amdhsa_user_sgpr_dispatch_id 0
		.amdhsa_user_sgpr_flat_scratch_init 0
		.amdhsa_user_sgpr_private_segment_size 0
		.amdhsa_uses_dynamic_stack 0
		.amdhsa_system_sgpr_private_segment_wavefront_offset 0
		.amdhsa_system_sgpr_workgroup_id_x 1
		.amdhsa_system_sgpr_workgroup_id_y 0
		.amdhsa_system_sgpr_workgroup_id_z 0
		.amdhsa_system_sgpr_workgroup_info 0
		.amdhsa_system_vgpr_workitem_id 0
		.amdhsa_next_free_vgpr 1
		.amdhsa_next_free_sgpr 0
		.amdhsa_reserve_vcc 0
		.amdhsa_reserve_flat_scratch 0
		.amdhsa_float_round_mode_32 0
		.amdhsa_float_round_mode_16_64 0
		.amdhsa_float_denorm_mode_32 3
		.amdhsa_float_denorm_mode_16_64 3
		.amdhsa_dx10_clamp 1
		.amdhsa_ieee_mode 1
		.amdhsa_fp16_overflow 0
		.amdhsa_exception_fp_ieee_invalid_op 0
		.amdhsa_exception_fp_denorm_src 0
		.amdhsa_exception_fp_ieee_div_zero 0
		.amdhsa_exception_fp_ieee_overflow 0
		.amdhsa_exception_fp_ieee_underflow 0
		.amdhsa_exception_fp_ieee_inexact 0
		.amdhsa_exception_int_div_zero 0
	.end_amdhsa_kernel
	.section	.text._ZN7rocprim17ROCPRIM_400000_NS6detail17trampoline_kernelINS0_14default_configENS1_32segmented_reduce_config_selectorIdEEZNS1_21segmented_reduce_implIS3_PKdPdPKidN6hipcub16HIPCUB_304000_NS6detail27convert_result_type_wrapperIS8_S9_N2at6native12_GLOBAL__N_19CustomMinEEEEE10hipError_tPvRmT0_T1_jT2_SQ_T4_T3_P12ihipStream_tbEUlT_E_NS1_11comp_targetILNS1_3genE10ELNS1_11target_archE1201ELNS1_3gpuE5ELNS1_3repE0EEENS1_30default_config_static_selectorELNS0_4arch9wavefront6targetE1EEEvSP_,"axG",@progbits,_ZN7rocprim17ROCPRIM_400000_NS6detail17trampoline_kernelINS0_14default_configENS1_32segmented_reduce_config_selectorIdEEZNS1_21segmented_reduce_implIS3_PKdPdPKidN6hipcub16HIPCUB_304000_NS6detail27convert_result_type_wrapperIS8_S9_N2at6native12_GLOBAL__N_19CustomMinEEEEE10hipError_tPvRmT0_T1_jT2_SQ_T4_T3_P12ihipStream_tbEUlT_E_NS1_11comp_targetILNS1_3genE10ELNS1_11target_archE1201ELNS1_3gpuE5ELNS1_3repE0EEENS1_30default_config_static_selectorELNS0_4arch9wavefront6targetE1EEEvSP_,comdat
.Lfunc_end28:
	.size	_ZN7rocprim17ROCPRIM_400000_NS6detail17trampoline_kernelINS0_14default_configENS1_32segmented_reduce_config_selectorIdEEZNS1_21segmented_reduce_implIS3_PKdPdPKidN6hipcub16HIPCUB_304000_NS6detail27convert_result_type_wrapperIS8_S9_N2at6native12_GLOBAL__N_19CustomMinEEEEE10hipError_tPvRmT0_T1_jT2_SQ_T4_T3_P12ihipStream_tbEUlT_E_NS1_11comp_targetILNS1_3genE10ELNS1_11target_archE1201ELNS1_3gpuE5ELNS1_3repE0EEENS1_30default_config_static_selectorELNS0_4arch9wavefront6targetE1EEEvSP_, .Lfunc_end28-_ZN7rocprim17ROCPRIM_400000_NS6detail17trampoline_kernelINS0_14default_configENS1_32segmented_reduce_config_selectorIdEEZNS1_21segmented_reduce_implIS3_PKdPdPKidN6hipcub16HIPCUB_304000_NS6detail27convert_result_type_wrapperIS8_S9_N2at6native12_GLOBAL__N_19CustomMinEEEEE10hipError_tPvRmT0_T1_jT2_SQ_T4_T3_P12ihipStream_tbEUlT_E_NS1_11comp_targetILNS1_3genE10ELNS1_11target_archE1201ELNS1_3gpuE5ELNS1_3repE0EEENS1_30default_config_static_selectorELNS0_4arch9wavefront6targetE1EEEvSP_
                                        ; -- End function
	.set _ZN7rocprim17ROCPRIM_400000_NS6detail17trampoline_kernelINS0_14default_configENS1_32segmented_reduce_config_selectorIdEEZNS1_21segmented_reduce_implIS3_PKdPdPKidN6hipcub16HIPCUB_304000_NS6detail27convert_result_type_wrapperIS8_S9_N2at6native12_GLOBAL__N_19CustomMinEEEEE10hipError_tPvRmT0_T1_jT2_SQ_T4_T3_P12ihipStream_tbEUlT_E_NS1_11comp_targetILNS1_3genE10ELNS1_11target_archE1201ELNS1_3gpuE5ELNS1_3repE0EEENS1_30default_config_static_selectorELNS0_4arch9wavefront6targetE1EEEvSP_.num_vgpr, 0
	.set _ZN7rocprim17ROCPRIM_400000_NS6detail17trampoline_kernelINS0_14default_configENS1_32segmented_reduce_config_selectorIdEEZNS1_21segmented_reduce_implIS3_PKdPdPKidN6hipcub16HIPCUB_304000_NS6detail27convert_result_type_wrapperIS8_S9_N2at6native12_GLOBAL__N_19CustomMinEEEEE10hipError_tPvRmT0_T1_jT2_SQ_T4_T3_P12ihipStream_tbEUlT_E_NS1_11comp_targetILNS1_3genE10ELNS1_11target_archE1201ELNS1_3gpuE5ELNS1_3repE0EEENS1_30default_config_static_selectorELNS0_4arch9wavefront6targetE1EEEvSP_.num_agpr, 0
	.set _ZN7rocprim17ROCPRIM_400000_NS6detail17trampoline_kernelINS0_14default_configENS1_32segmented_reduce_config_selectorIdEEZNS1_21segmented_reduce_implIS3_PKdPdPKidN6hipcub16HIPCUB_304000_NS6detail27convert_result_type_wrapperIS8_S9_N2at6native12_GLOBAL__N_19CustomMinEEEEE10hipError_tPvRmT0_T1_jT2_SQ_T4_T3_P12ihipStream_tbEUlT_E_NS1_11comp_targetILNS1_3genE10ELNS1_11target_archE1201ELNS1_3gpuE5ELNS1_3repE0EEENS1_30default_config_static_selectorELNS0_4arch9wavefront6targetE1EEEvSP_.numbered_sgpr, 0
	.set _ZN7rocprim17ROCPRIM_400000_NS6detail17trampoline_kernelINS0_14default_configENS1_32segmented_reduce_config_selectorIdEEZNS1_21segmented_reduce_implIS3_PKdPdPKidN6hipcub16HIPCUB_304000_NS6detail27convert_result_type_wrapperIS8_S9_N2at6native12_GLOBAL__N_19CustomMinEEEEE10hipError_tPvRmT0_T1_jT2_SQ_T4_T3_P12ihipStream_tbEUlT_E_NS1_11comp_targetILNS1_3genE10ELNS1_11target_archE1201ELNS1_3gpuE5ELNS1_3repE0EEENS1_30default_config_static_selectorELNS0_4arch9wavefront6targetE1EEEvSP_.num_named_barrier, 0
	.set _ZN7rocprim17ROCPRIM_400000_NS6detail17trampoline_kernelINS0_14default_configENS1_32segmented_reduce_config_selectorIdEEZNS1_21segmented_reduce_implIS3_PKdPdPKidN6hipcub16HIPCUB_304000_NS6detail27convert_result_type_wrapperIS8_S9_N2at6native12_GLOBAL__N_19CustomMinEEEEE10hipError_tPvRmT0_T1_jT2_SQ_T4_T3_P12ihipStream_tbEUlT_E_NS1_11comp_targetILNS1_3genE10ELNS1_11target_archE1201ELNS1_3gpuE5ELNS1_3repE0EEENS1_30default_config_static_selectorELNS0_4arch9wavefront6targetE1EEEvSP_.private_seg_size, 0
	.set _ZN7rocprim17ROCPRIM_400000_NS6detail17trampoline_kernelINS0_14default_configENS1_32segmented_reduce_config_selectorIdEEZNS1_21segmented_reduce_implIS3_PKdPdPKidN6hipcub16HIPCUB_304000_NS6detail27convert_result_type_wrapperIS8_S9_N2at6native12_GLOBAL__N_19CustomMinEEEEE10hipError_tPvRmT0_T1_jT2_SQ_T4_T3_P12ihipStream_tbEUlT_E_NS1_11comp_targetILNS1_3genE10ELNS1_11target_archE1201ELNS1_3gpuE5ELNS1_3repE0EEENS1_30default_config_static_selectorELNS0_4arch9wavefront6targetE1EEEvSP_.uses_vcc, 0
	.set _ZN7rocprim17ROCPRIM_400000_NS6detail17trampoline_kernelINS0_14default_configENS1_32segmented_reduce_config_selectorIdEEZNS1_21segmented_reduce_implIS3_PKdPdPKidN6hipcub16HIPCUB_304000_NS6detail27convert_result_type_wrapperIS8_S9_N2at6native12_GLOBAL__N_19CustomMinEEEEE10hipError_tPvRmT0_T1_jT2_SQ_T4_T3_P12ihipStream_tbEUlT_E_NS1_11comp_targetILNS1_3genE10ELNS1_11target_archE1201ELNS1_3gpuE5ELNS1_3repE0EEENS1_30default_config_static_selectorELNS0_4arch9wavefront6targetE1EEEvSP_.uses_flat_scratch, 0
	.set _ZN7rocprim17ROCPRIM_400000_NS6detail17trampoline_kernelINS0_14default_configENS1_32segmented_reduce_config_selectorIdEEZNS1_21segmented_reduce_implIS3_PKdPdPKidN6hipcub16HIPCUB_304000_NS6detail27convert_result_type_wrapperIS8_S9_N2at6native12_GLOBAL__N_19CustomMinEEEEE10hipError_tPvRmT0_T1_jT2_SQ_T4_T3_P12ihipStream_tbEUlT_E_NS1_11comp_targetILNS1_3genE10ELNS1_11target_archE1201ELNS1_3gpuE5ELNS1_3repE0EEENS1_30default_config_static_selectorELNS0_4arch9wavefront6targetE1EEEvSP_.has_dyn_sized_stack, 0
	.set _ZN7rocprim17ROCPRIM_400000_NS6detail17trampoline_kernelINS0_14default_configENS1_32segmented_reduce_config_selectorIdEEZNS1_21segmented_reduce_implIS3_PKdPdPKidN6hipcub16HIPCUB_304000_NS6detail27convert_result_type_wrapperIS8_S9_N2at6native12_GLOBAL__N_19CustomMinEEEEE10hipError_tPvRmT0_T1_jT2_SQ_T4_T3_P12ihipStream_tbEUlT_E_NS1_11comp_targetILNS1_3genE10ELNS1_11target_archE1201ELNS1_3gpuE5ELNS1_3repE0EEENS1_30default_config_static_selectorELNS0_4arch9wavefront6targetE1EEEvSP_.has_recursion, 0
	.set _ZN7rocprim17ROCPRIM_400000_NS6detail17trampoline_kernelINS0_14default_configENS1_32segmented_reduce_config_selectorIdEEZNS1_21segmented_reduce_implIS3_PKdPdPKidN6hipcub16HIPCUB_304000_NS6detail27convert_result_type_wrapperIS8_S9_N2at6native12_GLOBAL__N_19CustomMinEEEEE10hipError_tPvRmT0_T1_jT2_SQ_T4_T3_P12ihipStream_tbEUlT_E_NS1_11comp_targetILNS1_3genE10ELNS1_11target_archE1201ELNS1_3gpuE5ELNS1_3repE0EEENS1_30default_config_static_selectorELNS0_4arch9wavefront6targetE1EEEvSP_.has_indirect_call, 0
	.section	.AMDGPU.csdata,"",@progbits
; Kernel info:
; codeLenInByte = 0
; TotalNumSgprs: 4
; NumVgprs: 0
; ScratchSize: 0
; MemoryBound: 0
; FloatMode: 240
; IeeeMode: 1
; LDSByteSize: 0 bytes/workgroup (compile time only)
; SGPRBlocks: 0
; VGPRBlocks: 0
; NumSGPRsForWavesPerEU: 4
; NumVGPRsForWavesPerEU: 1
; Occupancy: 10
; WaveLimiterHint : 0
; COMPUTE_PGM_RSRC2:SCRATCH_EN: 0
; COMPUTE_PGM_RSRC2:USER_SGPR: 6
; COMPUTE_PGM_RSRC2:TRAP_HANDLER: 0
; COMPUTE_PGM_RSRC2:TGID_X_EN: 1
; COMPUTE_PGM_RSRC2:TGID_Y_EN: 0
; COMPUTE_PGM_RSRC2:TGID_Z_EN: 0
; COMPUTE_PGM_RSRC2:TIDIG_COMP_CNT: 0
	.section	.text._ZN7rocprim17ROCPRIM_400000_NS6detail17trampoline_kernelINS0_14default_configENS1_32segmented_reduce_config_selectorIdEEZNS1_21segmented_reduce_implIS3_PKdPdPKidN6hipcub16HIPCUB_304000_NS6detail27convert_result_type_wrapperIS8_S9_N2at6native12_GLOBAL__N_19CustomMinEEEEE10hipError_tPvRmT0_T1_jT2_SQ_T4_T3_P12ihipStream_tbEUlT_E_NS1_11comp_targetILNS1_3genE4ELNS1_11target_archE910ELNS1_3gpuE8ELNS1_3repE0EEENS1_30default_config_static_selectorELNS0_4arch9wavefront6targetE1EEEvSP_,"axG",@progbits,_ZN7rocprim17ROCPRIM_400000_NS6detail17trampoline_kernelINS0_14default_configENS1_32segmented_reduce_config_selectorIdEEZNS1_21segmented_reduce_implIS3_PKdPdPKidN6hipcub16HIPCUB_304000_NS6detail27convert_result_type_wrapperIS8_S9_N2at6native12_GLOBAL__N_19CustomMinEEEEE10hipError_tPvRmT0_T1_jT2_SQ_T4_T3_P12ihipStream_tbEUlT_E_NS1_11comp_targetILNS1_3genE4ELNS1_11target_archE910ELNS1_3gpuE8ELNS1_3repE0EEENS1_30default_config_static_selectorELNS0_4arch9wavefront6targetE1EEEvSP_,comdat
	.globl	_ZN7rocprim17ROCPRIM_400000_NS6detail17trampoline_kernelINS0_14default_configENS1_32segmented_reduce_config_selectorIdEEZNS1_21segmented_reduce_implIS3_PKdPdPKidN6hipcub16HIPCUB_304000_NS6detail27convert_result_type_wrapperIS8_S9_N2at6native12_GLOBAL__N_19CustomMinEEEEE10hipError_tPvRmT0_T1_jT2_SQ_T4_T3_P12ihipStream_tbEUlT_E_NS1_11comp_targetILNS1_3genE4ELNS1_11target_archE910ELNS1_3gpuE8ELNS1_3repE0EEENS1_30default_config_static_selectorELNS0_4arch9wavefront6targetE1EEEvSP_ ; -- Begin function _ZN7rocprim17ROCPRIM_400000_NS6detail17trampoline_kernelINS0_14default_configENS1_32segmented_reduce_config_selectorIdEEZNS1_21segmented_reduce_implIS3_PKdPdPKidN6hipcub16HIPCUB_304000_NS6detail27convert_result_type_wrapperIS8_S9_N2at6native12_GLOBAL__N_19CustomMinEEEEE10hipError_tPvRmT0_T1_jT2_SQ_T4_T3_P12ihipStream_tbEUlT_E_NS1_11comp_targetILNS1_3genE4ELNS1_11target_archE910ELNS1_3gpuE8ELNS1_3repE0EEENS1_30default_config_static_selectorELNS0_4arch9wavefront6targetE1EEEvSP_
	.p2align	8
	.type	_ZN7rocprim17ROCPRIM_400000_NS6detail17trampoline_kernelINS0_14default_configENS1_32segmented_reduce_config_selectorIdEEZNS1_21segmented_reduce_implIS3_PKdPdPKidN6hipcub16HIPCUB_304000_NS6detail27convert_result_type_wrapperIS8_S9_N2at6native12_GLOBAL__N_19CustomMinEEEEE10hipError_tPvRmT0_T1_jT2_SQ_T4_T3_P12ihipStream_tbEUlT_E_NS1_11comp_targetILNS1_3genE4ELNS1_11target_archE910ELNS1_3gpuE8ELNS1_3repE0EEENS1_30default_config_static_selectorELNS0_4arch9wavefront6targetE1EEEvSP_,@function
_ZN7rocprim17ROCPRIM_400000_NS6detail17trampoline_kernelINS0_14default_configENS1_32segmented_reduce_config_selectorIdEEZNS1_21segmented_reduce_implIS3_PKdPdPKidN6hipcub16HIPCUB_304000_NS6detail27convert_result_type_wrapperIS8_S9_N2at6native12_GLOBAL__N_19CustomMinEEEEE10hipError_tPvRmT0_T1_jT2_SQ_T4_T3_P12ihipStream_tbEUlT_E_NS1_11comp_targetILNS1_3genE4ELNS1_11target_archE910ELNS1_3gpuE8ELNS1_3repE0EEENS1_30default_config_static_selectorELNS0_4arch9wavefront6targetE1EEEvSP_: ; @_ZN7rocprim17ROCPRIM_400000_NS6detail17trampoline_kernelINS0_14default_configENS1_32segmented_reduce_config_selectorIdEEZNS1_21segmented_reduce_implIS3_PKdPdPKidN6hipcub16HIPCUB_304000_NS6detail27convert_result_type_wrapperIS8_S9_N2at6native12_GLOBAL__N_19CustomMinEEEEE10hipError_tPvRmT0_T1_jT2_SQ_T4_T3_P12ihipStream_tbEUlT_E_NS1_11comp_targetILNS1_3genE4ELNS1_11target_archE910ELNS1_3gpuE8ELNS1_3repE0EEENS1_30default_config_static_selectorELNS0_4arch9wavefront6targetE1EEEvSP_
; %bb.0:
	.section	.rodata,"a",@progbits
	.p2align	6, 0x0
	.amdhsa_kernel _ZN7rocprim17ROCPRIM_400000_NS6detail17trampoline_kernelINS0_14default_configENS1_32segmented_reduce_config_selectorIdEEZNS1_21segmented_reduce_implIS3_PKdPdPKidN6hipcub16HIPCUB_304000_NS6detail27convert_result_type_wrapperIS8_S9_N2at6native12_GLOBAL__N_19CustomMinEEEEE10hipError_tPvRmT0_T1_jT2_SQ_T4_T3_P12ihipStream_tbEUlT_E_NS1_11comp_targetILNS1_3genE4ELNS1_11target_archE910ELNS1_3gpuE8ELNS1_3repE0EEENS1_30default_config_static_selectorELNS0_4arch9wavefront6targetE1EEEvSP_
		.amdhsa_group_segment_fixed_size 0
		.amdhsa_private_segment_fixed_size 0
		.amdhsa_kernarg_size 56
		.amdhsa_user_sgpr_count 6
		.amdhsa_user_sgpr_private_segment_buffer 1
		.amdhsa_user_sgpr_dispatch_ptr 0
		.amdhsa_user_sgpr_queue_ptr 0
		.amdhsa_user_sgpr_kernarg_segment_ptr 1
		.amdhsa_user_sgpr_dispatch_id 0
		.amdhsa_user_sgpr_flat_scratch_init 0
		.amdhsa_user_sgpr_private_segment_size 0
		.amdhsa_uses_dynamic_stack 0
		.amdhsa_system_sgpr_private_segment_wavefront_offset 0
		.amdhsa_system_sgpr_workgroup_id_x 1
		.amdhsa_system_sgpr_workgroup_id_y 0
		.amdhsa_system_sgpr_workgroup_id_z 0
		.amdhsa_system_sgpr_workgroup_info 0
		.amdhsa_system_vgpr_workitem_id 0
		.amdhsa_next_free_vgpr 1
		.amdhsa_next_free_sgpr 0
		.amdhsa_reserve_vcc 0
		.amdhsa_reserve_flat_scratch 0
		.amdhsa_float_round_mode_32 0
		.amdhsa_float_round_mode_16_64 0
		.amdhsa_float_denorm_mode_32 3
		.amdhsa_float_denorm_mode_16_64 3
		.amdhsa_dx10_clamp 1
		.amdhsa_ieee_mode 1
		.amdhsa_fp16_overflow 0
		.amdhsa_exception_fp_ieee_invalid_op 0
		.amdhsa_exception_fp_denorm_src 0
		.amdhsa_exception_fp_ieee_div_zero 0
		.amdhsa_exception_fp_ieee_overflow 0
		.amdhsa_exception_fp_ieee_underflow 0
		.amdhsa_exception_fp_ieee_inexact 0
		.amdhsa_exception_int_div_zero 0
	.end_amdhsa_kernel
	.section	.text._ZN7rocprim17ROCPRIM_400000_NS6detail17trampoline_kernelINS0_14default_configENS1_32segmented_reduce_config_selectorIdEEZNS1_21segmented_reduce_implIS3_PKdPdPKidN6hipcub16HIPCUB_304000_NS6detail27convert_result_type_wrapperIS8_S9_N2at6native12_GLOBAL__N_19CustomMinEEEEE10hipError_tPvRmT0_T1_jT2_SQ_T4_T3_P12ihipStream_tbEUlT_E_NS1_11comp_targetILNS1_3genE4ELNS1_11target_archE910ELNS1_3gpuE8ELNS1_3repE0EEENS1_30default_config_static_selectorELNS0_4arch9wavefront6targetE1EEEvSP_,"axG",@progbits,_ZN7rocprim17ROCPRIM_400000_NS6detail17trampoline_kernelINS0_14default_configENS1_32segmented_reduce_config_selectorIdEEZNS1_21segmented_reduce_implIS3_PKdPdPKidN6hipcub16HIPCUB_304000_NS6detail27convert_result_type_wrapperIS8_S9_N2at6native12_GLOBAL__N_19CustomMinEEEEE10hipError_tPvRmT0_T1_jT2_SQ_T4_T3_P12ihipStream_tbEUlT_E_NS1_11comp_targetILNS1_3genE4ELNS1_11target_archE910ELNS1_3gpuE8ELNS1_3repE0EEENS1_30default_config_static_selectorELNS0_4arch9wavefront6targetE1EEEvSP_,comdat
.Lfunc_end29:
	.size	_ZN7rocprim17ROCPRIM_400000_NS6detail17trampoline_kernelINS0_14default_configENS1_32segmented_reduce_config_selectorIdEEZNS1_21segmented_reduce_implIS3_PKdPdPKidN6hipcub16HIPCUB_304000_NS6detail27convert_result_type_wrapperIS8_S9_N2at6native12_GLOBAL__N_19CustomMinEEEEE10hipError_tPvRmT0_T1_jT2_SQ_T4_T3_P12ihipStream_tbEUlT_E_NS1_11comp_targetILNS1_3genE4ELNS1_11target_archE910ELNS1_3gpuE8ELNS1_3repE0EEENS1_30default_config_static_selectorELNS0_4arch9wavefront6targetE1EEEvSP_, .Lfunc_end29-_ZN7rocprim17ROCPRIM_400000_NS6detail17trampoline_kernelINS0_14default_configENS1_32segmented_reduce_config_selectorIdEEZNS1_21segmented_reduce_implIS3_PKdPdPKidN6hipcub16HIPCUB_304000_NS6detail27convert_result_type_wrapperIS8_S9_N2at6native12_GLOBAL__N_19CustomMinEEEEE10hipError_tPvRmT0_T1_jT2_SQ_T4_T3_P12ihipStream_tbEUlT_E_NS1_11comp_targetILNS1_3genE4ELNS1_11target_archE910ELNS1_3gpuE8ELNS1_3repE0EEENS1_30default_config_static_selectorELNS0_4arch9wavefront6targetE1EEEvSP_
                                        ; -- End function
	.set _ZN7rocprim17ROCPRIM_400000_NS6detail17trampoline_kernelINS0_14default_configENS1_32segmented_reduce_config_selectorIdEEZNS1_21segmented_reduce_implIS3_PKdPdPKidN6hipcub16HIPCUB_304000_NS6detail27convert_result_type_wrapperIS8_S9_N2at6native12_GLOBAL__N_19CustomMinEEEEE10hipError_tPvRmT0_T1_jT2_SQ_T4_T3_P12ihipStream_tbEUlT_E_NS1_11comp_targetILNS1_3genE4ELNS1_11target_archE910ELNS1_3gpuE8ELNS1_3repE0EEENS1_30default_config_static_selectorELNS0_4arch9wavefront6targetE1EEEvSP_.num_vgpr, 0
	.set _ZN7rocprim17ROCPRIM_400000_NS6detail17trampoline_kernelINS0_14default_configENS1_32segmented_reduce_config_selectorIdEEZNS1_21segmented_reduce_implIS3_PKdPdPKidN6hipcub16HIPCUB_304000_NS6detail27convert_result_type_wrapperIS8_S9_N2at6native12_GLOBAL__N_19CustomMinEEEEE10hipError_tPvRmT0_T1_jT2_SQ_T4_T3_P12ihipStream_tbEUlT_E_NS1_11comp_targetILNS1_3genE4ELNS1_11target_archE910ELNS1_3gpuE8ELNS1_3repE0EEENS1_30default_config_static_selectorELNS0_4arch9wavefront6targetE1EEEvSP_.num_agpr, 0
	.set _ZN7rocprim17ROCPRIM_400000_NS6detail17trampoline_kernelINS0_14default_configENS1_32segmented_reduce_config_selectorIdEEZNS1_21segmented_reduce_implIS3_PKdPdPKidN6hipcub16HIPCUB_304000_NS6detail27convert_result_type_wrapperIS8_S9_N2at6native12_GLOBAL__N_19CustomMinEEEEE10hipError_tPvRmT0_T1_jT2_SQ_T4_T3_P12ihipStream_tbEUlT_E_NS1_11comp_targetILNS1_3genE4ELNS1_11target_archE910ELNS1_3gpuE8ELNS1_3repE0EEENS1_30default_config_static_selectorELNS0_4arch9wavefront6targetE1EEEvSP_.numbered_sgpr, 0
	.set _ZN7rocprim17ROCPRIM_400000_NS6detail17trampoline_kernelINS0_14default_configENS1_32segmented_reduce_config_selectorIdEEZNS1_21segmented_reduce_implIS3_PKdPdPKidN6hipcub16HIPCUB_304000_NS6detail27convert_result_type_wrapperIS8_S9_N2at6native12_GLOBAL__N_19CustomMinEEEEE10hipError_tPvRmT0_T1_jT2_SQ_T4_T3_P12ihipStream_tbEUlT_E_NS1_11comp_targetILNS1_3genE4ELNS1_11target_archE910ELNS1_3gpuE8ELNS1_3repE0EEENS1_30default_config_static_selectorELNS0_4arch9wavefront6targetE1EEEvSP_.num_named_barrier, 0
	.set _ZN7rocprim17ROCPRIM_400000_NS6detail17trampoline_kernelINS0_14default_configENS1_32segmented_reduce_config_selectorIdEEZNS1_21segmented_reduce_implIS3_PKdPdPKidN6hipcub16HIPCUB_304000_NS6detail27convert_result_type_wrapperIS8_S9_N2at6native12_GLOBAL__N_19CustomMinEEEEE10hipError_tPvRmT0_T1_jT2_SQ_T4_T3_P12ihipStream_tbEUlT_E_NS1_11comp_targetILNS1_3genE4ELNS1_11target_archE910ELNS1_3gpuE8ELNS1_3repE0EEENS1_30default_config_static_selectorELNS0_4arch9wavefront6targetE1EEEvSP_.private_seg_size, 0
	.set _ZN7rocprim17ROCPRIM_400000_NS6detail17trampoline_kernelINS0_14default_configENS1_32segmented_reduce_config_selectorIdEEZNS1_21segmented_reduce_implIS3_PKdPdPKidN6hipcub16HIPCUB_304000_NS6detail27convert_result_type_wrapperIS8_S9_N2at6native12_GLOBAL__N_19CustomMinEEEEE10hipError_tPvRmT0_T1_jT2_SQ_T4_T3_P12ihipStream_tbEUlT_E_NS1_11comp_targetILNS1_3genE4ELNS1_11target_archE910ELNS1_3gpuE8ELNS1_3repE0EEENS1_30default_config_static_selectorELNS0_4arch9wavefront6targetE1EEEvSP_.uses_vcc, 0
	.set _ZN7rocprim17ROCPRIM_400000_NS6detail17trampoline_kernelINS0_14default_configENS1_32segmented_reduce_config_selectorIdEEZNS1_21segmented_reduce_implIS3_PKdPdPKidN6hipcub16HIPCUB_304000_NS6detail27convert_result_type_wrapperIS8_S9_N2at6native12_GLOBAL__N_19CustomMinEEEEE10hipError_tPvRmT0_T1_jT2_SQ_T4_T3_P12ihipStream_tbEUlT_E_NS1_11comp_targetILNS1_3genE4ELNS1_11target_archE910ELNS1_3gpuE8ELNS1_3repE0EEENS1_30default_config_static_selectorELNS0_4arch9wavefront6targetE1EEEvSP_.uses_flat_scratch, 0
	.set _ZN7rocprim17ROCPRIM_400000_NS6detail17trampoline_kernelINS0_14default_configENS1_32segmented_reduce_config_selectorIdEEZNS1_21segmented_reduce_implIS3_PKdPdPKidN6hipcub16HIPCUB_304000_NS6detail27convert_result_type_wrapperIS8_S9_N2at6native12_GLOBAL__N_19CustomMinEEEEE10hipError_tPvRmT0_T1_jT2_SQ_T4_T3_P12ihipStream_tbEUlT_E_NS1_11comp_targetILNS1_3genE4ELNS1_11target_archE910ELNS1_3gpuE8ELNS1_3repE0EEENS1_30default_config_static_selectorELNS0_4arch9wavefront6targetE1EEEvSP_.has_dyn_sized_stack, 0
	.set _ZN7rocprim17ROCPRIM_400000_NS6detail17trampoline_kernelINS0_14default_configENS1_32segmented_reduce_config_selectorIdEEZNS1_21segmented_reduce_implIS3_PKdPdPKidN6hipcub16HIPCUB_304000_NS6detail27convert_result_type_wrapperIS8_S9_N2at6native12_GLOBAL__N_19CustomMinEEEEE10hipError_tPvRmT0_T1_jT2_SQ_T4_T3_P12ihipStream_tbEUlT_E_NS1_11comp_targetILNS1_3genE4ELNS1_11target_archE910ELNS1_3gpuE8ELNS1_3repE0EEENS1_30default_config_static_selectorELNS0_4arch9wavefront6targetE1EEEvSP_.has_recursion, 0
	.set _ZN7rocprim17ROCPRIM_400000_NS6detail17trampoline_kernelINS0_14default_configENS1_32segmented_reduce_config_selectorIdEEZNS1_21segmented_reduce_implIS3_PKdPdPKidN6hipcub16HIPCUB_304000_NS6detail27convert_result_type_wrapperIS8_S9_N2at6native12_GLOBAL__N_19CustomMinEEEEE10hipError_tPvRmT0_T1_jT2_SQ_T4_T3_P12ihipStream_tbEUlT_E_NS1_11comp_targetILNS1_3genE4ELNS1_11target_archE910ELNS1_3gpuE8ELNS1_3repE0EEENS1_30default_config_static_selectorELNS0_4arch9wavefront6targetE1EEEvSP_.has_indirect_call, 0
	.section	.AMDGPU.csdata,"",@progbits
; Kernel info:
; codeLenInByte = 0
; TotalNumSgprs: 4
; NumVgprs: 0
; ScratchSize: 0
; MemoryBound: 0
; FloatMode: 240
; IeeeMode: 1
; LDSByteSize: 0 bytes/workgroup (compile time only)
; SGPRBlocks: 0
; VGPRBlocks: 0
; NumSGPRsForWavesPerEU: 4
; NumVGPRsForWavesPerEU: 1
; Occupancy: 10
; WaveLimiterHint : 0
; COMPUTE_PGM_RSRC2:SCRATCH_EN: 0
; COMPUTE_PGM_RSRC2:USER_SGPR: 6
; COMPUTE_PGM_RSRC2:TRAP_HANDLER: 0
; COMPUTE_PGM_RSRC2:TGID_X_EN: 1
; COMPUTE_PGM_RSRC2:TGID_Y_EN: 0
; COMPUTE_PGM_RSRC2:TGID_Z_EN: 0
; COMPUTE_PGM_RSRC2:TIDIG_COMP_CNT: 0
	.section	.text._ZN7rocprim17ROCPRIM_400000_NS6detail17trampoline_kernelINS0_14default_configENS1_32segmented_reduce_config_selectorIdEEZNS1_21segmented_reduce_implIS3_PKdPdPKidN6hipcub16HIPCUB_304000_NS6detail27convert_result_type_wrapperIS8_S9_N2at6native12_GLOBAL__N_19CustomMinEEEEE10hipError_tPvRmT0_T1_jT2_SQ_T4_T3_P12ihipStream_tbEUlT_E_NS1_11comp_targetILNS1_3genE3ELNS1_11target_archE908ELNS1_3gpuE7ELNS1_3repE0EEENS1_30default_config_static_selectorELNS0_4arch9wavefront6targetE1EEEvSP_,"axG",@progbits,_ZN7rocprim17ROCPRIM_400000_NS6detail17trampoline_kernelINS0_14default_configENS1_32segmented_reduce_config_selectorIdEEZNS1_21segmented_reduce_implIS3_PKdPdPKidN6hipcub16HIPCUB_304000_NS6detail27convert_result_type_wrapperIS8_S9_N2at6native12_GLOBAL__N_19CustomMinEEEEE10hipError_tPvRmT0_T1_jT2_SQ_T4_T3_P12ihipStream_tbEUlT_E_NS1_11comp_targetILNS1_3genE3ELNS1_11target_archE908ELNS1_3gpuE7ELNS1_3repE0EEENS1_30default_config_static_selectorELNS0_4arch9wavefront6targetE1EEEvSP_,comdat
	.globl	_ZN7rocprim17ROCPRIM_400000_NS6detail17trampoline_kernelINS0_14default_configENS1_32segmented_reduce_config_selectorIdEEZNS1_21segmented_reduce_implIS3_PKdPdPKidN6hipcub16HIPCUB_304000_NS6detail27convert_result_type_wrapperIS8_S9_N2at6native12_GLOBAL__N_19CustomMinEEEEE10hipError_tPvRmT0_T1_jT2_SQ_T4_T3_P12ihipStream_tbEUlT_E_NS1_11comp_targetILNS1_3genE3ELNS1_11target_archE908ELNS1_3gpuE7ELNS1_3repE0EEENS1_30default_config_static_selectorELNS0_4arch9wavefront6targetE1EEEvSP_ ; -- Begin function _ZN7rocprim17ROCPRIM_400000_NS6detail17trampoline_kernelINS0_14default_configENS1_32segmented_reduce_config_selectorIdEEZNS1_21segmented_reduce_implIS3_PKdPdPKidN6hipcub16HIPCUB_304000_NS6detail27convert_result_type_wrapperIS8_S9_N2at6native12_GLOBAL__N_19CustomMinEEEEE10hipError_tPvRmT0_T1_jT2_SQ_T4_T3_P12ihipStream_tbEUlT_E_NS1_11comp_targetILNS1_3genE3ELNS1_11target_archE908ELNS1_3gpuE7ELNS1_3repE0EEENS1_30default_config_static_selectorELNS0_4arch9wavefront6targetE1EEEvSP_
	.p2align	8
	.type	_ZN7rocprim17ROCPRIM_400000_NS6detail17trampoline_kernelINS0_14default_configENS1_32segmented_reduce_config_selectorIdEEZNS1_21segmented_reduce_implIS3_PKdPdPKidN6hipcub16HIPCUB_304000_NS6detail27convert_result_type_wrapperIS8_S9_N2at6native12_GLOBAL__N_19CustomMinEEEEE10hipError_tPvRmT0_T1_jT2_SQ_T4_T3_P12ihipStream_tbEUlT_E_NS1_11comp_targetILNS1_3genE3ELNS1_11target_archE908ELNS1_3gpuE7ELNS1_3repE0EEENS1_30default_config_static_selectorELNS0_4arch9wavefront6targetE1EEEvSP_,@function
_ZN7rocprim17ROCPRIM_400000_NS6detail17trampoline_kernelINS0_14default_configENS1_32segmented_reduce_config_selectorIdEEZNS1_21segmented_reduce_implIS3_PKdPdPKidN6hipcub16HIPCUB_304000_NS6detail27convert_result_type_wrapperIS8_S9_N2at6native12_GLOBAL__N_19CustomMinEEEEE10hipError_tPvRmT0_T1_jT2_SQ_T4_T3_P12ihipStream_tbEUlT_E_NS1_11comp_targetILNS1_3genE3ELNS1_11target_archE908ELNS1_3gpuE7ELNS1_3repE0EEENS1_30default_config_static_selectorELNS0_4arch9wavefront6targetE1EEEvSP_: ; @_ZN7rocprim17ROCPRIM_400000_NS6detail17trampoline_kernelINS0_14default_configENS1_32segmented_reduce_config_selectorIdEEZNS1_21segmented_reduce_implIS3_PKdPdPKidN6hipcub16HIPCUB_304000_NS6detail27convert_result_type_wrapperIS8_S9_N2at6native12_GLOBAL__N_19CustomMinEEEEE10hipError_tPvRmT0_T1_jT2_SQ_T4_T3_P12ihipStream_tbEUlT_E_NS1_11comp_targetILNS1_3genE3ELNS1_11target_archE908ELNS1_3gpuE7ELNS1_3repE0EEENS1_30default_config_static_selectorELNS0_4arch9wavefront6targetE1EEEvSP_
; %bb.0:
	.section	.rodata,"a",@progbits
	.p2align	6, 0x0
	.amdhsa_kernel _ZN7rocprim17ROCPRIM_400000_NS6detail17trampoline_kernelINS0_14default_configENS1_32segmented_reduce_config_selectorIdEEZNS1_21segmented_reduce_implIS3_PKdPdPKidN6hipcub16HIPCUB_304000_NS6detail27convert_result_type_wrapperIS8_S9_N2at6native12_GLOBAL__N_19CustomMinEEEEE10hipError_tPvRmT0_T1_jT2_SQ_T4_T3_P12ihipStream_tbEUlT_E_NS1_11comp_targetILNS1_3genE3ELNS1_11target_archE908ELNS1_3gpuE7ELNS1_3repE0EEENS1_30default_config_static_selectorELNS0_4arch9wavefront6targetE1EEEvSP_
		.amdhsa_group_segment_fixed_size 0
		.amdhsa_private_segment_fixed_size 0
		.amdhsa_kernarg_size 56
		.amdhsa_user_sgpr_count 6
		.amdhsa_user_sgpr_private_segment_buffer 1
		.amdhsa_user_sgpr_dispatch_ptr 0
		.amdhsa_user_sgpr_queue_ptr 0
		.amdhsa_user_sgpr_kernarg_segment_ptr 1
		.amdhsa_user_sgpr_dispatch_id 0
		.amdhsa_user_sgpr_flat_scratch_init 0
		.amdhsa_user_sgpr_private_segment_size 0
		.amdhsa_uses_dynamic_stack 0
		.amdhsa_system_sgpr_private_segment_wavefront_offset 0
		.amdhsa_system_sgpr_workgroup_id_x 1
		.amdhsa_system_sgpr_workgroup_id_y 0
		.amdhsa_system_sgpr_workgroup_id_z 0
		.amdhsa_system_sgpr_workgroup_info 0
		.amdhsa_system_vgpr_workitem_id 0
		.amdhsa_next_free_vgpr 1
		.amdhsa_next_free_sgpr 0
		.amdhsa_reserve_vcc 0
		.amdhsa_reserve_flat_scratch 0
		.amdhsa_float_round_mode_32 0
		.amdhsa_float_round_mode_16_64 0
		.amdhsa_float_denorm_mode_32 3
		.amdhsa_float_denorm_mode_16_64 3
		.amdhsa_dx10_clamp 1
		.amdhsa_ieee_mode 1
		.amdhsa_fp16_overflow 0
		.amdhsa_exception_fp_ieee_invalid_op 0
		.amdhsa_exception_fp_denorm_src 0
		.amdhsa_exception_fp_ieee_div_zero 0
		.amdhsa_exception_fp_ieee_overflow 0
		.amdhsa_exception_fp_ieee_underflow 0
		.amdhsa_exception_fp_ieee_inexact 0
		.amdhsa_exception_int_div_zero 0
	.end_amdhsa_kernel
	.section	.text._ZN7rocprim17ROCPRIM_400000_NS6detail17trampoline_kernelINS0_14default_configENS1_32segmented_reduce_config_selectorIdEEZNS1_21segmented_reduce_implIS3_PKdPdPKidN6hipcub16HIPCUB_304000_NS6detail27convert_result_type_wrapperIS8_S9_N2at6native12_GLOBAL__N_19CustomMinEEEEE10hipError_tPvRmT0_T1_jT2_SQ_T4_T3_P12ihipStream_tbEUlT_E_NS1_11comp_targetILNS1_3genE3ELNS1_11target_archE908ELNS1_3gpuE7ELNS1_3repE0EEENS1_30default_config_static_selectorELNS0_4arch9wavefront6targetE1EEEvSP_,"axG",@progbits,_ZN7rocprim17ROCPRIM_400000_NS6detail17trampoline_kernelINS0_14default_configENS1_32segmented_reduce_config_selectorIdEEZNS1_21segmented_reduce_implIS3_PKdPdPKidN6hipcub16HIPCUB_304000_NS6detail27convert_result_type_wrapperIS8_S9_N2at6native12_GLOBAL__N_19CustomMinEEEEE10hipError_tPvRmT0_T1_jT2_SQ_T4_T3_P12ihipStream_tbEUlT_E_NS1_11comp_targetILNS1_3genE3ELNS1_11target_archE908ELNS1_3gpuE7ELNS1_3repE0EEENS1_30default_config_static_selectorELNS0_4arch9wavefront6targetE1EEEvSP_,comdat
.Lfunc_end30:
	.size	_ZN7rocprim17ROCPRIM_400000_NS6detail17trampoline_kernelINS0_14default_configENS1_32segmented_reduce_config_selectorIdEEZNS1_21segmented_reduce_implIS3_PKdPdPKidN6hipcub16HIPCUB_304000_NS6detail27convert_result_type_wrapperIS8_S9_N2at6native12_GLOBAL__N_19CustomMinEEEEE10hipError_tPvRmT0_T1_jT2_SQ_T4_T3_P12ihipStream_tbEUlT_E_NS1_11comp_targetILNS1_3genE3ELNS1_11target_archE908ELNS1_3gpuE7ELNS1_3repE0EEENS1_30default_config_static_selectorELNS0_4arch9wavefront6targetE1EEEvSP_, .Lfunc_end30-_ZN7rocprim17ROCPRIM_400000_NS6detail17trampoline_kernelINS0_14default_configENS1_32segmented_reduce_config_selectorIdEEZNS1_21segmented_reduce_implIS3_PKdPdPKidN6hipcub16HIPCUB_304000_NS6detail27convert_result_type_wrapperIS8_S9_N2at6native12_GLOBAL__N_19CustomMinEEEEE10hipError_tPvRmT0_T1_jT2_SQ_T4_T3_P12ihipStream_tbEUlT_E_NS1_11comp_targetILNS1_3genE3ELNS1_11target_archE908ELNS1_3gpuE7ELNS1_3repE0EEENS1_30default_config_static_selectorELNS0_4arch9wavefront6targetE1EEEvSP_
                                        ; -- End function
	.set _ZN7rocprim17ROCPRIM_400000_NS6detail17trampoline_kernelINS0_14default_configENS1_32segmented_reduce_config_selectorIdEEZNS1_21segmented_reduce_implIS3_PKdPdPKidN6hipcub16HIPCUB_304000_NS6detail27convert_result_type_wrapperIS8_S9_N2at6native12_GLOBAL__N_19CustomMinEEEEE10hipError_tPvRmT0_T1_jT2_SQ_T4_T3_P12ihipStream_tbEUlT_E_NS1_11comp_targetILNS1_3genE3ELNS1_11target_archE908ELNS1_3gpuE7ELNS1_3repE0EEENS1_30default_config_static_selectorELNS0_4arch9wavefront6targetE1EEEvSP_.num_vgpr, 0
	.set _ZN7rocprim17ROCPRIM_400000_NS6detail17trampoline_kernelINS0_14default_configENS1_32segmented_reduce_config_selectorIdEEZNS1_21segmented_reduce_implIS3_PKdPdPKidN6hipcub16HIPCUB_304000_NS6detail27convert_result_type_wrapperIS8_S9_N2at6native12_GLOBAL__N_19CustomMinEEEEE10hipError_tPvRmT0_T1_jT2_SQ_T4_T3_P12ihipStream_tbEUlT_E_NS1_11comp_targetILNS1_3genE3ELNS1_11target_archE908ELNS1_3gpuE7ELNS1_3repE0EEENS1_30default_config_static_selectorELNS0_4arch9wavefront6targetE1EEEvSP_.num_agpr, 0
	.set _ZN7rocprim17ROCPRIM_400000_NS6detail17trampoline_kernelINS0_14default_configENS1_32segmented_reduce_config_selectorIdEEZNS1_21segmented_reduce_implIS3_PKdPdPKidN6hipcub16HIPCUB_304000_NS6detail27convert_result_type_wrapperIS8_S9_N2at6native12_GLOBAL__N_19CustomMinEEEEE10hipError_tPvRmT0_T1_jT2_SQ_T4_T3_P12ihipStream_tbEUlT_E_NS1_11comp_targetILNS1_3genE3ELNS1_11target_archE908ELNS1_3gpuE7ELNS1_3repE0EEENS1_30default_config_static_selectorELNS0_4arch9wavefront6targetE1EEEvSP_.numbered_sgpr, 0
	.set _ZN7rocprim17ROCPRIM_400000_NS6detail17trampoline_kernelINS0_14default_configENS1_32segmented_reduce_config_selectorIdEEZNS1_21segmented_reduce_implIS3_PKdPdPKidN6hipcub16HIPCUB_304000_NS6detail27convert_result_type_wrapperIS8_S9_N2at6native12_GLOBAL__N_19CustomMinEEEEE10hipError_tPvRmT0_T1_jT2_SQ_T4_T3_P12ihipStream_tbEUlT_E_NS1_11comp_targetILNS1_3genE3ELNS1_11target_archE908ELNS1_3gpuE7ELNS1_3repE0EEENS1_30default_config_static_selectorELNS0_4arch9wavefront6targetE1EEEvSP_.num_named_barrier, 0
	.set _ZN7rocprim17ROCPRIM_400000_NS6detail17trampoline_kernelINS0_14default_configENS1_32segmented_reduce_config_selectorIdEEZNS1_21segmented_reduce_implIS3_PKdPdPKidN6hipcub16HIPCUB_304000_NS6detail27convert_result_type_wrapperIS8_S9_N2at6native12_GLOBAL__N_19CustomMinEEEEE10hipError_tPvRmT0_T1_jT2_SQ_T4_T3_P12ihipStream_tbEUlT_E_NS1_11comp_targetILNS1_3genE3ELNS1_11target_archE908ELNS1_3gpuE7ELNS1_3repE0EEENS1_30default_config_static_selectorELNS0_4arch9wavefront6targetE1EEEvSP_.private_seg_size, 0
	.set _ZN7rocprim17ROCPRIM_400000_NS6detail17trampoline_kernelINS0_14default_configENS1_32segmented_reduce_config_selectorIdEEZNS1_21segmented_reduce_implIS3_PKdPdPKidN6hipcub16HIPCUB_304000_NS6detail27convert_result_type_wrapperIS8_S9_N2at6native12_GLOBAL__N_19CustomMinEEEEE10hipError_tPvRmT0_T1_jT2_SQ_T4_T3_P12ihipStream_tbEUlT_E_NS1_11comp_targetILNS1_3genE3ELNS1_11target_archE908ELNS1_3gpuE7ELNS1_3repE0EEENS1_30default_config_static_selectorELNS0_4arch9wavefront6targetE1EEEvSP_.uses_vcc, 0
	.set _ZN7rocprim17ROCPRIM_400000_NS6detail17trampoline_kernelINS0_14default_configENS1_32segmented_reduce_config_selectorIdEEZNS1_21segmented_reduce_implIS3_PKdPdPKidN6hipcub16HIPCUB_304000_NS6detail27convert_result_type_wrapperIS8_S9_N2at6native12_GLOBAL__N_19CustomMinEEEEE10hipError_tPvRmT0_T1_jT2_SQ_T4_T3_P12ihipStream_tbEUlT_E_NS1_11comp_targetILNS1_3genE3ELNS1_11target_archE908ELNS1_3gpuE7ELNS1_3repE0EEENS1_30default_config_static_selectorELNS0_4arch9wavefront6targetE1EEEvSP_.uses_flat_scratch, 0
	.set _ZN7rocprim17ROCPRIM_400000_NS6detail17trampoline_kernelINS0_14default_configENS1_32segmented_reduce_config_selectorIdEEZNS1_21segmented_reduce_implIS3_PKdPdPKidN6hipcub16HIPCUB_304000_NS6detail27convert_result_type_wrapperIS8_S9_N2at6native12_GLOBAL__N_19CustomMinEEEEE10hipError_tPvRmT0_T1_jT2_SQ_T4_T3_P12ihipStream_tbEUlT_E_NS1_11comp_targetILNS1_3genE3ELNS1_11target_archE908ELNS1_3gpuE7ELNS1_3repE0EEENS1_30default_config_static_selectorELNS0_4arch9wavefront6targetE1EEEvSP_.has_dyn_sized_stack, 0
	.set _ZN7rocprim17ROCPRIM_400000_NS6detail17trampoline_kernelINS0_14default_configENS1_32segmented_reduce_config_selectorIdEEZNS1_21segmented_reduce_implIS3_PKdPdPKidN6hipcub16HIPCUB_304000_NS6detail27convert_result_type_wrapperIS8_S9_N2at6native12_GLOBAL__N_19CustomMinEEEEE10hipError_tPvRmT0_T1_jT2_SQ_T4_T3_P12ihipStream_tbEUlT_E_NS1_11comp_targetILNS1_3genE3ELNS1_11target_archE908ELNS1_3gpuE7ELNS1_3repE0EEENS1_30default_config_static_selectorELNS0_4arch9wavefront6targetE1EEEvSP_.has_recursion, 0
	.set _ZN7rocprim17ROCPRIM_400000_NS6detail17trampoline_kernelINS0_14default_configENS1_32segmented_reduce_config_selectorIdEEZNS1_21segmented_reduce_implIS3_PKdPdPKidN6hipcub16HIPCUB_304000_NS6detail27convert_result_type_wrapperIS8_S9_N2at6native12_GLOBAL__N_19CustomMinEEEEE10hipError_tPvRmT0_T1_jT2_SQ_T4_T3_P12ihipStream_tbEUlT_E_NS1_11comp_targetILNS1_3genE3ELNS1_11target_archE908ELNS1_3gpuE7ELNS1_3repE0EEENS1_30default_config_static_selectorELNS0_4arch9wavefront6targetE1EEEvSP_.has_indirect_call, 0
	.section	.AMDGPU.csdata,"",@progbits
; Kernel info:
; codeLenInByte = 0
; TotalNumSgprs: 4
; NumVgprs: 0
; ScratchSize: 0
; MemoryBound: 0
; FloatMode: 240
; IeeeMode: 1
; LDSByteSize: 0 bytes/workgroup (compile time only)
; SGPRBlocks: 0
; VGPRBlocks: 0
; NumSGPRsForWavesPerEU: 4
; NumVGPRsForWavesPerEU: 1
; Occupancy: 10
; WaveLimiterHint : 0
; COMPUTE_PGM_RSRC2:SCRATCH_EN: 0
; COMPUTE_PGM_RSRC2:USER_SGPR: 6
; COMPUTE_PGM_RSRC2:TRAP_HANDLER: 0
; COMPUTE_PGM_RSRC2:TGID_X_EN: 1
; COMPUTE_PGM_RSRC2:TGID_Y_EN: 0
; COMPUTE_PGM_RSRC2:TGID_Z_EN: 0
; COMPUTE_PGM_RSRC2:TIDIG_COMP_CNT: 0
	.section	.text._ZN7rocprim17ROCPRIM_400000_NS6detail17trampoline_kernelINS0_14default_configENS1_32segmented_reduce_config_selectorIdEEZNS1_21segmented_reduce_implIS3_PKdPdPKidN6hipcub16HIPCUB_304000_NS6detail27convert_result_type_wrapperIS8_S9_N2at6native12_GLOBAL__N_19CustomMinEEEEE10hipError_tPvRmT0_T1_jT2_SQ_T4_T3_P12ihipStream_tbEUlT_E_NS1_11comp_targetILNS1_3genE2ELNS1_11target_archE906ELNS1_3gpuE6ELNS1_3repE0EEENS1_30default_config_static_selectorELNS0_4arch9wavefront6targetE1EEEvSP_,"axG",@progbits,_ZN7rocprim17ROCPRIM_400000_NS6detail17trampoline_kernelINS0_14default_configENS1_32segmented_reduce_config_selectorIdEEZNS1_21segmented_reduce_implIS3_PKdPdPKidN6hipcub16HIPCUB_304000_NS6detail27convert_result_type_wrapperIS8_S9_N2at6native12_GLOBAL__N_19CustomMinEEEEE10hipError_tPvRmT0_T1_jT2_SQ_T4_T3_P12ihipStream_tbEUlT_E_NS1_11comp_targetILNS1_3genE2ELNS1_11target_archE906ELNS1_3gpuE6ELNS1_3repE0EEENS1_30default_config_static_selectorELNS0_4arch9wavefront6targetE1EEEvSP_,comdat
	.globl	_ZN7rocprim17ROCPRIM_400000_NS6detail17trampoline_kernelINS0_14default_configENS1_32segmented_reduce_config_selectorIdEEZNS1_21segmented_reduce_implIS3_PKdPdPKidN6hipcub16HIPCUB_304000_NS6detail27convert_result_type_wrapperIS8_S9_N2at6native12_GLOBAL__N_19CustomMinEEEEE10hipError_tPvRmT0_T1_jT2_SQ_T4_T3_P12ihipStream_tbEUlT_E_NS1_11comp_targetILNS1_3genE2ELNS1_11target_archE906ELNS1_3gpuE6ELNS1_3repE0EEENS1_30default_config_static_selectorELNS0_4arch9wavefront6targetE1EEEvSP_ ; -- Begin function _ZN7rocprim17ROCPRIM_400000_NS6detail17trampoline_kernelINS0_14default_configENS1_32segmented_reduce_config_selectorIdEEZNS1_21segmented_reduce_implIS3_PKdPdPKidN6hipcub16HIPCUB_304000_NS6detail27convert_result_type_wrapperIS8_S9_N2at6native12_GLOBAL__N_19CustomMinEEEEE10hipError_tPvRmT0_T1_jT2_SQ_T4_T3_P12ihipStream_tbEUlT_E_NS1_11comp_targetILNS1_3genE2ELNS1_11target_archE906ELNS1_3gpuE6ELNS1_3repE0EEENS1_30default_config_static_selectorELNS0_4arch9wavefront6targetE1EEEvSP_
	.p2align	8
	.type	_ZN7rocprim17ROCPRIM_400000_NS6detail17trampoline_kernelINS0_14default_configENS1_32segmented_reduce_config_selectorIdEEZNS1_21segmented_reduce_implIS3_PKdPdPKidN6hipcub16HIPCUB_304000_NS6detail27convert_result_type_wrapperIS8_S9_N2at6native12_GLOBAL__N_19CustomMinEEEEE10hipError_tPvRmT0_T1_jT2_SQ_T4_T3_P12ihipStream_tbEUlT_E_NS1_11comp_targetILNS1_3genE2ELNS1_11target_archE906ELNS1_3gpuE6ELNS1_3repE0EEENS1_30default_config_static_selectorELNS0_4arch9wavefront6targetE1EEEvSP_,@function
_ZN7rocprim17ROCPRIM_400000_NS6detail17trampoline_kernelINS0_14default_configENS1_32segmented_reduce_config_selectorIdEEZNS1_21segmented_reduce_implIS3_PKdPdPKidN6hipcub16HIPCUB_304000_NS6detail27convert_result_type_wrapperIS8_S9_N2at6native12_GLOBAL__N_19CustomMinEEEEE10hipError_tPvRmT0_T1_jT2_SQ_T4_T3_P12ihipStream_tbEUlT_E_NS1_11comp_targetILNS1_3genE2ELNS1_11target_archE906ELNS1_3gpuE6ELNS1_3repE0EEENS1_30default_config_static_selectorELNS0_4arch9wavefront6targetE1EEEvSP_: ; @_ZN7rocprim17ROCPRIM_400000_NS6detail17trampoline_kernelINS0_14default_configENS1_32segmented_reduce_config_selectorIdEEZNS1_21segmented_reduce_implIS3_PKdPdPKidN6hipcub16HIPCUB_304000_NS6detail27convert_result_type_wrapperIS8_S9_N2at6native12_GLOBAL__N_19CustomMinEEEEE10hipError_tPvRmT0_T1_jT2_SQ_T4_T3_P12ihipStream_tbEUlT_E_NS1_11comp_targetILNS1_3genE2ELNS1_11target_archE906ELNS1_3gpuE6ELNS1_3repE0EEENS1_30default_config_static_selectorELNS0_4arch9wavefront6targetE1EEEvSP_
; %bb.0:
	s_load_dwordx8 s[8:15], s[4:5], 0x0
	s_load_dwordx2 s[0:1], s[4:5], 0x20
	s_load_dwordx2 s[2:3], s[4:5], 0x30
	s_mov_b32 s7, 0
	v_cmp_eq_u32_e32 vcc, 0, v0
	s_waitcnt lgkmcnt(0)
	s_lshl_b64 s[4:5], s[12:13], 2
	s_add_u32 s14, s14, s4
	s_addc_u32 s15, s15, s5
	s_add_u32 s16, s0, s4
	s_addc_u32 s17, s1, s5
	s_lshl_b64 s[0:1], s[6:7], 2
	s_add_u32 s4, s14, s0
	s_addc_u32 s5, s15, s1
	s_add_u32 s0, s16, s0
	s_addc_u32 s1, s17, s1
	s_load_dword s14, s[4:5], 0x0
	s_load_dword s22, s[0:1], 0x0
	s_waitcnt lgkmcnt(0)
	s_cmp_gt_i32 s22, s14
	s_cbranch_scc1 .LBB31_3
; %bb.1:
	s_and_b64 s[4:5], vcc, exec
	s_cbranch_execz .LBB31_4
; %bb.2:
	v_mov_b32_e32 v4, s3
	v_mov_b32_e32 v3, s2
	s_and_saveexec_b64 s[0:1], s[4:5]
	s_cbranch_execnz .LBB31_261
	s_branch .LBB31_262
.LBB31_3:
	s_mov_b64 s[4:5], 0
.LBB31_4:
	s_add_i32 s0, s14, 0x800
	s_cmp_le_i32 s0, s22
	s_cbranch_scc0 .LBB31_13
; %bb.5:
	s_ashr_i32 s15, s14, 31
	s_lshl_b64 s[16:17], s[14:15], 3
	s_add_u32 s16, s8, s16
	s_addc_u32 s17, s9, s17
	v_lshlrev_b32_e32 v21, 3, v0
	v_mov_b32_e32 v1, s17
	v_add_co_u32_e32 v3, vcc, s16, v21
	v_addc_co_u32_e32 v4, vcc, 0, v1, vcc
	v_add_co_u32_e32 v1, vcc, 0x1000, v3
	v_addc_co_u32_e32 v2, vcc, 0, v4, vcc
	global_load_dwordx2 v[17:18], v21, s[16:17]
	global_load_dwordx2 v[15:16], v21, s[16:17] offset:2048
	global_load_dwordx2 v[13:14], v[1:2], off
	global_load_dwordx2 v[11:12], v[1:2], off offset:2048
	v_add_co_u32_e32 v7, vcc, 0x2000, v3
	v_addc_co_u32_e32 v8, vcc, 0, v4, vcc
	v_add_co_u32_e32 v19, vcc, 0x3000, v3
	v_addc_co_u32_e32 v20, vcc, 0, v4, vcc
	global_load_dwordx2 v[9:10], v[7:8], off
	global_load_dwordx2 v[5:6], v[7:8], off offset:2048
	global_load_dwordx2 v[3:4], v[19:20], off
	global_load_dwordx2 v[1:2], v[19:20], off offset:2048
	s_waitcnt vmcnt(7)
	v_cmp_o_f64_e32 vcc, v[17:18], v[17:18]
	v_mov_b32_e32 v7, v17
	v_mov_b32_e32 v8, v18
	s_and_saveexec_b64 s[16:17], vcc
	s_cbranch_execnz .LBB31_14
; %bb.6:
	s_or_b64 exec, exec, s[16:17]
	v_cmp_o_f64_e32 vcc, v[7:8], v[7:8]
	s_and_saveexec_b64 s[16:17], vcc
	s_cbranch_execnz .LBB31_17
.LBB31_7:
	s_or_b64 exec, exec, s[16:17]
	v_cmp_o_f64_e32 vcc, v[7:8], v[7:8]
	s_and_saveexec_b64 s[16:17], vcc
	s_cbranch_execnz .LBB31_20
.LBB31_8:
	s_or_b64 exec, exec, s[16:17]
	v_cmp_o_f64_e32 vcc, v[7:8], v[7:8]
	s_and_saveexec_b64 s[16:17], vcc
	s_cbranch_execnz .LBB31_23
.LBB31_9:
	s_or_b64 exec, exec, s[16:17]
	v_cmp_o_f64_e32 vcc, v[7:8], v[7:8]
	s_and_saveexec_b64 s[16:17], vcc
	s_cbranch_execnz .LBB31_26
.LBB31_10:
	s_or_b64 exec, exec, s[16:17]
	v_cmp_o_f64_e32 vcc, v[7:8], v[7:8]
	s_and_saveexec_b64 s[16:17], vcc
	s_cbranch_execnz .LBB31_29
.LBB31_11:
	s_or_b64 exec, exec, s[16:17]
	v_cmp_o_f64_e32 vcc, v[7:8], v[7:8]
	s_and_saveexec_b64 s[16:17], vcc
	s_cbranch_execnz .LBB31_32
.LBB31_12:
	s_or_b64 exec, exec, s[16:17]
	s_add_i32 s1, s14, 0x1000
	s_cmp_ge_i32 s1, s22
	s_cbranch_scc0 .LBB31_35
	s_branch .LBB31_71
.LBB31_13:
                                        ; implicit-def: $vgpr1_vgpr2
	s_cbranch_execnz .LBB31_156
	s_branch .LBB31_254
.LBB31_14:
	s_waitcnt vmcnt(6)
	v_cmp_o_f64_e32 vcc, v[15:16], v[15:16]
	v_mov_b32_e32 v7, v15
	v_mov_b32_e32 v8, v16
	s_and_saveexec_b64 s[18:19], vcc
	s_cbranch_execz .LBB31_16
; %bb.15:
	v_cmp_lt_f64_e32 vcc, v[15:16], v[17:18]
	v_cndmask_b32_e32 v8, v18, v16, vcc
	v_cndmask_b32_e32 v7, v17, v15, vcc
.LBB31_16:
	s_or_b64 exec, exec, s[18:19]
	s_or_b64 exec, exec, s[16:17]
	v_cmp_o_f64_e32 vcc, v[7:8], v[7:8]
	s_and_saveexec_b64 s[16:17], vcc
	s_cbranch_execz .LBB31_7
.LBB31_17:
	s_waitcnt vmcnt(5)
	v_cmp_o_f64_e32 vcc, v[13:14], v[13:14]
	v_mov_b32_e32 v20, v14
	v_mov_b32_e32 v19, v13
	s_and_saveexec_b64 s[18:19], vcc
	s_cbranch_execz .LBB31_19
; %bb.18:
	v_cmp_lt_f64_e32 vcc, v[13:14], v[7:8]
	v_cndmask_b32_e32 v20, v8, v14, vcc
	v_cndmask_b32_e32 v19, v7, v13, vcc
.LBB31_19:
	s_or_b64 exec, exec, s[18:19]
	v_mov_b32_e32 v7, v19
	v_mov_b32_e32 v8, v20
	s_or_b64 exec, exec, s[16:17]
	v_cmp_o_f64_e32 vcc, v[7:8], v[7:8]
	s_and_saveexec_b64 s[16:17], vcc
	s_cbranch_execz .LBB31_8
.LBB31_20:
	s_waitcnt vmcnt(4)
	v_cmp_o_f64_e32 vcc, v[11:12], v[11:12]
	v_mov_b32_e32 v20, v12
	v_mov_b32_e32 v19, v11
	s_and_saveexec_b64 s[18:19], vcc
	s_cbranch_execz .LBB31_22
; %bb.21:
	v_cmp_lt_f64_e32 vcc, v[11:12], v[7:8]
	v_cndmask_b32_e32 v20, v8, v12, vcc
	v_cndmask_b32_e32 v19, v7, v11, vcc
.LBB31_22:
	s_or_b64 exec, exec, s[18:19]
	v_mov_b32_e32 v7, v19
	v_mov_b32_e32 v8, v20
	s_or_b64 exec, exec, s[16:17]
	v_cmp_o_f64_e32 vcc, v[7:8], v[7:8]
	s_and_saveexec_b64 s[16:17], vcc
	s_cbranch_execz .LBB31_9
.LBB31_23:
	s_waitcnt vmcnt(3)
	v_cmp_o_f64_e32 vcc, v[9:10], v[9:10]
	v_mov_b32_e32 v20, v10
	v_mov_b32_e32 v19, v9
	s_and_saveexec_b64 s[18:19], vcc
	s_cbranch_execz .LBB31_25
; %bb.24:
	v_cmp_lt_f64_e32 vcc, v[9:10], v[7:8]
	v_cndmask_b32_e32 v20, v8, v10, vcc
	v_cndmask_b32_e32 v19, v7, v9, vcc
.LBB31_25:
	s_or_b64 exec, exec, s[18:19]
	v_mov_b32_e32 v7, v19
	v_mov_b32_e32 v8, v20
	s_or_b64 exec, exec, s[16:17]
	v_cmp_o_f64_e32 vcc, v[7:8], v[7:8]
	s_and_saveexec_b64 s[16:17], vcc
	s_cbranch_execz .LBB31_10
.LBB31_26:
	s_waitcnt vmcnt(2)
	v_cmp_o_f64_e32 vcc, v[5:6], v[5:6]
	v_mov_b32_e32 v20, v6
	v_mov_b32_e32 v19, v5
	s_and_saveexec_b64 s[18:19], vcc
	s_cbranch_execz .LBB31_28
; %bb.27:
	v_cmp_lt_f64_e32 vcc, v[5:6], v[7:8]
	v_cndmask_b32_e32 v20, v8, v6, vcc
	v_cndmask_b32_e32 v19, v7, v5, vcc
.LBB31_28:
	s_or_b64 exec, exec, s[18:19]
	v_mov_b32_e32 v7, v19
	v_mov_b32_e32 v8, v20
	s_or_b64 exec, exec, s[16:17]
	v_cmp_o_f64_e32 vcc, v[7:8], v[7:8]
	s_and_saveexec_b64 s[16:17], vcc
	s_cbranch_execz .LBB31_11
.LBB31_29:
	s_waitcnt vmcnt(1)
	v_cmp_o_f64_e32 vcc, v[3:4], v[3:4]
	v_mov_b32_e32 v20, v4
	v_mov_b32_e32 v19, v3
	s_and_saveexec_b64 s[18:19], vcc
	s_cbranch_execz .LBB31_31
; %bb.30:
	v_cmp_lt_f64_e32 vcc, v[3:4], v[7:8]
	v_cndmask_b32_e32 v20, v8, v4, vcc
	v_cndmask_b32_e32 v19, v7, v3, vcc
.LBB31_31:
	s_or_b64 exec, exec, s[18:19]
	v_mov_b32_e32 v7, v19
	v_mov_b32_e32 v8, v20
	s_or_b64 exec, exec, s[16:17]
	v_cmp_o_f64_e32 vcc, v[7:8], v[7:8]
	s_and_saveexec_b64 s[16:17], vcc
	s_cbranch_execz .LBB31_12
.LBB31_32:
	s_waitcnt vmcnt(0)
	v_cmp_o_f64_e32 vcc, v[1:2], v[1:2]
	v_mov_b32_e32 v20, v2
	v_mov_b32_e32 v19, v1
	s_and_saveexec_b64 s[18:19], vcc
	s_cbranch_execz .LBB31_34
; %bb.33:
	v_cmp_lt_f64_e32 vcc, v[1:2], v[7:8]
	v_cndmask_b32_e32 v20, v8, v2, vcc
	v_cndmask_b32_e32 v19, v7, v1, vcc
.LBB31_34:
	s_or_b64 exec, exec, s[18:19]
	v_mov_b32_e32 v7, v19
	v_mov_b32_e32 v8, v20
	s_or_b64 exec, exec, s[16:17]
	s_add_i32 s1, s14, 0x1000
	s_cmp_ge_i32 s1, s22
	s_cbranch_scc1 .LBB31_71
.LBB31_35:
	s_waitcnt vmcnt(0)
	v_mov_b32_e32 v1, s9
	v_add_co_u32_e32 v22, vcc, s8, v21
	v_addc_co_u32_e32 v23, vcc, 0, v1, vcc
.LBB31_36:                              ; =>This Inner Loop Header: Depth=1
	s_ashr_i32 s1, s0, 31
	s_lshl_b64 s[16:17], s[0:1], 3
	s_waitcnt vmcnt(0)
	v_mov_b32_e32 v2, s17
	v_add_co_u32_e32 v1, vcc, s16, v22
	v_addc_co_u32_e32 v2, vcc, v23, v2, vcc
	v_add_co_u32_e32 v3, vcc, 0x1000, v1
	v_addc_co_u32_e32 v4, vcc, 0, v2, vcc
	;; [unrolled: 2-line block ×3, first 2 shown]
	v_add_co_u32_e32 v24, vcc, 0x3000, v1
	global_load_dwordx2 v[17:18], v[1:2], off
	global_load_dwordx2 v[15:16], v[1:2], off offset:2048
	global_load_dwordx2 v[13:14], v[3:4], off
	global_load_dwordx2 v[11:12], v[3:4], off offset:2048
	v_addc_co_u32_e32 v25, vcc, 0, v2, vcc
	global_load_dwordx2 v[9:10], v[19:20], off
	global_load_dwordx2 v[5:6], v[19:20], off offset:2048
	global_load_dwordx2 v[3:4], v[24:25], off
	global_load_dwordx2 v[1:2], v[24:25], off offset:2048
	v_cmp_o_f64_e32 vcc, v[7:8], v[7:8]
	s_and_saveexec_b64 s[16:17], vcc
	s_cbranch_execnz .LBB31_44
; %bb.37:                               ;   in Loop: Header=BB31_36 Depth=1
	s_or_b64 exec, exec, s[16:17]
	v_cmp_o_f64_e32 vcc, v[7:8], v[7:8]
	s_and_saveexec_b64 s[16:17], vcc
	s_cbranch_execnz .LBB31_47
.LBB31_38:                              ;   in Loop: Header=BB31_36 Depth=1
	s_or_b64 exec, exec, s[16:17]
	v_cmp_o_f64_e32 vcc, v[7:8], v[7:8]
	s_and_saveexec_b64 s[16:17], vcc
	s_cbranch_execnz .LBB31_50
.LBB31_39:                              ;   in Loop: Header=BB31_36 Depth=1
	s_or_b64 exec, exec, s[16:17]
	v_cmp_o_f64_e32 vcc, v[7:8], v[7:8]
	s_and_saveexec_b64 s[16:17], vcc
	s_cbranch_execnz .LBB31_53
.LBB31_40:                              ;   in Loop: Header=BB31_36 Depth=1
	s_or_b64 exec, exec, s[16:17]
	v_cmp_o_f64_e32 vcc, v[7:8], v[7:8]
	s_and_saveexec_b64 s[16:17], vcc
	s_cbranch_execnz .LBB31_56
.LBB31_41:                              ;   in Loop: Header=BB31_36 Depth=1
	s_or_b64 exec, exec, s[16:17]
	v_cmp_o_f64_e32 vcc, v[7:8], v[7:8]
	s_and_saveexec_b64 s[16:17], vcc
	s_cbranch_execnz .LBB31_59
.LBB31_42:                              ;   in Loop: Header=BB31_36 Depth=1
	s_or_b64 exec, exec, s[16:17]
	v_cmp_o_f64_e32 vcc, v[7:8], v[7:8]
	s_and_saveexec_b64 s[16:17], vcc
	s_cbranch_execnz .LBB31_62
.LBB31_43:                              ;   in Loop: Header=BB31_36 Depth=1
	s_or_b64 exec, exec, s[16:17]
	v_cmp_o_f64_e32 vcc, v[7:8], v[7:8]
	s_and_saveexec_b64 s[16:17], vcc
	s_cbranch_execnz .LBB31_65
	s_branch .LBB31_68
.LBB31_44:                              ;   in Loop: Header=BB31_36 Depth=1
	s_waitcnt vmcnt(7)
	v_cmp_o_f64_e32 vcc, v[17:18], v[17:18]
	v_mov_b32_e32 v20, v18
	v_mov_b32_e32 v19, v17
	s_and_saveexec_b64 s[18:19], vcc
	s_cbranch_execz .LBB31_46
; %bb.45:                               ;   in Loop: Header=BB31_36 Depth=1
	v_cmp_lt_f64_e32 vcc, v[17:18], v[7:8]
	v_cndmask_b32_e32 v20, v8, v18, vcc
	v_cndmask_b32_e32 v19, v7, v17, vcc
.LBB31_46:                              ;   in Loop: Header=BB31_36 Depth=1
	s_or_b64 exec, exec, s[18:19]
	v_mov_b32_e32 v7, v19
	v_mov_b32_e32 v8, v20
	s_or_b64 exec, exec, s[16:17]
	v_cmp_o_f64_e32 vcc, v[7:8], v[7:8]
	s_and_saveexec_b64 s[16:17], vcc
	s_cbranch_execz .LBB31_38
.LBB31_47:                              ;   in Loop: Header=BB31_36 Depth=1
	s_waitcnt vmcnt(6)
	v_cmp_o_f64_e32 vcc, v[15:16], v[15:16]
	v_mov_b32_e32 v20, v16
	v_mov_b32_e32 v19, v15
	s_and_saveexec_b64 s[18:19], vcc
	s_cbranch_execz .LBB31_49
; %bb.48:                               ;   in Loop: Header=BB31_36 Depth=1
	v_cmp_lt_f64_e32 vcc, v[15:16], v[7:8]
	v_cndmask_b32_e32 v20, v8, v16, vcc
	v_cndmask_b32_e32 v19, v7, v15, vcc
.LBB31_49:                              ;   in Loop: Header=BB31_36 Depth=1
	s_or_b64 exec, exec, s[18:19]
	v_mov_b32_e32 v7, v19
	v_mov_b32_e32 v8, v20
	s_or_b64 exec, exec, s[16:17]
	v_cmp_o_f64_e32 vcc, v[7:8], v[7:8]
	s_and_saveexec_b64 s[16:17], vcc
	s_cbranch_execz .LBB31_39
.LBB31_50:                              ;   in Loop: Header=BB31_36 Depth=1
	s_waitcnt vmcnt(5)
	v_cmp_o_f64_e32 vcc, v[13:14], v[13:14]
	v_mov_b32_e32 v20, v14
	v_mov_b32_e32 v19, v13
	s_and_saveexec_b64 s[18:19], vcc
	s_cbranch_execz .LBB31_52
; %bb.51:                               ;   in Loop: Header=BB31_36 Depth=1
	v_cmp_lt_f64_e32 vcc, v[13:14], v[7:8]
	v_cndmask_b32_e32 v20, v8, v14, vcc
	v_cndmask_b32_e32 v19, v7, v13, vcc
.LBB31_52:                              ;   in Loop: Header=BB31_36 Depth=1
	s_or_b64 exec, exec, s[18:19]
	v_mov_b32_e32 v7, v19
	v_mov_b32_e32 v8, v20
	s_or_b64 exec, exec, s[16:17]
	v_cmp_o_f64_e32 vcc, v[7:8], v[7:8]
	s_and_saveexec_b64 s[16:17], vcc
	s_cbranch_execz .LBB31_40
.LBB31_53:                              ;   in Loop: Header=BB31_36 Depth=1
	s_waitcnt vmcnt(4)
	v_cmp_o_f64_e32 vcc, v[11:12], v[11:12]
	v_mov_b32_e32 v20, v12
	v_mov_b32_e32 v19, v11
	s_and_saveexec_b64 s[18:19], vcc
	s_cbranch_execz .LBB31_55
; %bb.54:                               ;   in Loop: Header=BB31_36 Depth=1
	v_cmp_lt_f64_e32 vcc, v[11:12], v[7:8]
	v_cndmask_b32_e32 v20, v8, v12, vcc
	v_cndmask_b32_e32 v19, v7, v11, vcc
.LBB31_55:                              ;   in Loop: Header=BB31_36 Depth=1
	s_or_b64 exec, exec, s[18:19]
	v_mov_b32_e32 v7, v19
	v_mov_b32_e32 v8, v20
	s_or_b64 exec, exec, s[16:17]
	v_cmp_o_f64_e32 vcc, v[7:8], v[7:8]
	s_and_saveexec_b64 s[16:17], vcc
	s_cbranch_execz .LBB31_41
.LBB31_56:                              ;   in Loop: Header=BB31_36 Depth=1
	s_waitcnt vmcnt(3)
	v_cmp_o_f64_e32 vcc, v[9:10], v[9:10]
	v_mov_b32_e32 v20, v10
	v_mov_b32_e32 v19, v9
	s_and_saveexec_b64 s[18:19], vcc
	s_cbranch_execz .LBB31_58
; %bb.57:                               ;   in Loop: Header=BB31_36 Depth=1
	v_cmp_lt_f64_e32 vcc, v[9:10], v[7:8]
	v_cndmask_b32_e32 v20, v8, v10, vcc
	v_cndmask_b32_e32 v19, v7, v9, vcc
.LBB31_58:                              ;   in Loop: Header=BB31_36 Depth=1
	s_or_b64 exec, exec, s[18:19]
	v_mov_b32_e32 v7, v19
	v_mov_b32_e32 v8, v20
	s_or_b64 exec, exec, s[16:17]
	v_cmp_o_f64_e32 vcc, v[7:8], v[7:8]
	s_and_saveexec_b64 s[16:17], vcc
	s_cbranch_execz .LBB31_42
.LBB31_59:                              ;   in Loop: Header=BB31_36 Depth=1
	s_waitcnt vmcnt(2)
	v_cmp_o_f64_e32 vcc, v[5:6], v[5:6]
	v_mov_b32_e32 v20, v6
	v_mov_b32_e32 v19, v5
	s_and_saveexec_b64 s[18:19], vcc
	s_cbranch_execz .LBB31_61
; %bb.60:                               ;   in Loop: Header=BB31_36 Depth=1
	v_cmp_lt_f64_e32 vcc, v[5:6], v[7:8]
	v_cndmask_b32_e32 v20, v8, v6, vcc
	v_cndmask_b32_e32 v19, v7, v5, vcc
.LBB31_61:                              ;   in Loop: Header=BB31_36 Depth=1
	s_or_b64 exec, exec, s[18:19]
	v_mov_b32_e32 v7, v19
	v_mov_b32_e32 v8, v20
	s_or_b64 exec, exec, s[16:17]
	v_cmp_o_f64_e32 vcc, v[7:8], v[7:8]
	s_and_saveexec_b64 s[16:17], vcc
	s_cbranch_execz .LBB31_43
.LBB31_62:                              ;   in Loop: Header=BB31_36 Depth=1
	s_waitcnt vmcnt(1)
	v_cmp_o_f64_e32 vcc, v[3:4], v[3:4]
	v_mov_b32_e32 v20, v4
	v_mov_b32_e32 v19, v3
	s_and_saveexec_b64 s[18:19], vcc
	s_cbranch_execz .LBB31_64
; %bb.63:                               ;   in Loop: Header=BB31_36 Depth=1
	v_cmp_lt_f64_e32 vcc, v[3:4], v[7:8]
	v_cndmask_b32_e32 v20, v8, v4, vcc
	v_cndmask_b32_e32 v19, v7, v3, vcc
.LBB31_64:                              ;   in Loop: Header=BB31_36 Depth=1
	s_or_b64 exec, exec, s[18:19]
	v_mov_b32_e32 v7, v19
	v_mov_b32_e32 v8, v20
	s_or_b64 exec, exec, s[16:17]
	v_cmp_o_f64_e32 vcc, v[7:8], v[7:8]
	s_and_saveexec_b64 s[16:17], vcc
	s_cbranch_execz .LBB31_68
.LBB31_65:                              ;   in Loop: Header=BB31_36 Depth=1
	s_waitcnt vmcnt(0)
	v_cmp_o_f64_e32 vcc, v[1:2], v[1:2]
	v_mov_b32_e32 v20, v2
	v_mov_b32_e32 v19, v1
	s_and_saveexec_b64 s[18:19], vcc
	s_cbranch_execz .LBB31_67
; %bb.66:                               ;   in Loop: Header=BB31_36 Depth=1
	v_cmp_lt_f64_e32 vcc, v[1:2], v[7:8]
	v_cndmask_b32_e32 v20, v8, v2, vcc
	v_cndmask_b32_e32 v19, v7, v1, vcc
.LBB31_67:                              ;   in Loop: Header=BB31_36 Depth=1
	s_or_b64 exec, exec, s[18:19]
	v_mov_b32_e32 v7, v19
	v_mov_b32_e32 v8, v20
.LBB31_68:                              ;   in Loop: Header=BB31_36 Depth=1
	s_or_b64 exec, exec, s[16:17]
	s_add_i32 s1, s0, 0x800
	s_addk_i32 s0, 0x1000
	s_cmp_lt_i32 s0, s22
	s_cbranch_scc0 .LBB31_70
; %bb.69:                               ;   in Loop: Header=BB31_36 Depth=1
	s_mov_b32 s0, s1
	s_branch .LBB31_36
.LBB31_70:
	s_mov_b32 s0, s1
.LBB31_71:
	s_ashr_i32 s1, s0, 31
	s_sub_i32 s15, s22, s0
	s_lshl_b64 s[0:1], s[0:1], 3
	s_add_u32 s0, s8, s0
	s_addc_u32 s1, s9, s1
	v_cmp_gt_u32_e32 vcc, s15, v0
	s_and_saveexec_b64 s[16:17], vcc
	s_cbranch_execz .LBB31_73
; %bb.72:
	global_load_dwordx2 v[17:18], v21, s[0:1]
.LBB31_73:
	s_or_b64 exec, exec, s[16:17]
	v_or_b32_e32 v25, 0x100, v0
	v_cmp_gt_u32_e32 vcc, s15, v25
	s_and_saveexec_b64 s[16:17], vcc
	s_cbranch_execz .LBB31_75
; %bb.74:
	global_load_dwordx2 v[15:16], v21, s[0:1] offset:2048
.LBB31_75:
	s_or_b64 exec, exec, s[16:17]
	v_or_b32_e32 v24, 0x200, v0
	v_cmp_gt_u32_e32 vcc, s15, v24
	s_and_saveexec_b64 s[16:17], vcc
	s_cbranch_execz .LBB31_77
; %bb.76:
	s_waitcnt vmcnt(5)
	v_lshlrev_b32_e32 v13, 3, v24
	global_load_dwordx2 v[13:14], v13, s[0:1]
.LBB31_77:
	s_or_b64 exec, exec, s[16:17]
	v_or_b32_e32 v23, 0x300, v0
	v_cmp_gt_u32_e32 vcc, s15, v23
	s_and_saveexec_b64 s[16:17], vcc
	s_cbranch_execz .LBB31_79
; %bb.78:
	s_waitcnt vmcnt(4)
	v_lshlrev_b32_e32 v11, 3, v23
	global_load_dwordx2 v[11:12], v11, s[0:1]
.LBB31_79:
	;; [unrolled: 10-line block ×6, first 2 shown]
	s_or_b64 exec, exec, s[16:17]
	v_cmp_o_f64_e32 vcc, v[7:8], v[7:8]
	v_cmp_gt_u32_e64 s[0:1], s15, v0
	s_and_b64 s[16:17], s[0:1], vcc
	s_and_saveexec_b64 s[0:1], s[16:17]
	s_cbranch_execz .LBB31_91
; %bb.88:
	s_waitcnt vmcnt(0)
	v_cmp_o_f64_e32 vcc, v[17:18], v[17:18]
	s_and_saveexec_b64 s[16:17], vcc
	s_cbranch_execz .LBB31_90
; %bb.89:
	v_cmp_lt_f64_e32 vcc, v[17:18], v[7:8]
	v_cndmask_b32_e32 v18, v8, v18, vcc
	v_cndmask_b32_e32 v17, v7, v17, vcc
.LBB31_90:
	s_or_b64 exec, exec, s[16:17]
	v_mov_b32_e32 v7, v17
	v_mov_b32_e32 v8, v18
.LBB31_91:
	s_or_b64 exec, exec, s[0:1]
	v_cmp_o_f64_e32 vcc, v[7:8], v[7:8]
	v_cmp_gt_u32_e64 s[0:1], s15, v25
	s_and_b64 s[16:17], s[0:1], vcc
	s_and_saveexec_b64 s[0:1], s[16:17]
	s_cbranch_execz .LBB31_95
; %bb.92:
	s_waitcnt vmcnt(0)
	v_cmp_o_f64_e32 vcc, v[15:16], v[15:16]
	s_and_saveexec_b64 s[16:17], vcc
	s_cbranch_execz .LBB31_94
; %bb.93:
	v_cmp_lt_f64_e32 vcc, v[15:16], v[7:8]
	v_cndmask_b32_e32 v16, v8, v16, vcc
	v_cndmask_b32_e32 v15, v7, v15, vcc
.LBB31_94:
	s_or_b64 exec, exec, s[16:17]
	v_mov_b32_e32 v7, v15
	v_mov_b32_e32 v8, v16
.LBB31_95:
	;; [unrolled: 20-line block ×8, first 2 shown]
	s_or_b64 exec, exec, s[0:1]
	s_waitcnt vmcnt(0)
	v_mov_b32_dpp v1, v7 quad_perm:[1,0,3,2] row_mask:0xf bank_mask:0xf bound_ctrl:1
	v_mov_b32_dpp v2, v8 quad_perm:[1,0,3,2] row_mask:0xf bank_mask:0xf bound_ctrl:1
	v_cmp_o_f64_e32 vcc, v[1:2], v[1:2]
	s_and_saveexec_b64 s[0:1], vcc
	s_xor_b64 s[0:1], exec, s[0:1]
	s_cbranch_execz .LBB31_123
; %bb.120:
	v_cmp_o_f64_e32 vcc, v[7:8], v[7:8]
	s_and_saveexec_b64 s[16:17], vcc
	s_cbranch_execz .LBB31_122
; %bb.121:
	v_cmp_lt_f64_e32 vcc, v[7:8], v[1:2]
	v_cndmask_b32_e32 v8, v2, v8, vcc
	v_cndmask_b32_e32 v7, v1, v7, vcc
.LBB31_122:
	s_or_b64 exec, exec, s[16:17]
	v_mov_b32_e32 v1, v7
	v_mov_b32_e32 v2, v8
.LBB31_123:
	s_or_b64 exec, exec, s[0:1]
	v_mov_b32_dpp v3, v1 quad_perm:[2,3,0,1] row_mask:0xf bank_mask:0xf bound_ctrl:1
	v_mov_b32_dpp v4, v2 quad_perm:[2,3,0,1] row_mask:0xf bank_mask:0xf bound_ctrl:1
	v_cmp_o_f64_e32 vcc, v[3:4], v[3:4]
	s_and_saveexec_b64 s[0:1], vcc
	s_cbranch_execz .LBB31_127
; %bb.124:
	v_cmp_o_f64_e32 vcc, v[1:2], v[1:2]
	s_and_saveexec_b64 s[16:17], vcc
	s_cbranch_execz .LBB31_126
; %bb.125:
	v_cmp_lt_f64_e32 vcc, v[1:2], v[3:4]
	v_cndmask_b32_e32 v2, v4, v2, vcc
	v_cndmask_b32_e32 v1, v3, v1, vcc
.LBB31_126:
	s_or_b64 exec, exec, s[16:17]
	v_mov_b32_e32 v4, v2
	v_mov_b32_e32 v3, v1
.LBB31_127:
	s_or_b64 exec, exec, s[0:1]
	s_nop 0
	v_mov_b32_dpp v1, v3 row_ror:4 row_mask:0xf bank_mask:0xf bound_ctrl:1
	v_mov_b32_dpp v2, v4 row_ror:4 row_mask:0xf bank_mask:0xf bound_ctrl:1
	v_cmp_o_f64_e32 vcc, v[1:2], v[1:2]
	s_and_saveexec_b64 s[0:1], vcc
	s_cbranch_execz .LBB31_131
; %bb.128:
	v_cmp_o_f64_e32 vcc, v[3:4], v[3:4]
	s_and_saveexec_b64 s[16:17], vcc
	s_cbranch_execz .LBB31_130
; %bb.129:
	v_cmp_lt_f64_e32 vcc, v[3:4], v[1:2]
	v_cndmask_b32_e32 v4, v2, v4, vcc
	v_cndmask_b32_e32 v3, v1, v3, vcc
.LBB31_130:
	s_or_b64 exec, exec, s[16:17]
	v_mov_b32_e32 v1, v3
	v_mov_b32_e32 v2, v4
.LBB31_131:
	s_or_b64 exec, exec, s[0:1]
	v_mov_b32_dpp v3, v1 row_ror:8 row_mask:0xf bank_mask:0xf bound_ctrl:1
	v_mov_b32_dpp v4, v2 row_ror:8 row_mask:0xf bank_mask:0xf bound_ctrl:1
	v_cmp_o_f64_e32 vcc, v[3:4], v[3:4]
	s_and_saveexec_b64 s[0:1], vcc
	s_cbranch_execz .LBB31_135
; %bb.132:
	v_cmp_o_f64_e32 vcc, v[1:2], v[1:2]
	s_and_saveexec_b64 s[16:17], vcc
	s_cbranch_execz .LBB31_134
; %bb.133:
	v_cmp_lt_f64_e32 vcc, v[1:2], v[3:4]
	v_cndmask_b32_e32 v2, v4, v2, vcc
	v_cndmask_b32_e32 v1, v3, v1, vcc
.LBB31_134:
	s_or_b64 exec, exec, s[16:17]
	v_mov_b32_e32 v4, v2
	v_mov_b32_e32 v3, v1
.LBB31_135:
	s_or_b64 exec, exec, s[0:1]
	s_nop 0
	v_mov_b32_dpp v1, v3 row_bcast:15 row_mask:0xf bank_mask:0xf bound_ctrl:1
	v_mov_b32_dpp v2, v4 row_bcast:15 row_mask:0xf bank_mask:0xf bound_ctrl:1
	v_cmp_o_f64_e32 vcc, v[1:2], v[1:2]
	s_and_saveexec_b64 s[0:1], vcc
	s_cbranch_execz .LBB31_139
; %bb.136:
	v_cmp_o_f64_e32 vcc, v[3:4], v[3:4]
	s_and_saveexec_b64 s[16:17], vcc
	s_cbranch_execz .LBB31_138
; %bb.137:
	v_cmp_lt_f64_e32 vcc, v[3:4], v[1:2]
	v_cndmask_b32_e32 v4, v2, v4, vcc
	v_cndmask_b32_e32 v3, v1, v3, vcc
.LBB31_138:
	s_or_b64 exec, exec, s[16:17]
	v_mov_b32_e32 v1, v3
	v_mov_b32_e32 v2, v4
.LBB31_139:
	s_or_b64 exec, exec, s[0:1]
	v_mov_b32_dpp v3, v1 row_bcast:31 row_mask:0xf bank_mask:0xf bound_ctrl:1
	v_mov_b32_dpp v4, v2 row_bcast:31 row_mask:0xf bank_mask:0xf bound_ctrl:1
	v_cmp_o_f64_e32 vcc, v[3:4], v[3:4]
	s_and_saveexec_b64 s[0:1], vcc
	s_cbranch_execz .LBB31_143
; %bb.140:
	v_cmp_o_f64_e32 vcc, v[1:2], v[1:2]
	s_and_saveexec_b64 s[16:17], vcc
	s_cbranch_execz .LBB31_142
; %bb.141:
	v_cmp_lt_f64_e32 vcc, v[1:2], v[3:4]
	v_cndmask_b32_e32 v2, v4, v2, vcc
	v_cndmask_b32_e32 v1, v3, v1, vcc
.LBB31_142:
	s_or_b64 exec, exec, s[16:17]
	v_mov_b32_e32 v4, v2
	v_mov_b32_e32 v3, v1
.LBB31_143:
	s_or_b64 exec, exec, s[0:1]
	v_mbcnt_lo_u32_b32 v1, -1, 0
	v_mbcnt_hi_u32_b32 v6, -1, v1
	v_lshlrev_b32_e32 v5, 2, v6
	v_or_b32_e32 v2, 0xfc, v5
	ds_bpermute_b32 v1, v2, v3
	ds_bpermute_b32 v2, v2, v4
	v_cmp_eq_u32_e32 vcc, 0, v6
	s_and_saveexec_b64 s[0:1], vcc
	s_cbranch_execz .LBB31_145
; %bb.144:
	v_lshrrev_b32_e32 v3, 3, v0
	v_and_b32_e32 v3, 24, v3
	s_waitcnt lgkmcnt(0)
	ds_write_b64 v3, v[1:2]
.LBB31_145:
	s_or_b64 exec, exec, s[0:1]
	v_cmp_gt_u32_e32 vcc, 64, v0
	s_waitcnt lgkmcnt(0)
	s_barrier
	s_and_saveexec_b64 s[0:1], vcc
	s_cbranch_execz .LBB31_155
; %bb.146:
	v_and_b32_e32 v3, 3, v6
	v_lshlrev_b32_e32 v1, 3, v3
	ds_read_b64 v[1:2], v1
	v_cmp_ne_u32_e32 vcc, 3, v3
	v_addc_co_u32_e32 v3, vcc, 0, v6, vcc
	v_lshlrev_b32_e32 v4, 2, v3
	s_waitcnt lgkmcnt(0)
	v_cmp_o_f64_e32 vcc, v[1:2], v[1:2]
	ds_bpermute_b32 v3, v4, v1
	ds_bpermute_b32 v4, v4, v2
	s_and_saveexec_b64 s[16:17], vcc
	s_cbranch_execz .LBB31_150
; %bb.147:
	s_waitcnt lgkmcnt(0)
	v_cmp_o_f64_e32 vcc, v[3:4], v[3:4]
	s_and_saveexec_b64 s[18:19], vcc
	s_cbranch_execz .LBB31_149
; %bb.148:
	v_cmp_gt_f64_e32 vcc, v[1:2], v[3:4]
	v_cndmask_b32_e32 v4, v2, v4, vcc
	v_cndmask_b32_e32 v3, v1, v3, vcc
.LBB31_149:
	s_or_b64 exec, exec, s[18:19]
	v_mov_b32_e32 v1, v3
	v_mov_b32_e32 v2, v4
.LBB31_150:
	s_or_b64 exec, exec, s[16:17]
	v_cmp_o_f64_e32 vcc, v[1:2], v[1:2]
	s_waitcnt lgkmcnt(0)
	v_or_b32_e32 v4, 8, v5
	ds_bpermute_b32 v3, v4, v1
	ds_bpermute_b32 v4, v4, v2
	s_and_saveexec_b64 s[16:17], vcc
	s_cbranch_execz .LBB31_154
; %bb.151:
	s_waitcnt lgkmcnt(0)
	v_cmp_o_f64_e32 vcc, v[3:4], v[3:4]
	s_and_saveexec_b64 s[18:19], vcc
	s_cbranch_execz .LBB31_153
; %bb.152:
	v_cmp_gt_f64_e32 vcc, v[1:2], v[3:4]
	v_cndmask_b32_e32 v4, v2, v4, vcc
	v_cndmask_b32_e32 v3, v1, v3, vcc
.LBB31_153:
	s_or_b64 exec, exec, s[18:19]
	v_mov_b32_e32 v1, v3
	v_mov_b32_e32 v2, v4
.LBB31_154:
	s_or_b64 exec, exec, s[16:17]
.LBB31_155:
	s_or_b64 exec, exec, s[0:1]
	s_branch .LBB31_254
.LBB31_156:
	s_sub_i32 s23, s22, s14
	v_cmp_gt_u32_e32 vcc, s23, v0
                                        ; implicit-def: $vgpr3_vgpr4
	s_and_saveexec_b64 s[0:1], vcc
	s_cbranch_execz .LBB31_166
; %bb.157:
	v_add_u32_e32 v1, s14, v0
	v_ashrrev_i32_e32 v2, 31, v1
	s_waitcnt lgkmcnt(1)
	v_lshlrev_b64 v[2:3], 3, v[1:2]
	s_waitcnt lgkmcnt(0)
	v_mov_b32_e32 v4, s9
	v_add_co_u32_e32 v2, vcc, s8, v2
	v_addc_co_u32_e32 v3, vcc, v4, v3, vcc
	global_load_dwordx2 v[3:4], v[2:3], off
	v_add_u32_e32 v1, 0x100, v1
	v_cmp_gt_i32_e32 vcc, s22, v1
	s_and_saveexec_b64 s[14:15], vcc
	s_cbranch_execz .LBB31_165
; %bb.158:
	s_mov_b64 s[16:17], 0
	s_branch .LBB31_161
.LBB31_159:                             ;   in Loop: Header=BB31_161 Depth=1
	s_or_b64 exec, exec, s[20:21]
	v_mov_b32_e32 v3, v5
	v_mov_b32_e32 v4, v6
.LBB31_160:                             ;   in Loop: Header=BB31_161 Depth=1
	s_or_b64 exec, exec, s[18:19]
	v_add_u32_e32 v1, 0x100, v1
	v_cmp_le_i32_e32 vcc, s22, v1
	s_or_b64 s[16:17], vcc, s[16:17]
	s_andn2_b64 exec, exec, s[16:17]
	s_cbranch_execz .LBB31_164
.LBB31_161:                             ; =>This Inner Loop Header: Depth=1
	s_waitcnt vmcnt(0)
	v_cmp_o_f64_e32 vcc, v[3:4], v[3:4]
	s_and_saveexec_b64 s[18:19], vcc
	s_cbranch_execz .LBB31_160
; %bb.162:                              ;   in Loop: Header=BB31_161 Depth=1
	v_ashrrev_i32_e32 v2, 31, v1
	v_lshlrev_b64 v[5:6], 3, v[1:2]
	v_mov_b32_e32 v2, s9
	v_add_co_u32_e32 v5, vcc, s8, v5
	v_addc_co_u32_e32 v6, vcc, v2, v6, vcc
	global_load_dwordx2 v[5:6], v[5:6], off
	s_waitcnt vmcnt(0)
	v_cmp_o_f64_e32 vcc, v[5:6], v[5:6]
	s_and_saveexec_b64 s[20:21], vcc
	s_cbranch_execz .LBB31_159
; %bb.163:                              ;   in Loop: Header=BB31_161 Depth=1
	v_cmp_lt_f64_e32 vcc, v[5:6], v[3:4]
	v_cndmask_b32_e32 v6, v4, v6, vcc
	v_cndmask_b32_e32 v5, v3, v5, vcc
	s_branch .LBB31_159
.LBB31_164:
	s_or_b64 exec, exec, s[16:17]
.LBB31_165:
	s_or_b64 exec, exec, s[14:15]
.LBB31_166:
	s_or_b64 exec, exec, s[0:1]
	v_mbcnt_lo_u32_b32 v1, -1, 0
	s_cmpk_lt_u32 s23, 0x100
	v_lshrrev_b32_e32 v10, 6, v0
	v_mbcnt_hi_u32_b32 v9, -1, v1
	s_cbranch_scc0 .LBB31_216
; %bb.167:
	v_and_b32_e32 v12, 63, v9
	v_cmp_ne_u32_e32 vcc, 63, v12
	v_addc_co_u32_e32 v2, vcc, 0, v9, vcc
	v_lshlrev_b32_e32 v2, 2, v2
	s_waitcnt vmcnt(0) lgkmcnt(1)
	ds_bpermute_b32 v7, v2, v3
	s_waitcnt lgkmcnt(1)
	ds_bpermute_b32 v8, v2, v4
	v_and_b32_e32 v1, 0xc0, v0
	v_sub_u32_e64 v11, s23, v1 clamp
	v_add_u32_e32 v1, 1, v12
	v_cmp_lt_u32_e32 vcc, v1, v11
	v_mov_b32_e32 v1, v3
	v_mov_b32_e32 v5, v3
	;; [unrolled: 1-line block ×4, first 2 shown]
	s_and_saveexec_b64 s[0:1], vcc
	s_cbranch_execz .LBB31_173
; %bb.168:
	v_cmp_o_f64_e32 vcc, v[3:4], v[3:4]
	v_mov_b32_e32 v6, v4
	v_mov_b32_e32 v5, v3
	s_and_saveexec_b64 s[8:9], vcc
	s_cbranch_execz .LBB31_172
; %bb.169:
	s_waitcnt lgkmcnt(0)
	v_cmp_o_f64_e32 vcc, v[7:8], v[7:8]
	s_and_saveexec_b64 s[14:15], vcc
	s_cbranch_execz .LBB31_171
; %bb.170:
	v_cmp_gt_f64_e32 vcc, v[3:4], v[7:8]
	v_cndmask_b32_e32 v8, v4, v8, vcc
	v_cndmask_b32_e32 v7, v3, v7, vcc
.LBB31_171:
	s_or_b64 exec, exec, s[14:15]
	v_mov_b32_e32 v5, v7
	v_mov_b32_e32 v6, v8
.LBB31_172:
	s_or_b64 exec, exec, s[8:9]
	v_mov_b32_e32 v1, v5
	v_mov_b32_e32 v2, v6
.LBB31_173:
	s_or_b64 exec, exec, s[0:1]
	v_cmp_gt_u32_e32 vcc, 62, v12
	s_waitcnt lgkmcnt(1)
	v_cndmask_b32_e64 v7, 0, 2, vcc
	s_waitcnt lgkmcnt(0)
	v_add_lshl_u32 v8, v7, v9, 2
	ds_bpermute_b32 v7, v8, v5
	ds_bpermute_b32 v8, v8, v6
	v_add_u32_e32 v13, 2, v12
	v_cmp_lt_u32_e32 vcc, v13, v11
	s_and_saveexec_b64 s[0:1], vcc
	s_cbranch_execz .LBB31_179
; %bb.174:
	v_cmp_o_f64_e32 vcc, v[1:2], v[1:2]
	s_and_saveexec_b64 s[8:9], vcc
	s_cbranch_execz .LBB31_178
; %bb.175:
	s_waitcnt lgkmcnt(0)
	v_cmp_o_f64_e32 vcc, v[7:8], v[7:8]
	s_and_saveexec_b64 s[14:15], vcc
	s_cbranch_execz .LBB31_177
; %bb.176:
	v_cmp_gt_f64_e32 vcc, v[1:2], v[7:8]
	v_cndmask_b32_e32 v8, v2, v8, vcc
	v_cndmask_b32_e32 v7, v1, v7, vcc
.LBB31_177:
	s_or_b64 exec, exec, s[14:15]
	v_mov_b32_e32 v1, v7
	v_mov_b32_e32 v2, v8
.LBB31_178:
	s_or_b64 exec, exec, s[8:9]
	v_mov_b32_e32 v5, v1
	v_mov_b32_e32 v6, v2
.LBB31_179:
	s_or_b64 exec, exec, s[0:1]
	v_cmp_gt_u32_e32 vcc, 60, v12
	s_waitcnt lgkmcnt(1)
	v_cndmask_b32_e64 v7, 0, 4, vcc
	s_waitcnt lgkmcnt(0)
	v_add_lshl_u32 v8, v7, v9, 2
	ds_bpermute_b32 v7, v8, v5
	ds_bpermute_b32 v8, v8, v6
	v_add_u32_e32 v13, 4, v12
	v_cmp_lt_u32_e32 vcc, v13, v11
	s_and_saveexec_b64 s[0:1], vcc
	s_cbranch_execz .LBB31_185
; %bb.180:
	v_cmp_o_f64_e32 vcc, v[1:2], v[1:2]
	s_and_saveexec_b64 s[8:9], vcc
	s_cbranch_execz .LBB31_184
; %bb.181:
	s_waitcnt lgkmcnt(0)
	v_cmp_o_f64_e32 vcc, v[7:8], v[7:8]
	s_and_saveexec_b64 s[14:15], vcc
	s_cbranch_execz .LBB31_183
; %bb.182:
	v_cmp_gt_f64_e32 vcc, v[1:2], v[7:8]
	v_cndmask_b32_e32 v8, v2, v8, vcc
	v_cndmask_b32_e32 v7, v1, v7, vcc
.LBB31_183:
	s_or_b64 exec, exec, s[14:15]
	v_mov_b32_e32 v1, v7
	v_mov_b32_e32 v2, v8
.LBB31_184:
	s_or_b64 exec, exec, s[8:9]
	v_mov_b32_e32 v5, v1
	v_mov_b32_e32 v6, v2
.LBB31_185:
	;; [unrolled: 34-line block ×4, first 2 shown]
	s_or_b64 exec, exec, s[0:1]
	v_cmp_o_f64_e32 vcc, v[1:2], v[1:2]
	s_waitcnt lgkmcnt(1)
	v_lshlrev_b32_e32 v7, 2, v9
	s_waitcnt lgkmcnt(0)
	v_or_b32_e32 v8, 0x80, v7
	ds_bpermute_b32 v5, v8, v5
	ds_bpermute_b32 v6, v8, v6
	v_add_u32_e32 v8, 32, v12
	v_cmp_lt_u32_e64 s[0:1], v8, v11
	s_and_b64 s[8:9], s[0:1], vcc
	s_and_saveexec_b64 s[0:1], s[8:9]
	s_cbranch_execz .LBB31_201
; %bb.198:
	s_waitcnt lgkmcnt(0)
	v_cmp_o_f64_e32 vcc, v[5:6], v[5:6]
	s_and_saveexec_b64 s[8:9], vcc
	s_cbranch_execz .LBB31_200
; %bb.199:
	v_cmp_gt_f64_e32 vcc, v[1:2], v[5:6]
	v_cndmask_b32_e32 v6, v2, v6, vcc
	v_cndmask_b32_e32 v5, v1, v5, vcc
.LBB31_200:
	s_or_b64 exec, exec, s[8:9]
	v_mov_b32_e32 v1, v5
	v_mov_b32_e32 v2, v6
.LBB31_201:
	s_or_b64 exec, exec, s[0:1]
	v_cmp_eq_u32_e32 vcc, 0, v9
	s_and_saveexec_b64 s[0:1], vcc
	s_cbranch_execz .LBB31_203
; %bb.202:
	s_waitcnt lgkmcnt(1)
	v_lshlrev_b32_e32 v5, 3, v10
	ds_write_b64 v5, v[1:2]
.LBB31_203:
	s_or_b64 exec, exec, s[0:1]
	v_cmp_gt_u32_e32 vcc, 4, v0
	s_waitcnt lgkmcnt(0)
	s_barrier
	s_and_saveexec_b64 s[8:9], vcc
	s_cbranch_execz .LBB31_215
; %bb.204:
	v_lshlrev_b32_e32 v1, 3, v9
	ds_read_b64 v[1:2], v1
	v_and_b32_e32 v8, 3, v9
	v_cmp_ne_u32_e32 vcc, 3, v8
	v_addc_co_u32_e32 v5, vcc, 0, v9, vcc
	v_lshlrev_b32_e32 v6, 2, v5
	s_waitcnt lgkmcnt(0)
	ds_bpermute_b32 v5, v6, v1
	ds_bpermute_b32 v6, v6, v2
	s_add_i32 s23, s23, 63
	s_lshr_b32 s18, s23, 6
	v_add_u32_e32 v11, 1, v8
	v_cmp_gt_u32_e32 vcc, s18, v11
	s_and_saveexec_b64 s[0:1], vcc
	s_cbranch_execz .LBB31_210
; %bb.205:
	v_cmp_o_f64_e32 vcc, v[1:2], v[1:2]
	s_and_saveexec_b64 s[14:15], vcc
	s_cbranch_execz .LBB31_209
; %bb.206:
	s_waitcnt lgkmcnt(0)
	v_cmp_o_f64_e32 vcc, v[5:6], v[5:6]
	s_and_saveexec_b64 s[16:17], vcc
	s_cbranch_execz .LBB31_208
; %bb.207:
	v_cmp_gt_f64_e32 vcc, v[1:2], v[5:6]
	v_cndmask_b32_e32 v6, v2, v6, vcc
	v_cndmask_b32_e32 v5, v1, v5, vcc
.LBB31_208:
	s_or_b64 exec, exec, s[16:17]
	v_mov_b32_e32 v1, v5
	v_mov_b32_e32 v2, v6
.LBB31_209:
	s_or_b64 exec, exec, s[14:15]
.LBB31_210:
	s_or_b64 exec, exec, s[0:1]
	v_cmp_o_f64_e32 vcc, v[1:2], v[1:2]
	s_waitcnt lgkmcnt(0)
	v_or_b32_e32 v6, 8, v7
	ds_bpermute_b32 v5, v6, v1
	ds_bpermute_b32 v6, v6, v2
	v_add_u32_e32 v7, 2, v8
	v_cmp_gt_u32_e64 s[0:1], s18, v7
	s_and_b64 s[14:15], s[0:1], vcc
	s_and_saveexec_b64 s[0:1], s[14:15]
	s_cbranch_execz .LBB31_214
; %bb.211:
	s_waitcnt lgkmcnt(0)
	v_cmp_o_f64_e32 vcc, v[5:6], v[5:6]
	s_and_saveexec_b64 s[14:15], vcc
	s_cbranch_execz .LBB31_213
; %bb.212:
	v_cmp_gt_f64_e32 vcc, v[1:2], v[5:6]
	v_cndmask_b32_e32 v6, v2, v6, vcc
	v_cndmask_b32_e32 v5, v1, v5, vcc
.LBB31_213:
	s_or_b64 exec, exec, s[14:15]
	v_mov_b32_e32 v1, v5
	v_mov_b32_e32 v2, v6
.LBB31_214:
	s_or_b64 exec, exec, s[0:1]
.LBB31_215:
	s_or_b64 exec, exec, s[8:9]
	s_branch .LBB31_254
.LBB31_216:
                                        ; implicit-def: $vgpr1_vgpr2
	s_cbranch_execz .LBB31_254
; %bb.217:
	s_waitcnt vmcnt(0) lgkmcnt(1)
	v_mov_b32_dpp v1, v3 quad_perm:[1,0,3,2] row_mask:0xf bank_mask:0xf bound_ctrl:1
	s_waitcnt lgkmcnt(0)
	v_mov_b32_dpp v2, v4 quad_perm:[1,0,3,2] row_mask:0xf bank_mask:0xf bound_ctrl:1
	v_cmp_o_f64_e32 vcc, v[1:2], v[1:2]
	s_and_saveexec_b64 s[0:1], vcc
	s_cbranch_execz .LBB31_221
; %bb.218:
	v_cmp_o_f64_e32 vcc, v[3:4], v[3:4]
	s_and_saveexec_b64 s[8:9], vcc
	s_cbranch_execz .LBB31_220
; %bb.219:
	v_cmp_lt_f64_e32 vcc, v[3:4], v[1:2]
	v_cndmask_b32_e32 v4, v2, v4, vcc
	v_cndmask_b32_e32 v3, v1, v3, vcc
.LBB31_220:
	s_or_b64 exec, exec, s[8:9]
	v_mov_b32_e32 v1, v3
	v_mov_b32_e32 v2, v4
.LBB31_221:
	s_or_b64 exec, exec, s[0:1]
	v_mov_b32_dpp v3, v1 quad_perm:[2,3,0,1] row_mask:0xf bank_mask:0xf bound_ctrl:1
	v_mov_b32_dpp v4, v2 quad_perm:[2,3,0,1] row_mask:0xf bank_mask:0xf bound_ctrl:1
	v_cmp_o_f64_e32 vcc, v[3:4], v[3:4]
	s_and_saveexec_b64 s[0:1], vcc
	s_cbranch_execz .LBB31_225
; %bb.222:
	v_cmp_o_f64_e32 vcc, v[1:2], v[1:2]
	s_and_saveexec_b64 s[8:9], vcc
	s_cbranch_execz .LBB31_224
; %bb.223:
	v_cmp_lt_f64_e32 vcc, v[1:2], v[3:4]
	v_cndmask_b32_e32 v2, v4, v2, vcc
	v_cndmask_b32_e32 v1, v3, v1, vcc
.LBB31_224:
	s_or_b64 exec, exec, s[8:9]
	v_mov_b32_e32 v4, v2
	v_mov_b32_e32 v3, v1
.LBB31_225:
	s_or_b64 exec, exec, s[0:1]
	s_nop 0
	v_mov_b32_dpp v1, v3 row_ror:4 row_mask:0xf bank_mask:0xf bound_ctrl:1
	v_mov_b32_dpp v2, v4 row_ror:4 row_mask:0xf bank_mask:0xf bound_ctrl:1
	v_cmp_o_f64_e32 vcc, v[1:2], v[1:2]
	s_and_saveexec_b64 s[0:1], vcc
	s_cbranch_execz .LBB31_229
; %bb.226:
	v_cmp_o_f64_e32 vcc, v[3:4], v[3:4]
	s_and_saveexec_b64 s[8:9], vcc
	s_cbranch_execz .LBB31_228
; %bb.227:
	v_cmp_lt_f64_e32 vcc, v[3:4], v[1:2]
	v_cndmask_b32_e32 v4, v2, v4, vcc
	v_cndmask_b32_e32 v3, v1, v3, vcc
.LBB31_228:
	s_or_b64 exec, exec, s[8:9]
	v_mov_b32_e32 v1, v3
	v_mov_b32_e32 v2, v4
.LBB31_229:
	s_or_b64 exec, exec, s[0:1]
	v_mov_b32_dpp v3, v1 row_ror:8 row_mask:0xf bank_mask:0xf bound_ctrl:1
	v_mov_b32_dpp v4, v2 row_ror:8 row_mask:0xf bank_mask:0xf bound_ctrl:1
	v_cmp_o_f64_e32 vcc, v[3:4], v[3:4]
	s_and_saveexec_b64 s[0:1], vcc
	s_cbranch_execz .LBB31_233
; %bb.230:
	v_cmp_o_f64_e32 vcc, v[1:2], v[1:2]
	s_and_saveexec_b64 s[8:9], vcc
	s_cbranch_execz .LBB31_232
; %bb.231:
	v_cmp_lt_f64_e32 vcc, v[1:2], v[3:4]
	v_cndmask_b32_e32 v2, v4, v2, vcc
	v_cndmask_b32_e32 v1, v3, v1, vcc
.LBB31_232:
	s_or_b64 exec, exec, s[8:9]
	v_mov_b32_e32 v4, v2
	v_mov_b32_e32 v3, v1
.LBB31_233:
	s_or_b64 exec, exec, s[0:1]
	s_nop 0
	v_mov_b32_dpp v1, v3 row_bcast:15 row_mask:0xf bank_mask:0xf bound_ctrl:1
	v_mov_b32_dpp v2, v4 row_bcast:15 row_mask:0xf bank_mask:0xf bound_ctrl:1
	v_cmp_o_f64_e32 vcc, v[1:2], v[1:2]
	s_and_saveexec_b64 s[0:1], vcc
	s_cbranch_execz .LBB31_237
; %bb.234:
	v_cmp_o_f64_e32 vcc, v[3:4], v[3:4]
	s_and_saveexec_b64 s[8:9], vcc
	s_cbranch_execz .LBB31_236
; %bb.235:
	v_cmp_lt_f64_e32 vcc, v[3:4], v[1:2]
	v_cndmask_b32_e32 v4, v2, v4, vcc
	v_cndmask_b32_e32 v3, v1, v3, vcc
.LBB31_236:
	s_or_b64 exec, exec, s[8:9]
	v_mov_b32_e32 v1, v3
	v_mov_b32_e32 v2, v4
.LBB31_237:
	s_or_b64 exec, exec, s[0:1]
	v_mov_b32_dpp v3, v1 row_bcast:31 row_mask:0xf bank_mask:0xf bound_ctrl:1
	v_mov_b32_dpp v4, v2 row_bcast:31 row_mask:0xf bank_mask:0xf bound_ctrl:1
	v_cmp_o_f64_e32 vcc, v[3:4], v[3:4]
	s_and_saveexec_b64 s[0:1], vcc
	s_cbranch_execz .LBB31_241
; %bb.238:
	v_cmp_o_f64_e32 vcc, v[1:2], v[1:2]
	s_and_saveexec_b64 s[8:9], vcc
	s_cbranch_execz .LBB31_240
; %bb.239:
	v_cmp_lt_f64_e32 vcc, v[1:2], v[3:4]
	v_cndmask_b32_e32 v2, v4, v2, vcc
	v_cndmask_b32_e32 v1, v3, v1, vcc
.LBB31_240:
	s_or_b64 exec, exec, s[8:9]
	v_mov_b32_e32 v4, v2
	v_mov_b32_e32 v3, v1
.LBB31_241:
	s_or_b64 exec, exec, s[0:1]
	v_lshlrev_b32_e32 v5, 2, v9
	v_or_b32_e32 v2, 0xfc, v5
	ds_bpermute_b32 v1, v2, v3
	ds_bpermute_b32 v2, v2, v4
	v_cmp_eq_u32_e32 vcc, 0, v9
	s_and_saveexec_b64 s[0:1], vcc
	s_cbranch_execz .LBB31_243
; %bb.242:
	v_lshlrev_b32_e32 v3, 3, v10
	s_waitcnt lgkmcnt(0)
	ds_write_b64 v3, v[1:2]
.LBB31_243:
	s_or_b64 exec, exec, s[0:1]
	v_cmp_gt_u32_e32 vcc, 64, v0
	s_waitcnt lgkmcnt(0)
	s_barrier
	s_and_saveexec_b64 s[0:1], vcc
	s_cbranch_execz .LBB31_253
; %bb.244:
	v_and_b32_e32 v3, 3, v9
	v_lshlrev_b32_e32 v1, 3, v3
	ds_read_b64 v[1:2], v1
	v_cmp_ne_u32_e32 vcc, 3, v3
	v_addc_co_u32_e32 v3, vcc, 0, v9, vcc
	v_lshlrev_b32_e32 v4, 2, v3
	s_waitcnt lgkmcnt(0)
	v_cmp_o_f64_e32 vcc, v[1:2], v[1:2]
	ds_bpermute_b32 v3, v4, v1
	ds_bpermute_b32 v4, v4, v2
	s_and_saveexec_b64 s[8:9], vcc
	s_cbranch_execz .LBB31_248
; %bb.245:
	s_waitcnt lgkmcnt(0)
	v_cmp_o_f64_e32 vcc, v[3:4], v[3:4]
	s_and_saveexec_b64 s[14:15], vcc
	s_cbranch_execz .LBB31_247
; %bb.246:
	v_cmp_gt_f64_e32 vcc, v[1:2], v[3:4]
	v_cndmask_b32_e32 v4, v2, v4, vcc
	v_cndmask_b32_e32 v3, v1, v3, vcc
.LBB31_247:
	s_or_b64 exec, exec, s[14:15]
	v_mov_b32_e32 v1, v3
	v_mov_b32_e32 v2, v4
.LBB31_248:
	s_or_b64 exec, exec, s[8:9]
	v_cmp_o_f64_e32 vcc, v[1:2], v[1:2]
	s_waitcnt lgkmcnt(0)
	v_or_b32_e32 v4, 8, v5
	ds_bpermute_b32 v3, v4, v1
	ds_bpermute_b32 v4, v4, v2
	s_and_saveexec_b64 s[8:9], vcc
	s_cbranch_execz .LBB31_252
; %bb.249:
	s_waitcnt lgkmcnt(0)
	v_cmp_o_f64_e32 vcc, v[3:4], v[3:4]
	s_and_saveexec_b64 s[14:15], vcc
	s_cbranch_execz .LBB31_251
; %bb.250:
	v_cmp_gt_f64_e32 vcc, v[1:2], v[3:4]
	v_cndmask_b32_e32 v4, v2, v4, vcc
	v_cndmask_b32_e32 v3, v1, v3, vcc
.LBB31_251:
	s_or_b64 exec, exec, s[14:15]
	v_mov_b32_e32 v1, v3
	v_mov_b32_e32 v2, v4
.LBB31_252:
	s_or_b64 exec, exec, s[8:9]
.LBB31_253:
	s_or_b64 exec, exec, s[0:1]
.LBB31_254:
	v_cmp_eq_u32_e32 vcc, 0, v0
                                        ; implicit-def: $vgpr3_vgpr4
	s_and_saveexec_b64 s[0:1], vcc
	s_cbranch_execz .LBB31_260
; %bb.255:
	v_cmp_u_f64_e64 s[8:9], s[2:3], s[2:3]
	s_waitcnt vmcnt(0) lgkmcnt(0)
	v_mov_b32_e32 v4, s3
	v_mov_b32_e32 v3, s2
	s_and_b64 vcc, exec, s[8:9]
	s_cbranch_vccnz .LBB31_259
; %bb.256:
	v_cmp_o_f64_e32 vcc, v[1:2], v[1:2]
	s_and_saveexec_b64 s[8:9], vcc
	s_cbranch_execz .LBB31_258
; %bb.257:
	v_cmp_gt_f64_e32 vcc, s[2:3], v[1:2]
	v_mov_b32_e32 v0, s3
	v_cndmask_b32_e32 v2, v0, v2, vcc
	v_mov_b32_e32 v0, s2
	v_cndmask_b32_e32 v1, v0, v1, vcc
.LBB31_258:
	s_or_b64 exec, exec, s[8:9]
	v_mov_b32_e32 v4, v2
	v_mov_b32_e32 v3, v1
.LBB31_259:
	s_or_b64 s[4:5], s[4:5], exec
.LBB31_260:
	s_or_b64 exec, exec, s[0:1]
	s_and_saveexec_b64 s[0:1], s[4:5]
	s_cbranch_execz .LBB31_262
.LBB31_261:
	s_lshl_b64 s[0:1], s[12:13], 3
	s_add_u32 s2, s10, s0
	s_addc_u32 s3, s11, s1
	s_lshl_b64 s[0:1], s[6:7], 3
	s_add_u32 s0, s2, s0
	s_addc_u32 s1, s3, s1
	v_mov_b32_e32 v0, 0
	s_waitcnt vmcnt(0) lgkmcnt(0)
	global_store_dwordx2 v0, v[3:4], s[0:1]
.LBB31_262:
	s_endpgm
	.section	.rodata,"a",@progbits
	.p2align	6, 0x0
	.amdhsa_kernel _ZN7rocprim17ROCPRIM_400000_NS6detail17trampoline_kernelINS0_14default_configENS1_32segmented_reduce_config_selectorIdEEZNS1_21segmented_reduce_implIS3_PKdPdPKidN6hipcub16HIPCUB_304000_NS6detail27convert_result_type_wrapperIS8_S9_N2at6native12_GLOBAL__N_19CustomMinEEEEE10hipError_tPvRmT0_T1_jT2_SQ_T4_T3_P12ihipStream_tbEUlT_E_NS1_11comp_targetILNS1_3genE2ELNS1_11target_archE906ELNS1_3gpuE6ELNS1_3repE0EEENS1_30default_config_static_selectorELNS0_4arch9wavefront6targetE1EEEvSP_
		.amdhsa_group_segment_fixed_size 32
		.amdhsa_private_segment_fixed_size 0
		.amdhsa_kernarg_size 56
		.amdhsa_user_sgpr_count 6
		.amdhsa_user_sgpr_private_segment_buffer 1
		.amdhsa_user_sgpr_dispatch_ptr 0
		.amdhsa_user_sgpr_queue_ptr 0
		.amdhsa_user_sgpr_kernarg_segment_ptr 1
		.amdhsa_user_sgpr_dispatch_id 0
		.amdhsa_user_sgpr_flat_scratch_init 0
		.amdhsa_user_sgpr_private_segment_size 0
		.amdhsa_uses_dynamic_stack 0
		.amdhsa_system_sgpr_private_segment_wavefront_offset 0
		.amdhsa_system_sgpr_workgroup_id_x 1
		.amdhsa_system_sgpr_workgroup_id_y 0
		.amdhsa_system_sgpr_workgroup_id_z 0
		.amdhsa_system_sgpr_workgroup_info 0
		.amdhsa_system_vgpr_workitem_id 0
		.amdhsa_next_free_vgpr 26
		.amdhsa_next_free_sgpr 24
		.amdhsa_reserve_vcc 1
		.amdhsa_reserve_flat_scratch 0
		.amdhsa_float_round_mode_32 0
		.amdhsa_float_round_mode_16_64 0
		.amdhsa_float_denorm_mode_32 3
		.amdhsa_float_denorm_mode_16_64 3
		.amdhsa_dx10_clamp 1
		.amdhsa_ieee_mode 1
		.amdhsa_fp16_overflow 0
		.amdhsa_exception_fp_ieee_invalid_op 0
		.amdhsa_exception_fp_denorm_src 0
		.amdhsa_exception_fp_ieee_div_zero 0
		.amdhsa_exception_fp_ieee_overflow 0
		.amdhsa_exception_fp_ieee_underflow 0
		.amdhsa_exception_fp_ieee_inexact 0
		.amdhsa_exception_int_div_zero 0
	.end_amdhsa_kernel
	.section	.text._ZN7rocprim17ROCPRIM_400000_NS6detail17trampoline_kernelINS0_14default_configENS1_32segmented_reduce_config_selectorIdEEZNS1_21segmented_reduce_implIS3_PKdPdPKidN6hipcub16HIPCUB_304000_NS6detail27convert_result_type_wrapperIS8_S9_N2at6native12_GLOBAL__N_19CustomMinEEEEE10hipError_tPvRmT0_T1_jT2_SQ_T4_T3_P12ihipStream_tbEUlT_E_NS1_11comp_targetILNS1_3genE2ELNS1_11target_archE906ELNS1_3gpuE6ELNS1_3repE0EEENS1_30default_config_static_selectorELNS0_4arch9wavefront6targetE1EEEvSP_,"axG",@progbits,_ZN7rocprim17ROCPRIM_400000_NS6detail17trampoline_kernelINS0_14default_configENS1_32segmented_reduce_config_selectorIdEEZNS1_21segmented_reduce_implIS3_PKdPdPKidN6hipcub16HIPCUB_304000_NS6detail27convert_result_type_wrapperIS8_S9_N2at6native12_GLOBAL__N_19CustomMinEEEEE10hipError_tPvRmT0_T1_jT2_SQ_T4_T3_P12ihipStream_tbEUlT_E_NS1_11comp_targetILNS1_3genE2ELNS1_11target_archE906ELNS1_3gpuE6ELNS1_3repE0EEENS1_30default_config_static_selectorELNS0_4arch9wavefront6targetE1EEEvSP_,comdat
.Lfunc_end31:
	.size	_ZN7rocprim17ROCPRIM_400000_NS6detail17trampoline_kernelINS0_14default_configENS1_32segmented_reduce_config_selectorIdEEZNS1_21segmented_reduce_implIS3_PKdPdPKidN6hipcub16HIPCUB_304000_NS6detail27convert_result_type_wrapperIS8_S9_N2at6native12_GLOBAL__N_19CustomMinEEEEE10hipError_tPvRmT0_T1_jT2_SQ_T4_T3_P12ihipStream_tbEUlT_E_NS1_11comp_targetILNS1_3genE2ELNS1_11target_archE906ELNS1_3gpuE6ELNS1_3repE0EEENS1_30default_config_static_selectorELNS0_4arch9wavefront6targetE1EEEvSP_, .Lfunc_end31-_ZN7rocprim17ROCPRIM_400000_NS6detail17trampoline_kernelINS0_14default_configENS1_32segmented_reduce_config_selectorIdEEZNS1_21segmented_reduce_implIS3_PKdPdPKidN6hipcub16HIPCUB_304000_NS6detail27convert_result_type_wrapperIS8_S9_N2at6native12_GLOBAL__N_19CustomMinEEEEE10hipError_tPvRmT0_T1_jT2_SQ_T4_T3_P12ihipStream_tbEUlT_E_NS1_11comp_targetILNS1_3genE2ELNS1_11target_archE906ELNS1_3gpuE6ELNS1_3repE0EEENS1_30default_config_static_selectorELNS0_4arch9wavefront6targetE1EEEvSP_
                                        ; -- End function
	.set _ZN7rocprim17ROCPRIM_400000_NS6detail17trampoline_kernelINS0_14default_configENS1_32segmented_reduce_config_selectorIdEEZNS1_21segmented_reduce_implIS3_PKdPdPKidN6hipcub16HIPCUB_304000_NS6detail27convert_result_type_wrapperIS8_S9_N2at6native12_GLOBAL__N_19CustomMinEEEEE10hipError_tPvRmT0_T1_jT2_SQ_T4_T3_P12ihipStream_tbEUlT_E_NS1_11comp_targetILNS1_3genE2ELNS1_11target_archE906ELNS1_3gpuE6ELNS1_3repE0EEENS1_30default_config_static_selectorELNS0_4arch9wavefront6targetE1EEEvSP_.num_vgpr, 26
	.set _ZN7rocprim17ROCPRIM_400000_NS6detail17trampoline_kernelINS0_14default_configENS1_32segmented_reduce_config_selectorIdEEZNS1_21segmented_reduce_implIS3_PKdPdPKidN6hipcub16HIPCUB_304000_NS6detail27convert_result_type_wrapperIS8_S9_N2at6native12_GLOBAL__N_19CustomMinEEEEE10hipError_tPvRmT0_T1_jT2_SQ_T4_T3_P12ihipStream_tbEUlT_E_NS1_11comp_targetILNS1_3genE2ELNS1_11target_archE906ELNS1_3gpuE6ELNS1_3repE0EEENS1_30default_config_static_selectorELNS0_4arch9wavefront6targetE1EEEvSP_.num_agpr, 0
	.set _ZN7rocprim17ROCPRIM_400000_NS6detail17trampoline_kernelINS0_14default_configENS1_32segmented_reduce_config_selectorIdEEZNS1_21segmented_reduce_implIS3_PKdPdPKidN6hipcub16HIPCUB_304000_NS6detail27convert_result_type_wrapperIS8_S9_N2at6native12_GLOBAL__N_19CustomMinEEEEE10hipError_tPvRmT0_T1_jT2_SQ_T4_T3_P12ihipStream_tbEUlT_E_NS1_11comp_targetILNS1_3genE2ELNS1_11target_archE906ELNS1_3gpuE6ELNS1_3repE0EEENS1_30default_config_static_selectorELNS0_4arch9wavefront6targetE1EEEvSP_.numbered_sgpr, 24
	.set _ZN7rocprim17ROCPRIM_400000_NS6detail17trampoline_kernelINS0_14default_configENS1_32segmented_reduce_config_selectorIdEEZNS1_21segmented_reduce_implIS3_PKdPdPKidN6hipcub16HIPCUB_304000_NS6detail27convert_result_type_wrapperIS8_S9_N2at6native12_GLOBAL__N_19CustomMinEEEEE10hipError_tPvRmT0_T1_jT2_SQ_T4_T3_P12ihipStream_tbEUlT_E_NS1_11comp_targetILNS1_3genE2ELNS1_11target_archE906ELNS1_3gpuE6ELNS1_3repE0EEENS1_30default_config_static_selectorELNS0_4arch9wavefront6targetE1EEEvSP_.num_named_barrier, 0
	.set _ZN7rocprim17ROCPRIM_400000_NS6detail17trampoline_kernelINS0_14default_configENS1_32segmented_reduce_config_selectorIdEEZNS1_21segmented_reduce_implIS3_PKdPdPKidN6hipcub16HIPCUB_304000_NS6detail27convert_result_type_wrapperIS8_S9_N2at6native12_GLOBAL__N_19CustomMinEEEEE10hipError_tPvRmT0_T1_jT2_SQ_T4_T3_P12ihipStream_tbEUlT_E_NS1_11comp_targetILNS1_3genE2ELNS1_11target_archE906ELNS1_3gpuE6ELNS1_3repE0EEENS1_30default_config_static_selectorELNS0_4arch9wavefront6targetE1EEEvSP_.private_seg_size, 0
	.set _ZN7rocprim17ROCPRIM_400000_NS6detail17trampoline_kernelINS0_14default_configENS1_32segmented_reduce_config_selectorIdEEZNS1_21segmented_reduce_implIS3_PKdPdPKidN6hipcub16HIPCUB_304000_NS6detail27convert_result_type_wrapperIS8_S9_N2at6native12_GLOBAL__N_19CustomMinEEEEE10hipError_tPvRmT0_T1_jT2_SQ_T4_T3_P12ihipStream_tbEUlT_E_NS1_11comp_targetILNS1_3genE2ELNS1_11target_archE906ELNS1_3gpuE6ELNS1_3repE0EEENS1_30default_config_static_selectorELNS0_4arch9wavefront6targetE1EEEvSP_.uses_vcc, 1
	.set _ZN7rocprim17ROCPRIM_400000_NS6detail17trampoline_kernelINS0_14default_configENS1_32segmented_reduce_config_selectorIdEEZNS1_21segmented_reduce_implIS3_PKdPdPKidN6hipcub16HIPCUB_304000_NS6detail27convert_result_type_wrapperIS8_S9_N2at6native12_GLOBAL__N_19CustomMinEEEEE10hipError_tPvRmT0_T1_jT2_SQ_T4_T3_P12ihipStream_tbEUlT_E_NS1_11comp_targetILNS1_3genE2ELNS1_11target_archE906ELNS1_3gpuE6ELNS1_3repE0EEENS1_30default_config_static_selectorELNS0_4arch9wavefront6targetE1EEEvSP_.uses_flat_scratch, 0
	.set _ZN7rocprim17ROCPRIM_400000_NS6detail17trampoline_kernelINS0_14default_configENS1_32segmented_reduce_config_selectorIdEEZNS1_21segmented_reduce_implIS3_PKdPdPKidN6hipcub16HIPCUB_304000_NS6detail27convert_result_type_wrapperIS8_S9_N2at6native12_GLOBAL__N_19CustomMinEEEEE10hipError_tPvRmT0_T1_jT2_SQ_T4_T3_P12ihipStream_tbEUlT_E_NS1_11comp_targetILNS1_3genE2ELNS1_11target_archE906ELNS1_3gpuE6ELNS1_3repE0EEENS1_30default_config_static_selectorELNS0_4arch9wavefront6targetE1EEEvSP_.has_dyn_sized_stack, 0
	.set _ZN7rocprim17ROCPRIM_400000_NS6detail17trampoline_kernelINS0_14default_configENS1_32segmented_reduce_config_selectorIdEEZNS1_21segmented_reduce_implIS3_PKdPdPKidN6hipcub16HIPCUB_304000_NS6detail27convert_result_type_wrapperIS8_S9_N2at6native12_GLOBAL__N_19CustomMinEEEEE10hipError_tPvRmT0_T1_jT2_SQ_T4_T3_P12ihipStream_tbEUlT_E_NS1_11comp_targetILNS1_3genE2ELNS1_11target_archE906ELNS1_3gpuE6ELNS1_3repE0EEENS1_30default_config_static_selectorELNS0_4arch9wavefront6targetE1EEEvSP_.has_recursion, 0
	.set _ZN7rocprim17ROCPRIM_400000_NS6detail17trampoline_kernelINS0_14default_configENS1_32segmented_reduce_config_selectorIdEEZNS1_21segmented_reduce_implIS3_PKdPdPKidN6hipcub16HIPCUB_304000_NS6detail27convert_result_type_wrapperIS8_S9_N2at6native12_GLOBAL__N_19CustomMinEEEEE10hipError_tPvRmT0_T1_jT2_SQ_T4_T3_P12ihipStream_tbEUlT_E_NS1_11comp_targetILNS1_3genE2ELNS1_11target_archE906ELNS1_3gpuE6ELNS1_3repE0EEENS1_30default_config_static_selectorELNS0_4arch9wavefront6targetE1EEEvSP_.has_indirect_call, 0
	.section	.AMDGPU.csdata,"",@progbits
; Kernel info:
; codeLenInByte = 5416
; TotalNumSgprs: 28
; NumVgprs: 26
; ScratchSize: 0
; MemoryBound: 0
; FloatMode: 240
; IeeeMode: 1
; LDSByteSize: 32 bytes/workgroup (compile time only)
; SGPRBlocks: 3
; VGPRBlocks: 6
; NumSGPRsForWavesPerEU: 28
; NumVGPRsForWavesPerEU: 26
; Occupancy: 9
; WaveLimiterHint : 1
; COMPUTE_PGM_RSRC2:SCRATCH_EN: 0
; COMPUTE_PGM_RSRC2:USER_SGPR: 6
; COMPUTE_PGM_RSRC2:TRAP_HANDLER: 0
; COMPUTE_PGM_RSRC2:TGID_X_EN: 1
; COMPUTE_PGM_RSRC2:TGID_Y_EN: 0
; COMPUTE_PGM_RSRC2:TGID_Z_EN: 0
; COMPUTE_PGM_RSRC2:TIDIG_COMP_CNT: 0
	.section	.text._ZN7rocprim17ROCPRIM_400000_NS6detail17trampoline_kernelINS0_14default_configENS1_32segmented_reduce_config_selectorIdEEZNS1_21segmented_reduce_implIS3_PKdPdPKidN6hipcub16HIPCUB_304000_NS6detail27convert_result_type_wrapperIS8_S9_N2at6native12_GLOBAL__N_19CustomMinEEEEE10hipError_tPvRmT0_T1_jT2_SQ_T4_T3_P12ihipStream_tbEUlT_E_NS1_11comp_targetILNS1_3genE9ELNS1_11target_archE1100ELNS1_3gpuE3ELNS1_3repE0EEENS1_30default_config_static_selectorELNS0_4arch9wavefront6targetE1EEEvSP_,"axG",@progbits,_ZN7rocprim17ROCPRIM_400000_NS6detail17trampoline_kernelINS0_14default_configENS1_32segmented_reduce_config_selectorIdEEZNS1_21segmented_reduce_implIS3_PKdPdPKidN6hipcub16HIPCUB_304000_NS6detail27convert_result_type_wrapperIS8_S9_N2at6native12_GLOBAL__N_19CustomMinEEEEE10hipError_tPvRmT0_T1_jT2_SQ_T4_T3_P12ihipStream_tbEUlT_E_NS1_11comp_targetILNS1_3genE9ELNS1_11target_archE1100ELNS1_3gpuE3ELNS1_3repE0EEENS1_30default_config_static_selectorELNS0_4arch9wavefront6targetE1EEEvSP_,comdat
	.globl	_ZN7rocprim17ROCPRIM_400000_NS6detail17trampoline_kernelINS0_14default_configENS1_32segmented_reduce_config_selectorIdEEZNS1_21segmented_reduce_implIS3_PKdPdPKidN6hipcub16HIPCUB_304000_NS6detail27convert_result_type_wrapperIS8_S9_N2at6native12_GLOBAL__N_19CustomMinEEEEE10hipError_tPvRmT0_T1_jT2_SQ_T4_T3_P12ihipStream_tbEUlT_E_NS1_11comp_targetILNS1_3genE9ELNS1_11target_archE1100ELNS1_3gpuE3ELNS1_3repE0EEENS1_30default_config_static_selectorELNS0_4arch9wavefront6targetE1EEEvSP_ ; -- Begin function _ZN7rocprim17ROCPRIM_400000_NS6detail17trampoline_kernelINS0_14default_configENS1_32segmented_reduce_config_selectorIdEEZNS1_21segmented_reduce_implIS3_PKdPdPKidN6hipcub16HIPCUB_304000_NS6detail27convert_result_type_wrapperIS8_S9_N2at6native12_GLOBAL__N_19CustomMinEEEEE10hipError_tPvRmT0_T1_jT2_SQ_T4_T3_P12ihipStream_tbEUlT_E_NS1_11comp_targetILNS1_3genE9ELNS1_11target_archE1100ELNS1_3gpuE3ELNS1_3repE0EEENS1_30default_config_static_selectorELNS0_4arch9wavefront6targetE1EEEvSP_
	.p2align	8
	.type	_ZN7rocprim17ROCPRIM_400000_NS6detail17trampoline_kernelINS0_14default_configENS1_32segmented_reduce_config_selectorIdEEZNS1_21segmented_reduce_implIS3_PKdPdPKidN6hipcub16HIPCUB_304000_NS6detail27convert_result_type_wrapperIS8_S9_N2at6native12_GLOBAL__N_19CustomMinEEEEE10hipError_tPvRmT0_T1_jT2_SQ_T4_T3_P12ihipStream_tbEUlT_E_NS1_11comp_targetILNS1_3genE9ELNS1_11target_archE1100ELNS1_3gpuE3ELNS1_3repE0EEENS1_30default_config_static_selectorELNS0_4arch9wavefront6targetE1EEEvSP_,@function
_ZN7rocprim17ROCPRIM_400000_NS6detail17trampoline_kernelINS0_14default_configENS1_32segmented_reduce_config_selectorIdEEZNS1_21segmented_reduce_implIS3_PKdPdPKidN6hipcub16HIPCUB_304000_NS6detail27convert_result_type_wrapperIS8_S9_N2at6native12_GLOBAL__N_19CustomMinEEEEE10hipError_tPvRmT0_T1_jT2_SQ_T4_T3_P12ihipStream_tbEUlT_E_NS1_11comp_targetILNS1_3genE9ELNS1_11target_archE1100ELNS1_3gpuE3ELNS1_3repE0EEENS1_30default_config_static_selectorELNS0_4arch9wavefront6targetE1EEEvSP_: ; @_ZN7rocprim17ROCPRIM_400000_NS6detail17trampoline_kernelINS0_14default_configENS1_32segmented_reduce_config_selectorIdEEZNS1_21segmented_reduce_implIS3_PKdPdPKidN6hipcub16HIPCUB_304000_NS6detail27convert_result_type_wrapperIS8_S9_N2at6native12_GLOBAL__N_19CustomMinEEEEE10hipError_tPvRmT0_T1_jT2_SQ_T4_T3_P12ihipStream_tbEUlT_E_NS1_11comp_targetILNS1_3genE9ELNS1_11target_archE1100ELNS1_3gpuE3ELNS1_3repE0EEENS1_30default_config_static_selectorELNS0_4arch9wavefront6targetE1EEEvSP_
; %bb.0:
	.section	.rodata,"a",@progbits
	.p2align	6, 0x0
	.amdhsa_kernel _ZN7rocprim17ROCPRIM_400000_NS6detail17trampoline_kernelINS0_14default_configENS1_32segmented_reduce_config_selectorIdEEZNS1_21segmented_reduce_implIS3_PKdPdPKidN6hipcub16HIPCUB_304000_NS6detail27convert_result_type_wrapperIS8_S9_N2at6native12_GLOBAL__N_19CustomMinEEEEE10hipError_tPvRmT0_T1_jT2_SQ_T4_T3_P12ihipStream_tbEUlT_E_NS1_11comp_targetILNS1_3genE9ELNS1_11target_archE1100ELNS1_3gpuE3ELNS1_3repE0EEENS1_30default_config_static_selectorELNS0_4arch9wavefront6targetE1EEEvSP_
		.amdhsa_group_segment_fixed_size 0
		.amdhsa_private_segment_fixed_size 0
		.amdhsa_kernarg_size 56
		.amdhsa_user_sgpr_count 6
		.amdhsa_user_sgpr_private_segment_buffer 1
		.amdhsa_user_sgpr_dispatch_ptr 0
		.amdhsa_user_sgpr_queue_ptr 0
		.amdhsa_user_sgpr_kernarg_segment_ptr 1
		.amdhsa_user_sgpr_dispatch_id 0
		.amdhsa_user_sgpr_flat_scratch_init 0
		.amdhsa_user_sgpr_private_segment_size 0
		.amdhsa_uses_dynamic_stack 0
		.amdhsa_system_sgpr_private_segment_wavefront_offset 0
		.amdhsa_system_sgpr_workgroup_id_x 1
		.amdhsa_system_sgpr_workgroup_id_y 0
		.amdhsa_system_sgpr_workgroup_id_z 0
		.amdhsa_system_sgpr_workgroup_info 0
		.amdhsa_system_vgpr_workitem_id 0
		.amdhsa_next_free_vgpr 1
		.amdhsa_next_free_sgpr 0
		.amdhsa_reserve_vcc 0
		.amdhsa_reserve_flat_scratch 0
		.amdhsa_float_round_mode_32 0
		.amdhsa_float_round_mode_16_64 0
		.amdhsa_float_denorm_mode_32 3
		.amdhsa_float_denorm_mode_16_64 3
		.amdhsa_dx10_clamp 1
		.amdhsa_ieee_mode 1
		.amdhsa_fp16_overflow 0
		.amdhsa_exception_fp_ieee_invalid_op 0
		.amdhsa_exception_fp_denorm_src 0
		.amdhsa_exception_fp_ieee_div_zero 0
		.amdhsa_exception_fp_ieee_overflow 0
		.amdhsa_exception_fp_ieee_underflow 0
		.amdhsa_exception_fp_ieee_inexact 0
		.amdhsa_exception_int_div_zero 0
	.end_amdhsa_kernel
	.section	.text._ZN7rocprim17ROCPRIM_400000_NS6detail17trampoline_kernelINS0_14default_configENS1_32segmented_reduce_config_selectorIdEEZNS1_21segmented_reduce_implIS3_PKdPdPKidN6hipcub16HIPCUB_304000_NS6detail27convert_result_type_wrapperIS8_S9_N2at6native12_GLOBAL__N_19CustomMinEEEEE10hipError_tPvRmT0_T1_jT2_SQ_T4_T3_P12ihipStream_tbEUlT_E_NS1_11comp_targetILNS1_3genE9ELNS1_11target_archE1100ELNS1_3gpuE3ELNS1_3repE0EEENS1_30default_config_static_selectorELNS0_4arch9wavefront6targetE1EEEvSP_,"axG",@progbits,_ZN7rocprim17ROCPRIM_400000_NS6detail17trampoline_kernelINS0_14default_configENS1_32segmented_reduce_config_selectorIdEEZNS1_21segmented_reduce_implIS3_PKdPdPKidN6hipcub16HIPCUB_304000_NS6detail27convert_result_type_wrapperIS8_S9_N2at6native12_GLOBAL__N_19CustomMinEEEEE10hipError_tPvRmT0_T1_jT2_SQ_T4_T3_P12ihipStream_tbEUlT_E_NS1_11comp_targetILNS1_3genE9ELNS1_11target_archE1100ELNS1_3gpuE3ELNS1_3repE0EEENS1_30default_config_static_selectorELNS0_4arch9wavefront6targetE1EEEvSP_,comdat
.Lfunc_end32:
	.size	_ZN7rocprim17ROCPRIM_400000_NS6detail17trampoline_kernelINS0_14default_configENS1_32segmented_reduce_config_selectorIdEEZNS1_21segmented_reduce_implIS3_PKdPdPKidN6hipcub16HIPCUB_304000_NS6detail27convert_result_type_wrapperIS8_S9_N2at6native12_GLOBAL__N_19CustomMinEEEEE10hipError_tPvRmT0_T1_jT2_SQ_T4_T3_P12ihipStream_tbEUlT_E_NS1_11comp_targetILNS1_3genE9ELNS1_11target_archE1100ELNS1_3gpuE3ELNS1_3repE0EEENS1_30default_config_static_selectorELNS0_4arch9wavefront6targetE1EEEvSP_, .Lfunc_end32-_ZN7rocprim17ROCPRIM_400000_NS6detail17trampoline_kernelINS0_14default_configENS1_32segmented_reduce_config_selectorIdEEZNS1_21segmented_reduce_implIS3_PKdPdPKidN6hipcub16HIPCUB_304000_NS6detail27convert_result_type_wrapperIS8_S9_N2at6native12_GLOBAL__N_19CustomMinEEEEE10hipError_tPvRmT0_T1_jT2_SQ_T4_T3_P12ihipStream_tbEUlT_E_NS1_11comp_targetILNS1_3genE9ELNS1_11target_archE1100ELNS1_3gpuE3ELNS1_3repE0EEENS1_30default_config_static_selectorELNS0_4arch9wavefront6targetE1EEEvSP_
                                        ; -- End function
	.set _ZN7rocprim17ROCPRIM_400000_NS6detail17trampoline_kernelINS0_14default_configENS1_32segmented_reduce_config_selectorIdEEZNS1_21segmented_reduce_implIS3_PKdPdPKidN6hipcub16HIPCUB_304000_NS6detail27convert_result_type_wrapperIS8_S9_N2at6native12_GLOBAL__N_19CustomMinEEEEE10hipError_tPvRmT0_T1_jT2_SQ_T4_T3_P12ihipStream_tbEUlT_E_NS1_11comp_targetILNS1_3genE9ELNS1_11target_archE1100ELNS1_3gpuE3ELNS1_3repE0EEENS1_30default_config_static_selectorELNS0_4arch9wavefront6targetE1EEEvSP_.num_vgpr, 0
	.set _ZN7rocprim17ROCPRIM_400000_NS6detail17trampoline_kernelINS0_14default_configENS1_32segmented_reduce_config_selectorIdEEZNS1_21segmented_reduce_implIS3_PKdPdPKidN6hipcub16HIPCUB_304000_NS6detail27convert_result_type_wrapperIS8_S9_N2at6native12_GLOBAL__N_19CustomMinEEEEE10hipError_tPvRmT0_T1_jT2_SQ_T4_T3_P12ihipStream_tbEUlT_E_NS1_11comp_targetILNS1_3genE9ELNS1_11target_archE1100ELNS1_3gpuE3ELNS1_3repE0EEENS1_30default_config_static_selectorELNS0_4arch9wavefront6targetE1EEEvSP_.num_agpr, 0
	.set _ZN7rocprim17ROCPRIM_400000_NS6detail17trampoline_kernelINS0_14default_configENS1_32segmented_reduce_config_selectorIdEEZNS1_21segmented_reduce_implIS3_PKdPdPKidN6hipcub16HIPCUB_304000_NS6detail27convert_result_type_wrapperIS8_S9_N2at6native12_GLOBAL__N_19CustomMinEEEEE10hipError_tPvRmT0_T1_jT2_SQ_T4_T3_P12ihipStream_tbEUlT_E_NS1_11comp_targetILNS1_3genE9ELNS1_11target_archE1100ELNS1_3gpuE3ELNS1_3repE0EEENS1_30default_config_static_selectorELNS0_4arch9wavefront6targetE1EEEvSP_.numbered_sgpr, 0
	.set _ZN7rocprim17ROCPRIM_400000_NS6detail17trampoline_kernelINS0_14default_configENS1_32segmented_reduce_config_selectorIdEEZNS1_21segmented_reduce_implIS3_PKdPdPKidN6hipcub16HIPCUB_304000_NS6detail27convert_result_type_wrapperIS8_S9_N2at6native12_GLOBAL__N_19CustomMinEEEEE10hipError_tPvRmT0_T1_jT2_SQ_T4_T3_P12ihipStream_tbEUlT_E_NS1_11comp_targetILNS1_3genE9ELNS1_11target_archE1100ELNS1_3gpuE3ELNS1_3repE0EEENS1_30default_config_static_selectorELNS0_4arch9wavefront6targetE1EEEvSP_.num_named_barrier, 0
	.set _ZN7rocprim17ROCPRIM_400000_NS6detail17trampoline_kernelINS0_14default_configENS1_32segmented_reduce_config_selectorIdEEZNS1_21segmented_reduce_implIS3_PKdPdPKidN6hipcub16HIPCUB_304000_NS6detail27convert_result_type_wrapperIS8_S9_N2at6native12_GLOBAL__N_19CustomMinEEEEE10hipError_tPvRmT0_T1_jT2_SQ_T4_T3_P12ihipStream_tbEUlT_E_NS1_11comp_targetILNS1_3genE9ELNS1_11target_archE1100ELNS1_3gpuE3ELNS1_3repE0EEENS1_30default_config_static_selectorELNS0_4arch9wavefront6targetE1EEEvSP_.private_seg_size, 0
	.set _ZN7rocprim17ROCPRIM_400000_NS6detail17trampoline_kernelINS0_14default_configENS1_32segmented_reduce_config_selectorIdEEZNS1_21segmented_reduce_implIS3_PKdPdPKidN6hipcub16HIPCUB_304000_NS6detail27convert_result_type_wrapperIS8_S9_N2at6native12_GLOBAL__N_19CustomMinEEEEE10hipError_tPvRmT0_T1_jT2_SQ_T4_T3_P12ihipStream_tbEUlT_E_NS1_11comp_targetILNS1_3genE9ELNS1_11target_archE1100ELNS1_3gpuE3ELNS1_3repE0EEENS1_30default_config_static_selectorELNS0_4arch9wavefront6targetE1EEEvSP_.uses_vcc, 0
	.set _ZN7rocprim17ROCPRIM_400000_NS6detail17trampoline_kernelINS0_14default_configENS1_32segmented_reduce_config_selectorIdEEZNS1_21segmented_reduce_implIS3_PKdPdPKidN6hipcub16HIPCUB_304000_NS6detail27convert_result_type_wrapperIS8_S9_N2at6native12_GLOBAL__N_19CustomMinEEEEE10hipError_tPvRmT0_T1_jT2_SQ_T4_T3_P12ihipStream_tbEUlT_E_NS1_11comp_targetILNS1_3genE9ELNS1_11target_archE1100ELNS1_3gpuE3ELNS1_3repE0EEENS1_30default_config_static_selectorELNS0_4arch9wavefront6targetE1EEEvSP_.uses_flat_scratch, 0
	.set _ZN7rocprim17ROCPRIM_400000_NS6detail17trampoline_kernelINS0_14default_configENS1_32segmented_reduce_config_selectorIdEEZNS1_21segmented_reduce_implIS3_PKdPdPKidN6hipcub16HIPCUB_304000_NS6detail27convert_result_type_wrapperIS8_S9_N2at6native12_GLOBAL__N_19CustomMinEEEEE10hipError_tPvRmT0_T1_jT2_SQ_T4_T3_P12ihipStream_tbEUlT_E_NS1_11comp_targetILNS1_3genE9ELNS1_11target_archE1100ELNS1_3gpuE3ELNS1_3repE0EEENS1_30default_config_static_selectorELNS0_4arch9wavefront6targetE1EEEvSP_.has_dyn_sized_stack, 0
	.set _ZN7rocprim17ROCPRIM_400000_NS6detail17trampoline_kernelINS0_14default_configENS1_32segmented_reduce_config_selectorIdEEZNS1_21segmented_reduce_implIS3_PKdPdPKidN6hipcub16HIPCUB_304000_NS6detail27convert_result_type_wrapperIS8_S9_N2at6native12_GLOBAL__N_19CustomMinEEEEE10hipError_tPvRmT0_T1_jT2_SQ_T4_T3_P12ihipStream_tbEUlT_E_NS1_11comp_targetILNS1_3genE9ELNS1_11target_archE1100ELNS1_3gpuE3ELNS1_3repE0EEENS1_30default_config_static_selectorELNS0_4arch9wavefront6targetE1EEEvSP_.has_recursion, 0
	.set _ZN7rocprim17ROCPRIM_400000_NS6detail17trampoline_kernelINS0_14default_configENS1_32segmented_reduce_config_selectorIdEEZNS1_21segmented_reduce_implIS3_PKdPdPKidN6hipcub16HIPCUB_304000_NS6detail27convert_result_type_wrapperIS8_S9_N2at6native12_GLOBAL__N_19CustomMinEEEEE10hipError_tPvRmT0_T1_jT2_SQ_T4_T3_P12ihipStream_tbEUlT_E_NS1_11comp_targetILNS1_3genE9ELNS1_11target_archE1100ELNS1_3gpuE3ELNS1_3repE0EEENS1_30default_config_static_selectorELNS0_4arch9wavefront6targetE1EEEvSP_.has_indirect_call, 0
	.section	.AMDGPU.csdata,"",@progbits
; Kernel info:
; codeLenInByte = 0
; TotalNumSgprs: 4
; NumVgprs: 0
; ScratchSize: 0
; MemoryBound: 0
; FloatMode: 240
; IeeeMode: 1
; LDSByteSize: 0 bytes/workgroup (compile time only)
; SGPRBlocks: 0
; VGPRBlocks: 0
; NumSGPRsForWavesPerEU: 4
; NumVGPRsForWavesPerEU: 1
; Occupancy: 10
; WaveLimiterHint : 0
; COMPUTE_PGM_RSRC2:SCRATCH_EN: 0
; COMPUTE_PGM_RSRC2:USER_SGPR: 6
; COMPUTE_PGM_RSRC2:TRAP_HANDLER: 0
; COMPUTE_PGM_RSRC2:TGID_X_EN: 1
; COMPUTE_PGM_RSRC2:TGID_Y_EN: 0
; COMPUTE_PGM_RSRC2:TGID_Z_EN: 0
; COMPUTE_PGM_RSRC2:TIDIG_COMP_CNT: 0
	.section	.text._ZN7rocprim17ROCPRIM_400000_NS6detail17trampoline_kernelINS0_14default_configENS1_32segmented_reduce_config_selectorIdEEZNS1_21segmented_reduce_implIS3_PKdPdPKidN6hipcub16HIPCUB_304000_NS6detail27convert_result_type_wrapperIS8_S9_N2at6native12_GLOBAL__N_19CustomMinEEEEE10hipError_tPvRmT0_T1_jT2_SQ_T4_T3_P12ihipStream_tbEUlT_E_NS1_11comp_targetILNS1_3genE8ELNS1_11target_archE1030ELNS1_3gpuE2ELNS1_3repE0EEENS1_30default_config_static_selectorELNS0_4arch9wavefront6targetE1EEEvSP_,"axG",@progbits,_ZN7rocprim17ROCPRIM_400000_NS6detail17trampoline_kernelINS0_14default_configENS1_32segmented_reduce_config_selectorIdEEZNS1_21segmented_reduce_implIS3_PKdPdPKidN6hipcub16HIPCUB_304000_NS6detail27convert_result_type_wrapperIS8_S9_N2at6native12_GLOBAL__N_19CustomMinEEEEE10hipError_tPvRmT0_T1_jT2_SQ_T4_T3_P12ihipStream_tbEUlT_E_NS1_11comp_targetILNS1_3genE8ELNS1_11target_archE1030ELNS1_3gpuE2ELNS1_3repE0EEENS1_30default_config_static_selectorELNS0_4arch9wavefront6targetE1EEEvSP_,comdat
	.globl	_ZN7rocprim17ROCPRIM_400000_NS6detail17trampoline_kernelINS0_14default_configENS1_32segmented_reduce_config_selectorIdEEZNS1_21segmented_reduce_implIS3_PKdPdPKidN6hipcub16HIPCUB_304000_NS6detail27convert_result_type_wrapperIS8_S9_N2at6native12_GLOBAL__N_19CustomMinEEEEE10hipError_tPvRmT0_T1_jT2_SQ_T4_T3_P12ihipStream_tbEUlT_E_NS1_11comp_targetILNS1_3genE8ELNS1_11target_archE1030ELNS1_3gpuE2ELNS1_3repE0EEENS1_30default_config_static_selectorELNS0_4arch9wavefront6targetE1EEEvSP_ ; -- Begin function _ZN7rocprim17ROCPRIM_400000_NS6detail17trampoline_kernelINS0_14default_configENS1_32segmented_reduce_config_selectorIdEEZNS1_21segmented_reduce_implIS3_PKdPdPKidN6hipcub16HIPCUB_304000_NS6detail27convert_result_type_wrapperIS8_S9_N2at6native12_GLOBAL__N_19CustomMinEEEEE10hipError_tPvRmT0_T1_jT2_SQ_T4_T3_P12ihipStream_tbEUlT_E_NS1_11comp_targetILNS1_3genE8ELNS1_11target_archE1030ELNS1_3gpuE2ELNS1_3repE0EEENS1_30default_config_static_selectorELNS0_4arch9wavefront6targetE1EEEvSP_
	.p2align	8
	.type	_ZN7rocprim17ROCPRIM_400000_NS6detail17trampoline_kernelINS0_14default_configENS1_32segmented_reduce_config_selectorIdEEZNS1_21segmented_reduce_implIS3_PKdPdPKidN6hipcub16HIPCUB_304000_NS6detail27convert_result_type_wrapperIS8_S9_N2at6native12_GLOBAL__N_19CustomMinEEEEE10hipError_tPvRmT0_T1_jT2_SQ_T4_T3_P12ihipStream_tbEUlT_E_NS1_11comp_targetILNS1_3genE8ELNS1_11target_archE1030ELNS1_3gpuE2ELNS1_3repE0EEENS1_30default_config_static_selectorELNS0_4arch9wavefront6targetE1EEEvSP_,@function
_ZN7rocprim17ROCPRIM_400000_NS6detail17trampoline_kernelINS0_14default_configENS1_32segmented_reduce_config_selectorIdEEZNS1_21segmented_reduce_implIS3_PKdPdPKidN6hipcub16HIPCUB_304000_NS6detail27convert_result_type_wrapperIS8_S9_N2at6native12_GLOBAL__N_19CustomMinEEEEE10hipError_tPvRmT0_T1_jT2_SQ_T4_T3_P12ihipStream_tbEUlT_E_NS1_11comp_targetILNS1_3genE8ELNS1_11target_archE1030ELNS1_3gpuE2ELNS1_3repE0EEENS1_30default_config_static_selectorELNS0_4arch9wavefront6targetE1EEEvSP_: ; @_ZN7rocprim17ROCPRIM_400000_NS6detail17trampoline_kernelINS0_14default_configENS1_32segmented_reduce_config_selectorIdEEZNS1_21segmented_reduce_implIS3_PKdPdPKidN6hipcub16HIPCUB_304000_NS6detail27convert_result_type_wrapperIS8_S9_N2at6native12_GLOBAL__N_19CustomMinEEEEE10hipError_tPvRmT0_T1_jT2_SQ_T4_T3_P12ihipStream_tbEUlT_E_NS1_11comp_targetILNS1_3genE8ELNS1_11target_archE1030ELNS1_3gpuE2ELNS1_3repE0EEENS1_30default_config_static_selectorELNS0_4arch9wavefront6targetE1EEEvSP_
; %bb.0:
	.section	.rodata,"a",@progbits
	.p2align	6, 0x0
	.amdhsa_kernel _ZN7rocprim17ROCPRIM_400000_NS6detail17trampoline_kernelINS0_14default_configENS1_32segmented_reduce_config_selectorIdEEZNS1_21segmented_reduce_implIS3_PKdPdPKidN6hipcub16HIPCUB_304000_NS6detail27convert_result_type_wrapperIS8_S9_N2at6native12_GLOBAL__N_19CustomMinEEEEE10hipError_tPvRmT0_T1_jT2_SQ_T4_T3_P12ihipStream_tbEUlT_E_NS1_11comp_targetILNS1_3genE8ELNS1_11target_archE1030ELNS1_3gpuE2ELNS1_3repE0EEENS1_30default_config_static_selectorELNS0_4arch9wavefront6targetE1EEEvSP_
		.amdhsa_group_segment_fixed_size 0
		.amdhsa_private_segment_fixed_size 0
		.amdhsa_kernarg_size 56
		.amdhsa_user_sgpr_count 6
		.amdhsa_user_sgpr_private_segment_buffer 1
		.amdhsa_user_sgpr_dispatch_ptr 0
		.amdhsa_user_sgpr_queue_ptr 0
		.amdhsa_user_sgpr_kernarg_segment_ptr 1
		.amdhsa_user_sgpr_dispatch_id 0
		.amdhsa_user_sgpr_flat_scratch_init 0
		.amdhsa_user_sgpr_private_segment_size 0
		.amdhsa_uses_dynamic_stack 0
		.amdhsa_system_sgpr_private_segment_wavefront_offset 0
		.amdhsa_system_sgpr_workgroup_id_x 1
		.amdhsa_system_sgpr_workgroup_id_y 0
		.amdhsa_system_sgpr_workgroup_id_z 0
		.amdhsa_system_sgpr_workgroup_info 0
		.amdhsa_system_vgpr_workitem_id 0
		.amdhsa_next_free_vgpr 1
		.amdhsa_next_free_sgpr 0
		.amdhsa_reserve_vcc 0
		.amdhsa_reserve_flat_scratch 0
		.amdhsa_float_round_mode_32 0
		.amdhsa_float_round_mode_16_64 0
		.amdhsa_float_denorm_mode_32 3
		.amdhsa_float_denorm_mode_16_64 3
		.amdhsa_dx10_clamp 1
		.amdhsa_ieee_mode 1
		.amdhsa_fp16_overflow 0
		.amdhsa_exception_fp_ieee_invalid_op 0
		.amdhsa_exception_fp_denorm_src 0
		.amdhsa_exception_fp_ieee_div_zero 0
		.amdhsa_exception_fp_ieee_overflow 0
		.amdhsa_exception_fp_ieee_underflow 0
		.amdhsa_exception_fp_ieee_inexact 0
		.amdhsa_exception_int_div_zero 0
	.end_amdhsa_kernel
	.section	.text._ZN7rocprim17ROCPRIM_400000_NS6detail17trampoline_kernelINS0_14default_configENS1_32segmented_reduce_config_selectorIdEEZNS1_21segmented_reduce_implIS3_PKdPdPKidN6hipcub16HIPCUB_304000_NS6detail27convert_result_type_wrapperIS8_S9_N2at6native12_GLOBAL__N_19CustomMinEEEEE10hipError_tPvRmT0_T1_jT2_SQ_T4_T3_P12ihipStream_tbEUlT_E_NS1_11comp_targetILNS1_3genE8ELNS1_11target_archE1030ELNS1_3gpuE2ELNS1_3repE0EEENS1_30default_config_static_selectorELNS0_4arch9wavefront6targetE1EEEvSP_,"axG",@progbits,_ZN7rocprim17ROCPRIM_400000_NS6detail17trampoline_kernelINS0_14default_configENS1_32segmented_reduce_config_selectorIdEEZNS1_21segmented_reduce_implIS3_PKdPdPKidN6hipcub16HIPCUB_304000_NS6detail27convert_result_type_wrapperIS8_S9_N2at6native12_GLOBAL__N_19CustomMinEEEEE10hipError_tPvRmT0_T1_jT2_SQ_T4_T3_P12ihipStream_tbEUlT_E_NS1_11comp_targetILNS1_3genE8ELNS1_11target_archE1030ELNS1_3gpuE2ELNS1_3repE0EEENS1_30default_config_static_selectorELNS0_4arch9wavefront6targetE1EEEvSP_,comdat
.Lfunc_end33:
	.size	_ZN7rocprim17ROCPRIM_400000_NS6detail17trampoline_kernelINS0_14default_configENS1_32segmented_reduce_config_selectorIdEEZNS1_21segmented_reduce_implIS3_PKdPdPKidN6hipcub16HIPCUB_304000_NS6detail27convert_result_type_wrapperIS8_S9_N2at6native12_GLOBAL__N_19CustomMinEEEEE10hipError_tPvRmT0_T1_jT2_SQ_T4_T3_P12ihipStream_tbEUlT_E_NS1_11comp_targetILNS1_3genE8ELNS1_11target_archE1030ELNS1_3gpuE2ELNS1_3repE0EEENS1_30default_config_static_selectorELNS0_4arch9wavefront6targetE1EEEvSP_, .Lfunc_end33-_ZN7rocprim17ROCPRIM_400000_NS6detail17trampoline_kernelINS0_14default_configENS1_32segmented_reduce_config_selectorIdEEZNS1_21segmented_reduce_implIS3_PKdPdPKidN6hipcub16HIPCUB_304000_NS6detail27convert_result_type_wrapperIS8_S9_N2at6native12_GLOBAL__N_19CustomMinEEEEE10hipError_tPvRmT0_T1_jT2_SQ_T4_T3_P12ihipStream_tbEUlT_E_NS1_11comp_targetILNS1_3genE8ELNS1_11target_archE1030ELNS1_3gpuE2ELNS1_3repE0EEENS1_30default_config_static_selectorELNS0_4arch9wavefront6targetE1EEEvSP_
                                        ; -- End function
	.set _ZN7rocprim17ROCPRIM_400000_NS6detail17trampoline_kernelINS0_14default_configENS1_32segmented_reduce_config_selectorIdEEZNS1_21segmented_reduce_implIS3_PKdPdPKidN6hipcub16HIPCUB_304000_NS6detail27convert_result_type_wrapperIS8_S9_N2at6native12_GLOBAL__N_19CustomMinEEEEE10hipError_tPvRmT0_T1_jT2_SQ_T4_T3_P12ihipStream_tbEUlT_E_NS1_11comp_targetILNS1_3genE8ELNS1_11target_archE1030ELNS1_3gpuE2ELNS1_3repE0EEENS1_30default_config_static_selectorELNS0_4arch9wavefront6targetE1EEEvSP_.num_vgpr, 0
	.set _ZN7rocprim17ROCPRIM_400000_NS6detail17trampoline_kernelINS0_14default_configENS1_32segmented_reduce_config_selectorIdEEZNS1_21segmented_reduce_implIS3_PKdPdPKidN6hipcub16HIPCUB_304000_NS6detail27convert_result_type_wrapperIS8_S9_N2at6native12_GLOBAL__N_19CustomMinEEEEE10hipError_tPvRmT0_T1_jT2_SQ_T4_T3_P12ihipStream_tbEUlT_E_NS1_11comp_targetILNS1_3genE8ELNS1_11target_archE1030ELNS1_3gpuE2ELNS1_3repE0EEENS1_30default_config_static_selectorELNS0_4arch9wavefront6targetE1EEEvSP_.num_agpr, 0
	.set _ZN7rocprim17ROCPRIM_400000_NS6detail17trampoline_kernelINS0_14default_configENS1_32segmented_reduce_config_selectorIdEEZNS1_21segmented_reduce_implIS3_PKdPdPKidN6hipcub16HIPCUB_304000_NS6detail27convert_result_type_wrapperIS8_S9_N2at6native12_GLOBAL__N_19CustomMinEEEEE10hipError_tPvRmT0_T1_jT2_SQ_T4_T3_P12ihipStream_tbEUlT_E_NS1_11comp_targetILNS1_3genE8ELNS1_11target_archE1030ELNS1_3gpuE2ELNS1_3repE0EEENS1_30default_config_static_selectorELNS0_4arch9wavefront6targetE1EEEvSP_.numbered_sgpr, 0
	.set _ZN7rocprim17ROCPRIM_400000_NS6detail17trampoline_kernelINS0_14default_configENS1_32segmented_reduce_config_selectorIdEEZNS1_21segmented_reduce_implIS3_PKdPdPKidN6hipcub16HIPCUB_304000_NS6detail27convert_result_type_wrapperIS8_S9_N2at6native12_GLOBAL__N_19CustomMinEEEEE10hipError_tPvRmT0_T1_jT2_SQ_T4_T3_P12ihipStream_tbEUlT_E_NS1_11comp_targetILNS1_3genE8ELNS1_11target_archE1030ELNS1_3gpuE2ELNS1_3repE0EEENS1_30default_config_static_selectorELNS0_4arch9wavefront6targetE1EEEvSP_.num_named_barrier, 0
	.set _ZN7rocprim17ROCPRIM_400000_NS6detail17trampoline_kernelINS0_14default_configENS1_32segmented_reduce_config_selectorIdEEZNS1_21segmented_reduce_implIS3_PKdPdPKidN6hipcub16HIPCUB_304000_NS6detail27convert_result_type_wrapperIS8_S9_N2at6native12_GLOBAL__N_19CustomMinEEEEE10hipError_tPvRmT0_T1_jT2_SQ_T4_T3_P12ihipStream_tbEUlT_E_NS1_11comp_targetILNS1_3genE8ELNS1_11target_archE1030ELNS1_3gpuE2ELNS1_3repE0EEENS1_30default_config_static_selectorELNS0_4arch9wavefront6targetE1EEEvSP_.private_seg_size, 0
	.set _ZN7rocprim17ROCPRIM_400000_NS6detail17trampoline_kernelINS0_14default_configENS1_32segmented_reduce_config_selectorIdEEZNS1_21segmented_reduce_implIS3_PKdPdPKidN6hipcub16HIPCUB_304000_NS6detail27convert_result_type_wrapperIS8_S9_N2at6native12_GLOBAL__N_19CustomMinEEEEE10hipError_tPvRmT0_T1_jT2_SQ_T4_T3_P12ihipStream_tbEUlT_E_NS1_11comp_targetILNS1_3genE8ELNS1_11target_archE1030ELNS1_3gpuE2ELNS1_3repE0EEENS1_30default_config_static_selectorELNS0_4arch9wavefront6targetE1EEEvSP_.uses_vcc, 0
	.set _ZN7rocprim17ROCPRIM_400000_NS6detail17trampoline_kernelINS0_14default_configENS1_32segmented_reduce_config_selectorIdEEZNS1_21segmented_reduce_implIS3_PKdPdPKidN6hipcub16HIPCUB_304000_NS6detail27convert_result_type_wrapperIS8_S9_N2at6native12_GLOBAL__N_19CustomMinEEEEE10hipError_tPvRmT0_T1_jT2_SQ_T4_T3_P12ihipStream_tbEUlT_E_NS1_11comp_targetILNS1_3genE8ELNS1_11target_archE1030ELNS1_3gpuE2ELNS1_3repE0EEENS1_30default_config_static_selectorELNS0_4arch9wavefront6targetE1EEEvSP_.uses_flat_scratch, 0
	.set _ZN7rocprim17ROCPRIM_400000_NS6detail17trampoline_kernelINS0_14default_configENS1_32segmented_reduce_config_selectorIdEEZNS1_21segmented_reduce_implIS3_PKdPdPKidN6hipcub16HIPCUB_304000_NS6detail27convert_result_type_wrapperIS8_S9_N2at6native12_GLOBAL__N_19CustomMinEEEEE10hipError_tPvRmT0_T1_jT2_SQ_T4_T3_P12ihipStream_tbEUlT_E_NS1_11comp_targetILNS1_3genE8ELNS1_11target_archE1030ELNS1_3gpuE2ELNS1_3repE0EEENS1_30default_config_static_selectorELNS0_4arch9wavefront6targetE1EEEvSP_.has_dyn_sized_stack, 0
	.set _ZN7rocprim17ROCPRIM_400000_NS6detail17trampoline_kernelINS0_14default_configENS1_32segmented_reduce_config_selectorIdEEZNS1_21segmented_reduce_implIS3_PKdPdPKidN6hipcub16HIPCUB_304000_NS6detail27convert_result_type_wrapperIS8_S9_N2at6native12_GLOBAL__N_19CustomMinEEEEE10hipError_tPvRmT0_T1_jT2_SQ_T4_T3_P12ihipStream_tbEUlT_E_NS1_11comp_targetILNS1_3genE8ELNS1_11target_archE1030ELNS1_3gpuE2ELNS1_3repE0EEENS1_30default_config_static_selectorELNS0_4arch9wavefront6targetE1EEEvSP_.has_recursion, 0
	.set _ZN7rocprim17ROCPRIM_400000_NS6detail17trampoline_kernelINS0_14default_configENS1_32segmented_reduce_config_selectorIdEEZNS1_21segmented_reduce_implIS3_PKdPdPKidN6hipcub16HIPCUB_304000_NS6detail27convert_result_type_wrapperIS8_S9_N2at6native12_GLOBAL__N_19CustomMinEEEEE10hipError_tPvRmT0_T1_jT2_SQ_T4_T3_P12ihipStream_tbEUlT_E_NS1_11comp_targetILNS1_3genE8ELNS1_11target_archE1030ELNS1_3gpuE2ELNS1_3repE0EEENS1_30default_config_static_selectorELNS0_4arch9wavefront6targetE1EEEvSP_.has_indirect_call, 0
	.section	.AMDGPU.csdata,"",@progbits
; Kernel info:
; codeLenInByte = 0
; TotalNumSgprs: 4
; NumVgprs: 0
; ScratchSize: 0
; MemoryBound: 0
; FloatMode: 240
; IeeeMode: 1
; LDSByteSize: 0 bytes/workgroup (compile time only)
; SGPRBlocks: 0
; VGPRBlocks: 0
; NumSGPRsForWavesPerEU: 4
; NumVGPRsForWavesPerEU: 1
; Occupancy: 10
; WaveLimiterHint : 0
; COMPUTE_PGM_RSRC2:SCRATCH_EN: 0
; COMPUTE_PGM_RSRC2:USER_SGPR: 6
; COMPUTE_PGM_RSRC2:TRAP_HANDLER: 0
; COMPUTE_PGM_RSRC2:TGID_X_EN: 1
; COMPUTE_PGM_RSRC2:TGID_Y_EN: 0
; COMPUTE_PGM_RSRC2:TGID_Z_EN: 0
; COMPUTE_PGM_RSRC2:TIDIG_COMP_CNT: 0
	.section	.text._ZN7rocprim17ROCPRIM_400000_NS6detail17trampoline_kernelINS0_14default_configENS1_32segmented_reduce_config_selectorIdEEZNS1_21segmented_reduce_implIS3_PKdPdPKidN6hipcub16HIPCUB_304000_NS6detail27convert_result_type_wrapperIS8_S9_N2at6native12_GLOBAL__N_110CustomProdEEEEE10hipError_tPvRmT0_T1_jT2_SQ_T4_T3_P12ihipStream_tbEUlT_E_NS1_11comp_targetILNS1_3genE0ELNS1_11target_archE4294967295ELNS1_3gpuE0ELNS1_3repE0EEENS1_30default_config_static_selectorELNS0_4arch9wavefront6targetE1EEEvSP_,"axG",@progbits,_ZN7rocprim17ROCPRIM_400000_NS6detail17trampoline_kernelINS0_14default_configENS1_32segmented_reduce_config_selectorIdEEZNS1_21segmented_reduce_implIS3_PKdPdPKidN6hipcub16HIPCUB_304000_NS6detail27convert_result_type_wrapperIS8_S9_N2at6native12_GLOBAL__N_110CustomProdEEEEE10hipError_tPvRmT0_T1_jT2_SQ_T4_T3_P12ihipStream_tbEUlT_E_NS1_11comp_targetILNS1_3genE0ELNS1_11target_archE4294967295ELNS1_3gpuE0ELNS1_3repE0EEENS1_30default_config_static_selectorELNS0_4arch9wavefront6targetE1EEEvSP_,comdat
	.globl	_ZN7rocprim17ROCPRIM_400000_NS6detail17trampoline_kernelINS0_14default_configENS1_32segmented_reduce_config_selectorIdEEZNS1_21segmented_reduce_implIS3_PKdPdPKidN6hipcub16HIPCUB_304000_NS6detail27convert_result_type_wrapperIS8_S9_N2at6native12_GLOBAL__N_110CustomProdEEEEE10hipError_tPvRmT0_T1_jT2_SQ_T4_T3_P12ihipStream_tbEUlT_E_NS1_11comp_targetILNS1_3genE0ELNS1_11target_archE4294967295ELNS1_3gpuE0ELNS1_3repE0EEENS1_30default_config_static_selectorELNS0_4arch9wavefront6targetE1EEEvSP_ ; -- Begin function _ZN7rocprim17ROCPRIM_400000_NS6detail17trampoline_kernelINS0_14default_configENS1_32segmented_reduce_config_selectorIdEEZNS1_21segmented_reduce_implIS3_PKdPdPKidN6hipcub16HIPCUB_304000_NS6detail27convert_result_type_wrapperIS8_S9_N2at6native12_GLOBAL__N_110CustomProdEEEEE10hipError_tPvRmT0_T1_jT2_SQ_T4_T3_P12ihipStream_tbEUlT_E_NS1_11comp_targetILNS1_3genE0ELNS1_11target_archE4294967295ELNS1_3gpuE0ELNS1_3repE0EEENS1_30default_config_static_selectorELNS0_4arch9wavefront6targetE1EEEvSP_
	.p2align	8
	.type	_ZN7rocprim17ROCPRIM_400000_NS6detail17trampoline_kernelINS0_14default_configENS1_32segmented_reduce_config_selectorIdEEZNS1_21segmented_reduce_implIS3_PKdPdPKidN6hipcub16HIPCUB_304000_NS6detail27convert_result_type_wrapperIS8_S9_N2at6native12_GLOBAL__N_110CustomProdEEEEE10hipError_tPvRmT0_T1_jT2_SQ_T4_T3_P12ihipStream_tbEUlT_E_NS1_11comp_targetILNS1_3genE0ELNS1_11target_archE4294967295ELNS1_3gpuE0ELNS1_3repE0EEENS1_30default_config_static_selectorELNS0_4arch9wavefront6targetE1EEEvSP_,@function
_ZN7rocprim17ROCPRIM_400000_NS6detail17trampoline_kernelINS0_14default_configENS1_32segmented_reduce_config_selectorIdEEZNS1_21segmented_reduce_implIS3_PKdPdPKidN6hipcub16HIPCUB_304000_NS6detail27convert_result_type_wrapperIS8_S9_N2at6native12_GLOBAL__N_110CustomProdEEEEE10hipError_tPvRmT0_T1_jT2_SQ_T4_T3_P12ihipStream_tbEUlT_E_NS1_11comp_targetILNS1_3genE0ELNS1_11target_archE4294967295ELNS1_3gpuE0ELNS1_3repE0EEENS1_30default_config_static_selectorELNS0_4arch9wavefront6targetE1EEEvSP_: ; @_ZN7rocprim17ROCPRIM_400000_NS6detail17trampoline_kernelINS0_14default_configENS1_32segmented_reduce_config_selectorIdEEZNS1_21segmented_reduce_implIS3_PKdPdPKidN6hipcub16HIPCUB_304000_NS6detail27convert_result_type_wrapperIS8_S9_N2at6native12_GLOBAL__N_110CustomProdEEEEE10hipError_tPvRmT0_T1_jT2_SQ_T4_T3_P12ihipStream_tbEUlT_E_NS1_11comp_targetILNS1_3genE0ELNS1_11target_archE4294967295ELNS1_3gpuE0ELNS1_3repE0EEENS1_30default_config_static_selectorELNS0_4arch9wavefront6targetE1EEEvSP_
; %bb.0:
	.section	.rodata,"a",@progbits
	.p2align	6, 0x0
	.amdhsa_kernel _ZN7rocprim17ROCPRIM_400000_NS6detail17trampoline_kernelINS0_14default_configENS1_32segmented_reduce_config_selectorIdEEZNS1_21segmented_reduce_implIS3_PKdPdPKidN6hipcub16HIPCUB_304000_NS6detail27convert_result_type_wrapperIS8_S9_N2at6native12_GLOBAL__N_110CustomProdEEEEE10hipError_tPvRmT0_T1_jT2_SQ_T4_T3_P12ihipStream_tbEUlT_E_NS1_11comp_targetILNS1_3genE0ELNS1_11target_archE4294967295ELNS1_3gpuE0ELNS1_3repE0EEENS1_30default_config_static_selectorELNS0_4arch9wavefront6targetE1EEEvSP_
		.amdhsa_group_segment_fixed_size 0
		.amdhsa_private_segment_fixed_size 0
		.amdhsa_kernarg_size 56
		.amdhsa_user_sgpr_count 6
		.amdhsa_user_sgpr_private_segment_buffer 1
		.amdhsa_user_sgpr_dispatch_ptr 0
		.amdhsa_user_sgpr_queue_ptr 0
		.amdhsa_user_sgpr_kernarg_segment_ptr 1
		.amdhsa_user_sgpr_dispatch_id 0
		.amdhsa_user_sgpr_flat_scratch_init 0
		.amdhsa_user_sgpr_private_segment_size 0
		.amdhsa_uses_dynamic_stack 0
		.amdhsa_system_sgpr_private_segment_wavefront_offset 0
		.amdhsa_system_sgpr_workgroup_id_x 1
		.amdhsa_system_sgpr_workgroup_id_y 0
		.amdhsa_system_sgpr_workgroup_id_z 0
		.amdhsa_system_sgpr_workgroup_info 0
		.amdhsa_system_vgpr_workitem_id 0
		.amdhsa_next_free_vgpr 1
		.amdhsa_next_free_sgpr 0
		.amdhsa_reserve_vcc 0
		.amdhsa_reserve_flat_scratch 0
		.amdhsa_float_round_mode_32 0
		.amdhsa_float_round_mode_16_64 0
		.amdhsa_float_denorm_mode_32 3
		.amdhsa_float_denorm_mode_16_64 3
		.amdhsa_dx10_clamp 1
		.amdhsa_ieee_mode 1
		.amdhsa_fp16_overflow 0
		.amdhsa_exception_fp_ieee_invalid_op 0
		.amdhsa_exception_fp_denorm_src 0
		.amdhsa_exception_fp_ieee_div_zero 0
		.amdhsa_exception_fp_ieee_overflow 0
		.amdhsa_exception_fp_ieee_underflow 0
		.amdhsa_exception_fp_ieee_inexact 0
		.amdhsa_exception_int_div_zero 0
	.end_amdhsa_kernel
	.section	.text._ZN7rocprim17ROCPRIM_400000_NS6detail17trampoline_kernelINS0_14default_configENS1_32segmented_reduce_config_selectorIdEEZNS1_21segmented_reduce_implIS3_PKdPdPKidN6hipcub16HIPCUB_304000_NS6detail27convert_result_type_wrapperIS8_S9_N2at6native12_GLOBAL__N_110CustomProdEEEEE10hipError_tPvRmT0_T1_jT2_SQ_T4_T3_P12ihipStream_tbEUlT_E_NS1_11comp_targetILNS1_3genE0ELNS1_11target_archE4294967295ELNS1_3gpuE0ELNS1_3repE0EEENS1_30default_config_static_selectorELNS0_4arch9wavefront6targetE1EEEvSP_,"axG",@progbits,_ZN7rocprim17ROCPRIM_400000_NS6detail17trampoline_kernelINS0_14default_configENS1_32segmented_reduce_config_selectorIdEEZNS1_21segmented_reduce_implIS3_PKdPdPKidN6hipcub16HIPCUB_304000_NS6detail27convert_result_type_wrapperIS8_S9_N2at6native12_GLOBAL__N_110CustomProdEEEEE10hipError_tPvRmT0_T1_jT2_SQ_T4_T3_P12ihipStream_tbEUlT_E_NS1_11comp_targetILNS1_3genE0ELNS1_11target_archE4294967295ELNS1_3gpuE0ELNS1_3repE0EEENS1_30default_config_static_selectorELNS0_4arch9wavefront6targetE1EEEvSP_,comdat
.Lfunc_end34:
	.size	_ZN7rocprim17ROCPRIM_400000_NS6detail17trampoline_kernelINS0_14default_configENS1_32segmented_reduce_config_selectorIdEEZNS1_21segmented_reduce_implIS3_PKdPdPKidN6hipcub16HIPCUB_304000_NS6detail27convert_result_type_wrapperIS8_S9_N2at6native12_GLOBAL__N_110CustomProdEEEEE10hipError_tPvRmT0_T1_jT2_SQ_T4_T3_P12ihipStream_tbEUlT_E_NS1_11comp_targetILNS1_3genE0ELNS1_11target_archE4294967295ELNS1_3gpuE0ELNS1_3repE0EEENS1_30default_config_static_selectorELNS0_4arch9wavefront6targetE1EEEvSP_, .Lfunc_end34-_ZN7rocprim17ROCPRIM_400000_NS6detail17trampoline_kernelINS0_14default_configENS1_32segmented_reduce_config_selectorIdEEZNS1_21segmented_reduce_implIS3_PKdPdPKidN6hipcub16HIPCUB_304000_NS6detail27convert_result_type_wrapperIS8_S9_N2at6native12_GLOBAL__N_110CustomProdEEEEE10hipError_tPvRmT0_T1_jT2_SQ_T4_T3_P12ihipStream_tbEUlT_E_NS1_11comp_targetILNS1_3genE0ELNS1_11target_archE4294967295ELNS1_3gpuE0ELNS1_3repE0EEENS1_30default_config_static_selectorELNS0_4arch9wavefront6targetE1EEEvSP_
                                        ; -- End function
	.set _ZN7rocprim17ROCPRIM_400000_NS6detail17trampoline_kernelINS0_14default_configENS1_32segmented_reduce_config_selectorIdEEZNS1_21segmented_reduce_implIS3_PKdPdPKidN6hipcub16HIPCUB_304000_NS6detail27convert_result_type_wrapperIS8_S9_N2at6native12_GLOBAL__N_110CustomProdEEEEE10hipError_tPvRmT0_T1_jT2_SQ_T4_T3_P12ihipStream_tbEUlT_E_NS1_11comp_targetILNS1_3genE0ELNS1_11target_archE4294967295ELNS1_3gpuE0ELNS1_3repE0EEENS1_30default_config_static_selectorELNS0_4arch9wavefront6targetE1EEEvSP_.num_vgpr, 0
	.set _ZN7rocprim17ROCPRIM_400000_NS6detail17trampoline_kernelINS0_14default_configENS1_32segmented_reduce_config_selectorIdEEZNS1_21segmented_reduce_implIS3_PKdPdPKidN6hipcub16HIPCUB_304000_NS6detail27convert_result_type_wrapperIS8_S9_N2at6native12_GLOBAL__N_110CustomProdEEEEE10hipError_tPvRmT0_T1_jT2_SQ_T4_T3_P12ihipStream_tbEUlT_E_NS1_11comp_targetILNS1_3genE0ELNS1_11target_archE4294967295ELNS1_3gpuE0ELNS1_3repE0EEENS1_30default_config_static_selectorELNS0_4arch9wavefront6targetE1EEEvSP_.num_agpr, 0
	.set _ZN7rocprim17ROCPRIM_400000_NS6detail17trampoline_kernelINS0_14default_configENS1_32segmented_reduce_config_selectorIdEEZNS1_21segmented_reduce_implIS3_PKdPdPKidN6hipcub16HIPCUB_304000_NS6detail27convert_result_type_wrapperIS8_S9_N2at6native12_GLOBAL__N_110CustomProdEEEEE10hipError_tPvRmT0_T1_jT2_SQ_T4_T3_P12ihipStream_tbEUlT_E_NS1_11comp_targetILNS1_3genE0ELNS1_11target_archE4294967295ELNS1_3gpuE0ELNS1_3repE0EEENS1_30default_config_static_selectorELNS0_4arch9wavefront6targetE1EEEvSP_.numbered_sgpr, 0
	.set _ZN7rocprim17ROCPRIM_400000_NS6detail17trampoline_kernelINS0_14default_configENS1_32segmented_reduce_config_selectorIdEEZNS1_21segmented_reduce_implIS3_PKdPdPKidN6hipcub16HIPCUB_304000_NS6detail27convert_result_type_wrapperIS8_S9_N2at6native12_GLOBAL__N_110CustomProdEEEEE10hipError_tPvRmT0_T1_jT2_SQ_T4_T3_P12ihipStream_tbEUlT_E_NS1_11comp_targetILNS1_3genE0ELNS1_11target_archE4294967295ELNS1_3gpuE0ELNS1_3repE0EEENS1_30default_config_static_selectorELNS0_4arch9wavefront6targetE1EEEvSP_.num_named_barrier, 0
	.set _ZN7rocprim17ROCPRIM_400000_NS6detail17trampoline_kernelINS0_14default_configENS1_32segmented_reduce_config_selectorIdEEZNS1_21segmented_reduce_implIS3_PKdPdPKidN6hipcub16HIPCUB_304000_NS6detail27convert_result_type_wrapperIS8_S9_N2at6native12_GLOBAL__N_110CustomProdEEEEE10hipError_tPvRmT0_T1_jT2_SQ_T4_T3_P12ihipStream_tbEUlT_E_NS1_11comp_targetILNS1_3genE0ELNS1_11target_archE4294967295ELNS1_3gpuE0ELNS1_3repE0EEENS1_30default_config_static_selectorELNS0_4arch9wavefront6targetE1EEEvSP_.private_seg_size, 0
	.set _ZN7rocprim17ROCPRIM_400000_NS6detail17trampoline_kernelINS0_14default_configENS1_32segmented_reduce_config_selectorIdEEZNS1_21segmented_reduce_implIS3_PKdPdPKidN6hipcub16HIPCUB_304000_NS6detail27convert_result_type_wrapperIS8_S9_N2at6native12_GLOBAL__N_110CustomProdEEEEE10hipError_tPvRmT0_T1_jT2_SQ_T4_T3_P12ihipStream_tbEUlT_E_NS1_11comp_targetILNS1_3genE0ELNS1_11target_archE4294967295ELNS1_3gpuE0ELNS1_3repE0EEENS1_30default_config_static_selectorELNS0_4arch9wavefront6targetE1EEEvSP_.uses_vcc, 0
	.set _ZN7rocprim17ROCPRIM_400000_NS6detail17trampoline_kernelINS0_14default_configENS1_32segmented_reduce_config_selectorIdEEZNS1_21segmented_reduce_implIS3_PKdPdPKidN6hipcub16HIPCUB_304000_NS6detail27convert_result_type_wrapperIS8_S9_N2at6native12_GLOBAL__N_110CustomProdEEEEE10hipError_tPvRmT0_T1_jT2_SQ_T4_T3_P12ihipStream_tbEUlT_E_NS1_11comp_targetILNS1_3genE0ELNS1_11target_archE4294967295ELNS1_3gpuE0ELNS1_3repE0EEENS1_30default_config_static_selectorELNS0_4arch9wavefront6targetE1EEEvSP_.uses_flat_scratch, 0
	.set _ZN7rocprim17ROCPRIM_400000_NS6detail17trampoline_kernelINS0_14default_configENS1_32segmented_reduce_config_selectorIdEEZNS1_21segmented_reduce_implIS3_PKdPdPKidN6hipcub16HIPCUB_304000_NS6detail27convert_result_type_wrapperIS8_S9_N2at6native12_GLOBAL__N_110CustomProdEEEEE10hipError_tPvRmT0_T1_jT2_SQ_T4_T3_P12ihipStream_tbEUlT_E_NS1_11comp_targetILNS1_3genE0ELNS1_11target_archE4294967295ELNS1_3gpuE0ELNS1_3repE0EEENS1_30default_config_static_selectorELNS0_4arch9wavefront6targetE1EEEvSP_.has_dyn_sized_stack, 0
	.set _ZN7rocprim17ROCPRIM_400000_NS6detail17trampoline_kernelINS0_14default_configENS1_32segmented_reduce_config_selectorIdEEZNS1_21segmented_reduce_implIS3_PKdPdPKidN6hipcub16HIPCUB_304000_NS6detail27convert_result_type_wrapperIS8_S9_N2at6native12_GLOBAL__N_110CustomProdEEEEE10hipError_tPvRmT0_T1_jT2_SQ_T4_T3_P12ihipStream_tbEUlT_E_NS1_11comp_targetILNS1_3genE0ELNS1_11target_archE4294967295ELNS1_3gpuE0ELNS1_3repE0EEENS1_30default_config_static_selectorELNS0_4arch9wavefront6targetE1EEEvSP_.has_recursion, 0
	.set _ZN7rocprim17ROCPRIM_400000_NS6detail17trampoline_kernelINS0_14default_configENS1_32segmented_reduce_config_selectorIdEEZNS1_21segmented_reduce_implIS3_PKdPdPKidN6hipcub16HIPCUB_304000_NS6detail27convert_result_type_wrapperIS8_S9_N2at6native12_GLOBAL__N_110CustomProdEEEEE10hipError_tPvRmT0_T1_jT2_SQ_T4_T3_P12ihipStream_tbEUlT_E_NS1_11comp_targetILNS1_3genE0ELNS1_11target_archE4294967295ELNS1_3gpuE0ELNS1_3repE0EEENS1_30default_config_static_selectorELNS0_4arch9wavefront6targetE1EEEvSP_.has_indirect_call, 0
	.section	.AMDGPU.csdata,"",@progbits
; Kernel info:
; codeLenInByte = 0
; TotalNumSgprs: 4
; NumVgprs: 0
; ScratchSize: 0
; MemoryBound: 0
; FloatMode: 240
; IeeeMode: 1
; LDSByteSize: 0 bytes/workgroup (compile time only)
; SGPRBlocks: 0
; VGPRBlocks: 0
; NumSGPRsForWavesPerEU: 4
; NumVGPRsForWavesPerEU: 1
; Occupancy: 10
; WaveLimiterHint : 0
; COMPUTE_PGM_RSRC2:SCRATCH_EN: 0
; COMPUTE_PGM_RSRC2:USER_SGPR: 6
; COMPUTE_PGM_RSRC2:TRAP_HANDLER: 0
; COMPUTE_PGM_RSRC2:TGID_X_EN: 1
; COMPUTE_PGM_RSRC2:TGID_Y_EN: 0
; COMPUTE_PGM_RSRC2:TGID_Z_EN: 0
; COMPUTE_PGM_RSRC2:TIDIG_COMP_CNT: 0
	.section	.text._ZN7rocprim17ROCPRIM_400000_NS6detail17trampoline_kernelINS0_14default_configENS1_32segmented_reduce_config_selectorIdEEZNS1_21segmented_reduce_implIS3_PKdPdPKidN6hipcub16HIPCUB_304000_NS6detail27convert_result_type_wrapperIS8_S9_N2at6native12_GLOBAL__N_110CustomProdEEEEE10hipError_tPvRmT0_T1_jT2_SQ_T4_T3_P12ihipStream_tbEUlT_E_NS1_11comp_targetILNS1_3genE5ELNS1_11target_archE942ELNS1_3gpuE9ELNS1_3repE0EEENS1_30default_config_static_selectorELNS0_4arch9wavefront6targetE1EEEvSP_,"axG",@progbits,_ZN7rocprim17ROCPRIM_400000_NS6detail17trampoline_kernelINS0_14default_configENS1_32segmented_reduce_config_selectorIdEEZNS1_21segmented_reduce_implIS3_PKdPdPKidN6hipcub16HIPCUB_304000_NS6detail27convert_result_type_wrapperIS8_S9_N2at6native12_GLOBAL__N_110CustomProdEEEEE10hipError_tPvRmT0_T1_jT2_SQ_T4_T3_P12ihipStream_tbEUlT_E_NS1_11comp_targetILNS1_3genE5ELNS1_11target_archE942ELNS1_3gpuE9ELNS1_3repE0EEENS1_30default_config_static_selectorELNS0_4arch9wavefront6targetE1EEEvSP_,comdat
	.globl	_ZN7rocprim17ROCPRIM_400000_NS6detail17trampoline_kernelINS0_14default_configENS1_32segmented_reduce_config_selectorIdEEZNS1_21segmented_reduce_implIS3_PKdPdPKidN6hipcub16HIPCUB_304000_NS6detail27convert_result_type_wrapperIS8_S9_N2at6native12_GLOBAL__N_110CustomProdEEEEE10hipError_tPvRmT0_T1_jT2_SQ_T4_T3_P12ihipStream_tbEUlT_E_NS1_11comp_targetILNS1_3genE5ELNS1_11target_archE942ELNS1_3gpuE9ELNS1_3repE0EEENS1_30default_config_static_selectorELNS0_4arch9wavefront6targetE1EEEvSP_ ; -- Begin function _ZN7rocprim17ROCPRIM_400000_NS6detail17trampoline_kernelINS0_14default_configENS1_32segmented_reduce_config_selectorIdEEZNS1_21segmented_reduce_implIS3_PKdPdPKidN6hipcub16HIPCUB_304000_NS6detail27convert_result_type_wrapperIS8_S9_N2at6native12_GLOBAL__N_110CustomProdEEEEE10hipError_tPvRmT0_T1_jT2_SQ_T4_T3_P12ihipStream_tbEUlT_E_NS1_11comp_targetILNS1_3genE5ELNS1_11target_archE942ELNS1_3gpuE9ELNS1_3repE0EEENS1_30default_config_static_selectorELNS0_4arch9wavefront6targetE1EEEvSP_
	.p2align	8
	.type	_ZN7rocprim17ROCPRIM_400000_NS6detail17trampoline_kernelINS0_14default_configENS1_32segmented_reduce_config_selectorIdEEZNS1_21segmented_reduce_implIS3_PKdPdPKidN6hipcub16HIPCUB_304000_NS6detail27convert_result_type_wrapperIS8_S9_N2at6native12_GLOBAL__N_110CustomProdEEEEE10hipError_tPvRmT0_T1_jT2_SQ_T4_T3_P12ihipStream_tbEUlT_E_NS1_11comp_targetILNS1_3genE5ELNS1_11target_archE942ELNS1_3gpuE9ELNS1_3repE0EEENS1_30default_config_static_selectorELNS0_4arch9wavefront6targetE1EEEvSP_,@function
_ZN7rocprim17ROCPRIM_400000_NS6detail17trampoline_kernelINS0_14default_configENS1_32segmented_reduce_config_selectorIdEEZNS1_21segmented_reduce_implIS3_PKdPdPKidN6hipcub16HIPCUB_304000_NS6detail27convert_result_type_wrapperIS8_S9_N2at6native12_GLOBAL__N_110CustomProdEEEEE10hipError_tPvRmT0_T1_jT2_SQ_T4_T3_P12ihipStream_tbEUlT_E_NS1_11comp_targetILNS1_3genE5ELNS1_11target_archE942ELNS1_3gpuE9ELNS1_3repE0EEENS1_30default_config_static_selectorELNS0_4arch9wavefront6targetE1EEEvSP_: ; @_ZN7rocprim17ROCPRIM_400000_NS6detail17trampoline_kernelINS0_14default_configENS1_32segmented_reduce_config_selectorIdEEZNS1_21segmented_reduce_implIS3_PKdPdPKidN6hipcub16HIPCUB_304000_NS6detail27convert_result_type_wrapperIS8_S9_N2at6native12_GLOBAL__N_110CustomProdEEEEE10hipError_tPvRmT0_T1_jT2_SQ_T4_T3_P12ihipStream_tbEUlT_E_NS1_11comp_targetILNS1_3genE5ELNS1_11target_archE942ELNS1_3gpuE9ELNS1_3repE0EEENS1_30default_config_static_selectorELNS0_4arch9wavefront6targetE1EEEvSP_
; %bb.0:
	.section	.rodata,"a",@progbits
	.p2align	6, 0x0
	.amdhsa_kernel _ZN7rocprim17ROCPRIM_400000_NS6detail17trampoline_kernelINS0_14default_configENS1_32segmented_reduce_config_selectorIdEEZNS1_21segmented_reduce_implIS3_PKdPdPKidN6hipcub16HIPCUB_304000_NS6detail27convert_result_type_wrapperIS8_S9_N2at6native12_GLOBAL__N_110CustomProdEEEEE10hipError_tPvRmT0_T1_jT2_SQ_T4_T3_P12ihipStream_tbEUlT_E_NS1_11comp_targetILNS1_3genE5ELNS1_11target_archE942ELNS1_3gpuE9ELNS1_3repE0EEENS1_30default_config_static_selectorELNS0_4arch9wavefront6targetE1EEEvSP_
		.amdhsa_group_segment_fixed_size 0
		.amdhsa_private_segment_fixed_size 0
		.amdhsa_kernarg_size 56
		.amdhsa_user_sgpr_count 6
		.amdhsa_user_sgpr_private_segment_buffer 1
		.amdhsa_user_sgpr_dispatch_ptr 0
		.amdhsa_user_sgpr_queue_ptr 0
		.amdhsa_user_sgpr_kernarg_segment_ptr 1
		.amdhsa_user_sgpr_dispatch_id 0
		.amdhsa_user_sgpr_flat_scratch_init 0
		.amdhsa_user_sgpr_private_segment_size 0
		.amdhsa_uses_dynamic_stack 0
		.amdhsa_system_sgpr_private_segment_wavefront_offset 0
		.amdhsa_system_sgpr_workgroup_id_x 1
		.amdhsa_system_sgpr_workgroup_id_y 0
		.amdhsa_system_sgpr_workgroup_id_z 0
		.amdhsa_system_sgpr_workgroup_info 0
		.amdhsa_system_vgpr_workitem_id 0
		.amdhsa_next_free_vgpr 1
		.amdhsa_next_free_sgpr 0
		.amdhsa_reserve_vcc 0
		.amdhsa_reserve_flat_scratch 0
		.amdhsa_float_round_mode_32 0
		.amdhsa_float_round_mode_16_64 0
		.amdhsa_float_denorm_mode_32 3
		.amdhsa_float_denorm_mode_16_64 3
		.amdhsa_dx10_clamp 1
		.amdhsa_ieee_mode 1
		.amdhsa_fp16_overflow 0
		.amdhsa_exception_fp_ieee_invalid_op 0
		.amdhsa_exception_fp_denorm_src 0
		.amdhsa_exception_fp_ieee_div_zero 0
		.amdhsa_exception_fp_ieee_overflow 0
		.amdhsa_exception_fp_ieee_underflow 0
		.amdhsa_exception_fp_ieee_inexact 0
		.amdhsa_exception_int_div_zero 0
	.end_amdhsa_kernel
	.section	.text._ZN7rocprim17ROCPRIM_400000_NS6detail17trampoline_kernelINS0_14default_configENS1_32segmented_reduce_config_selectorIdEEZNS1_21segmented_reduce_implIS3_PKdPdPKidN6hipcub16HIPCUB_304000_NS6detail27convert_result_type_wrapperIS8_S9_N2at6native12_GLOBAL__N_110CustomProdEEEEE10hipError_tPvRmT0_T1_jT2_SQ_T4_T3_P12ihipStream_tbEUlT_E_NS1_11comp_targetILNS1_3genE5ELNS1_11target_archE942ELNS1_3gpuE9ELNS1_3repE0EEENS1_30default_config_static_selectorELNS0_4arch9wavefront6targetE1EEEvSP_,"axG",@progbits,_ZN7rocprim17ROCPRIM_400000_NS6detail17trampoline_kernelINS0_14default_configENS1_32segmented_reduce_config_selectorIdEEZNS1_21segmented_reduce_implIS3_PKdPdPKidN6hipcub16HIPCUB_304000_NS6detail27convert_result_type_wrapperIS8_S9_N2at6native12_GLOBAL__N_110CustomProdEEEEE10hipError_tPvRmT0_T1_jT2_SQ_T4_T3_P12ihipStream_tbEUlT_E_NS1_11comp_targetILNS1_3genE5ELNS1_11target_archE942ELNS1_3gpuE9ELNS1_3repE0EEENS1_30default_config_static_selectorELNS0_4arch9wavefront6targetE1EEEvSP_,comdat
.Lfunc_end35:
	.size	_ZN7rocprim17ROCPRIM_400000_NS6detail17trampoline_kernelINS0_14default_configENS1_32segmented_reduce_config_selectorIdEEZNS1_21segmented_reduce_implIS3_PKdPdPKidN6hipcub16HIPCUB_304000_NS6detail27convert_result_type_wrapperIS8_S9_N2at6native12_GLOBAL__N_110CustomProdEEEEE10hipError_tPvRmT0_T1_jT2_SQ_T4_T3_P12ihipStream_tbEUlT_E_NS1_11comp_targetILNS1_3genE5ELNS1_11target_archE942ELNS1_3gpuE9ELNS1_3repE0EEENS1_30default_config_static_selectorELNS0_4arch9wavefront6targetE1EEEvSP_, .Lfunc_end35-_ZN7rocprim17ROCPRIM_400000_NS6detail17trampoline_kernelINS0_14default_configENS1_32segmented_reduce_config_selectorIdEEZNS1_21segmented_reduce_implIS3_PKdPdPKidN6hipcub16HIPCUB_304000_NS6detail27convert_result_type_wrapperIS8_S9_N2at6native12_GLOBAL__N_110CustomProdEEEEE10hipError_tPvRmT0_T1_jT2_SQ_T4_T3_P12ihipStream_tbEUlT_E_NS1_11comp_targetILNS1_3genE5ELNS1_11target_archE942ELNS1_3gpuE9ELNS1_3repE0EEENS1_30default_config_static_selectorELNS0_4arch9wavefront6targetE1EEEvSP_
                                        ; -- End function
	.set _ZN7rocprim17ROCPRIM_400000_NS6detail17trampoline_kernelINS0_14default_configENS1_32segmented_reduce_config_selectorIdEEZNS1_21segmented_reduce_implIS3_PKdPdPKidN6hipcub16HIPCUB_304000_NS6detail27convert_result_type_wrapperIS8_S9_N2at6native12_GLOBAL__N_110CustomProdEEEEE10hipError_tPvRmT0_T1_jT2_SQ_T4_T3_P12ihipStream_tbEUlT_E_NS1_11comp_targetILNS1_3genE5ELNS1_11target_archE942ELNS1_3gpuE9ELNS1_3repE0EEENS1_30default_config_static_selectorELNS0_4arch9wavefront6targetE1EEEvSP_.num_vgpr, 0
	.set _ZN7rocprim17ROCPRIM_400000_NS6detail17trampoline_kernelINS0_14default_configENS1_32segmented_reduce_config_selectorIdEEZNS1_21segmented_reduce_implIS3_PKdPdPKidN6hipcub16HIPCUB_304000_NS6detail27convert_result_type_wrapperIS8_S9_N2at6native12_GLOBAL__N_110CustomProdEEEEE10hipError_tPvRmT0_T1_jT2_SQ_T4_T3_P12ihipStream_tbEUlT_E_NS1_11comp_targetILNS1_3genE5ELNS1_11target_archE942ELNS1_3gpuE9ELNS1_3repE0EEENS1_30default_config_static_selectorELNS0_4arch9wavefront6targetE1EEEvSP_.num_agpr, 0
	.set _ZN7rocprim17ROCPRIM_400000_NS6detail17trampoline_kernelINS0_14default_configENS1_32segmented_reduce_config_selectorIdEEZNS1_21segmented_reduce_implIS3_PKdPdPKidN6hipcub16HIPCUB_304000_NS6detail27convert_result_type_wrapperIS8_S9_N2at6native12_GLOBAL__N_110CustomProdEEEEE10hipError_tPvRmT0_T1_jT2_SQ_T4_T3_P12ihipStream_tbEUlT_E_NS1_11comp_targetILNS1_3genE5ELNS1_11target_archE942ELNS1_3gpuE9ELNS1_3repE0EEENS1_30default_config_static_selectorELNS0_4arch9wavefront6targetE1EEEvSP_.numbered_sgpr, 0
	.set _ZN7rocprim17ROCPRIM_400000_NS6detail17trampoline_kernelINS0_14default_configENS1_32segmented_reduce_config_selectorIdEEZNS1_21segmented_reduce_implIS3_PKdPdPKidN6hipcub16HIPCUB_304000_NS6detail27convert_result_type_wrapperIS8_S9_N2at6native12_GLOBAL__N_110CustomProdEEEEE10hipError_tPvRmT0_T1_jT2_SQ_T4_T3_P12ihipStream_tbEUlT_E_NS1_11comp_targetILNS1_3genE5ELNS1_11target_archE942ELNS1_3gpuE9ELNS1_3repE0EEENS1_30default_config_static_selectorELNS0_4arch9wavefront6targetE1EEEvSP_.num_named_barrier, 0
	.set _ZN7rocprim17ROCPRIM_400000_NS6detail17trampoline_kernelINS0_14default_configENS1_32segmented_reduce_config_selectorIdEEZNS1_21segmented_reduce_implIS3_PKdPdPKidN6hipcub16HIPCUB_304000_NS6detail27convert_result_type_wrapperIS8_S9_N2at6native12_GLOBAL__N_110CustomProdEEEEE10hipError_tPvRmT0_T1_jT2_SQ_T4_T3_P12ihipStream_tbEUlT_E_NS1_11comp_targetILNS1_3genE5ELNS1_11target_archE942ELNS1_3gpuE9ELNS1_3repE0EEENS1_30default_config_static_selectorELNS0_4arch9wavefront6targetE1EEEvSP_.private_seg_size, 0
	.set _ZN7rocprim17ROCPRIM_400000_NS6detail17trampoline_kernelINS0_14default_configENS1_32segmented_reduce_config_selectorIdEEZNS1_21segmented_reduce_implIS3_PKdPdPKidN6hipcub16HIPCUB_304000_NS6detail27convert_result_type_wrapperIS8_S9_N2at6native12_GLOBAL__N_110CustomProdEEEEE10hipError_tPvRmT0_T1_jT2_SQ_T4_T3_P12ihipStream_tbEUlT_E_NS1_11comp_targetILNS1_3genE5ELNS1_11target_archE942ELNS1_3gpuE9ELNS1_3repE0EEENS1_30default_config_static_selectorELNS0_4arch9wavefront6targetE1EEEvSP_.uses_vcc, 0
	.set _ZN7rocprim17ROCPRIM_400000_NS6detail17trampoline_kernelINS0_14default_configENS1_32segmented_reduce_config_selectorIdEEZNS1_21segmented_reduce_implIS3_PKdPdPKidN6hipcub16HIPCUB_304000_NS6detail27convert_result_type_wrapperIS8_S9_N2at6native12_GLOBAL__N_110CustomProdEEEEE10hipError_tPvRmT0_T1_jT2_SQ_T4_T3_P12ihipStream_tbEUlT_E_NS1_11comp_targetILNS1_3genE5ELNS1_11target_archE942ELNS1_3gpuE9ELNS1_3repE0EEENS1_30default_config_static_selectorELNS0_4arch9wavefront6targetE1EEEvSP_.uses_flat_scratch, 0
	.set _ZN7rocprim17ROCPRIM_400000_NS6detail17trampoline_kernelINS0_14default_configENS1_32segmented_reduce_config_selectorIdEEZNS1_21segmented_reduce_implIS3_PKdPdPKidN6hipcub16HIPCUB_304000_NS6detail27convert_result_type_wrapperIS8_S9_N2at6native12_GLOBAL__N_110CustomProdEEEEE10hipError_tPvRmT0_T1_jT2_SQ_T4_T3_P12ihipStream_tbEUlT_E_NS1_11comp_targetILNS1_3genE5ELNS1_11target_archE942ELNS1_3gpuE9ELNS1_3repE0EEENS1_30default_config_static_selectorELNS0_4arch9wavefront6targetE1EEEvSP_.has_dyn_sized_stack, 0
	.set _ZN7rocprim17ROCPRIM_400000_NS6detail17trampoline_kernelINS0_14default_configENS1_32segmented_reduce_config_selectorIdEEZNS1_21segmented_reduce_implIS3_PKdPdPKidN6hipcub16HIPCUB_304000_NS6detail27convert_result_type_wrapperIS8_S9_N2at6native12_GLOBAL__N_110CustomProdEEEEE10hipError_tPvRmT0_T1_jT2_SQ_T4_T3_P12ihipStream_tbEUlT_E_NS1_11comp_targetILNS1_3genE5ELNS1_11target_archE942ELNS1_3gpuE9ELNS1_3repE0EEENS1_30default_config_static_selectorELNS0_4arch9wavefront6targetE1EEEvSP_.has_recursion, 0
	.set _ZN7rocprim17ROCPRIM_400000_NS6detail17trampoline_kernelINS0_14default_configENS1_32segmented_reduce_config_selectorIdEEZNS1_21segmented_reduce_implIS3_PKdPdPKidN6hipcub16HIPCUB_304000_NS6detail27convert_result_type_wrapperIS8_S9_N2at6native12_GLOBAL__N_110CustomProdEEEEE10hipError_tPvRmT0_T1_jT2_SQ_T4_T3_P12ihipStream_tbEUlT_E_NS1_11comp_targetILNS1_3genE5ELNS1_11target_archE942ELNS1_3gpuE9ELNS1_3repE0EEENS1_30default_config_static_selectorELNS0_4arch9wavefront6targetE1EEEvSP_.has_indirect_call, 0
	.section	.AMDGPU.csdata,"",@progbits
; Kernel info:
; codeLenInByte = 0
; TotalNumSgprs: 4
; NumVgprs: 0
; ScratchSize: 0
; MemoryBound: 0
; FloatMode: 240
; IeeeMode: 1
; LDSByteSize: 0 bytes/workgroup (compile time only)
; SGPRBlocks: 0
; VGPRBlocks: 0
; NumSGPRsForWavesPerEU: 4
; NumVGPRsForWavesPerEU: 1
; Occupancy: 10
; WaveLimiterHint : 0
; COMPUTE_PGM_RSRC2:SCRATCH_EN: 0
; COMPUTE_PGM_RSRC2:USER_SGPR: 6
; COMPUTE_PGM_RSRC2:TRAP_HANDLER: 0
; COMPUTE_PGM_RSRC2:TGID_X_EN: 1
; COMPUTE_PGM_RSRC2:TGID_Y_EN: 0
; COMPUTE_PGM_RSRC2:TGID_Z_EN: 0
; COMPUTE_PGM_RSRC2:TIDIG_COMP_CNT: 0
	.section	.text._ZN7rocprim17ROCPRIM_400000_NS6detail17trampoline_kernelINS0_14default_configENS1_32segmented_reduce_config_selectorIdEEZNS1_21segmented_reduce_implIS3_PKdPdPKidN6hipcub16HIPCUB_304000_NS6detail27convert_result_type_wrapperIS8_S9_N2at6native12_GLOBAL__N_110CustomProdEEEEE10hipError_tPvRmT0_T1_jT2_SQ_T4_T3_P12ihipStream_tbEUlT_E_NS1_11comp_targetILNS1_3genE10ELNS1_11target_archE1201ELNS1_3gpuE5ELNS1_3repE0EEENS1_30default_config_static_selectorELNS0_4arch9wavefront6targetE1EEEvSP_,"axG",@progbits,_ZN7rocprim17ROCPRIM_400000_NS6detail17trampoline_kernelINS0_14default_configENS1_32segmented_reduce_config_selectorIdEEZNS1_21segmented_reduce_implIS3_PKdPdPKidN6hipcub16HIPCUB_304000_NS6detail27convert_result_type_wrapperIS8_S9_N2at6native12_GLOBAL__N_110CustomProdEEEEE10hipError_tPvRmT0_T1_jT2_SQ_T4_T3_P12ihipStream_tbEUlT_E_NS1_11comp_targetILNS1_3genE10ELNS1_11target_archE1201ELNS1_3gpuE5ELNS1_3repE0EEENS1_30default_config_static_selectorELNS0_4arch9wavefront6targetE1EEEvSP_,comdat
	.globl	_ZN7rocprim17ROCPRIM_400000_NS6detail17trampoline_kernelINS0_14default_configENS1_32segmented_reduce_config_selectorIdEEZNS1_21segmented_reduce_implIS3_PKdPdPKidN6hipcub16HIPCUB_304000_NS6detail27convert_result_type_wrapperIS8_S9_N2at6native12_GLOBAL__N_110CustomProdEEEEE10hipError_tPvRmT0_T1_jT2_SQ_T4_T3_P12ihipStream_tbEUlT_E_NS1_11comp_targetILNS1_3genE10ELNS1_11target_archE1201ELNS1_3gpuE5ELNS1_3repE0EEENS1_30default_config_static_selectorELNS0_4arch9wavefront6targetE1EEEvSP_ ; -- Begin function _ZN7rocprim17ROCPRIM_400000_NS6detail17trampoline_kernelINS0_14default_configENS1_32segmented_reduce_config_selectorIdEEZNS1_21segmented_reduce_implIS3_PKdPdPKidN6hipcub16HIPCUB_304000_NS6detail27convert_result_type_wrapperIS8_S9_N2at6native12_GLOBAL__N_110CustomProdEEEEE10hipError_tPvRmT0_T1_jT2_SQ_T4_T3_P12ihipStream_tbEUlT_E_NS1_11comp_targetILNS1_3genE10ELNS1_11target_archE1201ELNS1_3gpuE5ELNS1_3repE0EEENS1_30default_config_static_selectorELNS0_4arch9wavefront6targetE1EEEvSP_
	.p2align	8
	.type	_ZN7rocprim17ROCPRIM_400000_NS6detail17trampoline_kernelINS0_14default_configENS1_32segmented_reduce_config_selectorIdEEZNS1_21segmented_reduce_implIS3_PKdPdPKidN6hipcub16HIPCUB_304000_NS6detail27convert_result_type_wrapperIS8_S9_N2at6native12_GLOBAL__N_110CustomProdEEEEE10hipError_tPvRmT0_T1_jT2_SQ_T4_T3_P12ihipStream_tbEUlT_E_NS1_11comp_targetILNS1_3genE10ELNS1_11target_archE1201ELNS1_3gpuE5ELNS1_3repE0EEENS1_30default_config_static_selectorELNS0_4arch9wavefront6targetE1EEEvSP_,@function
_ZN7rocprim17ROCPRIM_400000_NS6detail17trampoline_kernelINS0_14default_configENS1_32segmented_reduce_config_selectorIdEEZNS1_21segmented_reduce_implIS3_PKdPdPKidN6hipcub16HIPCUB_304000_NS6detail27convert_result_type_wrapperIS8_S9_N2at6native12_GLOBAL__N_110CustomProdEEEEE10hipError_tPvRmT0_T1_jT2_SQ_T4_T3_P12ihipStream_tbEUlT_E_NS1_11comp_targetILNS1_3genE10ELNS1_11target_archE1201ELNS1_3gpuE5ELNS1_3repE0EEENS1_30default_config_static_selectorELNS0_4arch9wavefront6targetE1EEEvSP_: ; @_ZN7rocprim17ROCPRIM_400000_NS6detail17trampoline_kernelINS0_14default_configENS1_32segmented_reduce_config_selectorIdEEZNS1_21segmented_reduce_implIS3_PKdPdPKidN6hipcub16HIPCUB_304000_NS6detail27convert_result_type_wrapperIS8_S9_N2at6native12_GLOBAL__N_110CustomProdEEEEE10hipError_tPvRmT0_T1_jT2_SQ_T4_T3_P12ihipStream_tbEUlT_E_NS1_11comp_targetILNS1_3genE10ELNS1_11target_archE1201ELNS1_3gpuE5ELNS1_3repE0EEENS1_30default_config_static_selectorELNS0_4arch9wavefront6targetE1EEEvSP_
; %bb.0:
	.section	.rodata,"a",@progbits
	.p2align	6, 0x0
	.amdhsa_kernel _ZN7rocprim17ROCPRIM_400000_NS6detail17trampoline_kernelINS0_14default_configENS1_32segmented_reduce_config_selectorIdEEZNS1_21segmented_reduce_implIS3_PKdPdPKidN6hipcub16HIPCUB_304000_NS6detail27convert_result_type_wrapperIS8_S9_N2at6native12_GLOBAL__N_110CustomProdEEEEE10hipError_tPvRmT0_T1_jT2_SQ_T4_T3_P12ihipStream_tbEUlT_E_NS1_11comp_targetILNS1_3genE10ELNS1_11target_archE1201ELNS1_3gpuE5ELNS1_3repE0EEENS1_30default_config_static_selectorELNS0_4arch9wavefront6targetE1EEEvSP_
		.amdhsa_group_segment_fixed_size 0
		.amdhsa_private_segment_fixed_size 0
		.amdhsa_kernarg_size 56
		.amdhsa_user_sgpr_count 6
		.amdhsa_user_sgpr_private_segment_buffer 1
		.amdhsa_user_sgpr_dispatch_ptr 0
		.amdhsa_user_sgpr_queue_ptr 0
		.amdhsa_user_sgpr_kernarg_segment_ptr 1
		.amdhsa_user_sgpr_dispatch_id 0
		.amdhsa_user_sgpr_flat_scratch_init 0
		.amdhsa_user_sgpr_private_segment_size 0
		.amdhsa_uses_dynamic_stack 0
		.amdhsa_system_sgpr_private_segment_wavefront_offset 0
		.amdhsa_system_sgpr_workgroup_id_x 1
		.amdhsa_system_sgpr_workgroup_id_y 0
		.amdhsa_system_sgpr_workgroup_id_z 0
		.amdhsa_system_sgpr_workgroup_info 0
		.amdhsa_system_vgpr_workitem_id 0
		.amdhsa_next_free_vgpr 1
		.amdhsa_next_free_sgpr 0
		.amdhsa_reserve_vcc 0
		.amdhsa_reserve_flat_scratch 0
		.amdhsa_float_round_mode_32 0
		.amdhsa_float_round_mode_16_64 0
		.amdhsa_float_denorm_mode_32 3
		.amdhsa_float_denorm_mode_16_64 3
		.amdhsa_dx10_clamp 1
		.amdhsa_ieee_mode 1
		.amdhsa_fp16_overflow 0
		.amdhsa_exception_fp_ieee_invalid_op 0
		.amdhsa_exception_fp_denorm_src 0
		.amdhsa_exception_fp_ieee_div_zero 0
		.amdhsa_exception_fp_ieee_overflow 0
		.amdhsa_exception_fp_ieee_underflow 0
		.amdhsa_exception_fp_ieee_inexact 0
		.amdhsa_exception_int_div_zero 0
	.end_amdhsa_kernel
	.section	.text._ZN7rocprim17ROCPRIM_400000_NS6detail17trampoline_kernelINS0_14default_configENS1_32segmented_reduce_config_selectorIdEEZNS1_21segmented_reduce_implIS3_PKdPdPKidN6hipcub16HIPCUB_304000_NS6detail27convert_result_type_wrapperIS8_S9_N2at6native12_GLOBAL__N_110CustomProdEEEEE10hipError_tPvRmT0_T1_jT2_SQ_T4_T3_P12ihipStream_tbEUlT_E_NS1_11comp_targetILNS1_3genE10ELNS1_11target_archE1201ELNS1_3gpuE5ELNS1_3repE0EEENS1_30default_config_static_selectorELNS0_4arch9wavefront6targetE1EEEvSP_,"axG",@progbits,_ZN7rocprim17ROCPRIM_400000_NS6detail17trampoline_kernelINS0_14default_configENS1_32segmented_reduce_config_selectorIdEEZNS1_21segmented_reduce_implIS3_PKdPdPKidN6hipcub16HIPCUB_304000_NS6detail27convert_result_type_wrapperIS8_S9_N2at6native12_GLOBAL__N_110CustomProdEEEEE10hipError_tPvRmT0_T1_jT2_SQ_T4_T3_P12ihipStream_tbEUlT_E_NS1_11comp_targetILNS1_3genE10ELNS1_11target_archE1201ELNS1_3gpuE5ELNS1_3repE0EEENS1_30default_config_static_selectorELNS0_4arch9wavefront6targetE1EEEvSP_,comdat
.Lfunc_end36:
	.size	_ZN7rocprim17ROCPRIM_400000_NS6detail17trampoline_kernelINS0_14default_configENS1_32segmented_reduce_config_selectorIdEEZNS1_21segmented_reduce_implIS3_PKdPdPKidN6hipcub16HIPCUB_304000_NS6detail27convert_result_type_wrapperIS8_S9_N2at6native12_GLOBAL__N_110CustomProdEEEEE10hipError_tPvRmT0_T1_jT2_SQ_T4_T3_P12ihipStream_tbEUlT_E_NS1_11comp_targetILNS1_3genE10ELNS1_11target_archE1201ELNS1_3gpuE5ELNS1_3repE0EEENS1_30default_config_static_selectorELNS0_4arch9wavefront6targetE1EEEvSP_, .Lfunc_end36-_ZN7rocprim17ROCPRIM_400000_NS6detail17trampoline_kernelINS0_14default_configENS1_32segmented_reduce_config_selectorIdEEZNS1_21segmented_reduce_implIS3_PKdPdPKidN6hipcub16HIPCUB_304000_NS6detail27convert_result_type_wrapperIS8_S9_N2at6native12_GLOBAL__N_110CustomProdEEEEE10hipError_tPvRmT0_T1_jT2_SQ_T4_T3_P12ihipStream_tbEUlT_E_NS1_11comp_targetILNS1_3genE10ELNS1_11target_archE1201ELNS1_3gpuE5ELNS1_3repE0EEENS1_30default_config_static_selectorELNS0_4arch9wavefront6targetE1EEEvSP_
                                        ; -- End function
	.set _ZN7rocprim17ROCPRIM_400000_NS6detail17trampoline_kernelINS0_14default_configENS1_32segmented_reduce_config_selectorIdEEZNS1_21segmented_reduce_implIS3_PKdPdPKidN6hipcub16HIPCUB_304000_NS6detail27convert_result_type_wrapperIS8_S9_N2at6native12_GLOBAL__N_110CustomProdEEEEE10hipError_tPvRmT0_T1_jT2_SQ_T4_T3_P12ihipStream_tbEUlT_E_NS1_11comp_targetILNS1_3genE10ELNS1_11target_archE1201ELNS1_3gpuE5ELNS1_3repE0EEENS1_30default_config_static_selectorELNS0_4arch9wavefront6targetE1EEEvSP_.num_vgpr, 0
	.set _ZN7rocprim17ROCPRIM_400000_NS6detail17trampoline_kernelINS0_14default_configENS1_32segmented_reduce_config_selectorIdEEZNS1_21segmented_reduce_implIS3_PKdPdPKidN6hipcub16HIPCUB_304000_NS6detail27convert_result_type_wrapperIS8_S9_N2at6native12_GLOBAL__N_110CustomProdEEEEE10hipError_tPvRmT0_T1_jT2_SQ_T4_T3_P12ihipStream_tbEUlT_E_NS1_11comp_targetILNS1_3genE10ELNS1_11target_archE1201ELNS1_3gpuE5ELNS1_3repE0EEENS1_30default_config_static_selectorELNS0_4arch9wavefront6targetE1EEEvSP_.num_agpr, 0
	.set _ZN7rocprim17ROCPRIM_400000_NS6detail17trampoline_kernelINS0_14default_configENS1_32segmented_reduce_config_selectorIdEEZNS1_21segmented_reduce_implIS3_PKdPdPKidN6hipcub16HIPCUB_304000_NS6detail27convert_result_type_wrapperIS8_S9_N2at6native12_GLOBAL__N_110CustomProdEEEEE10hipError_tPvRmT0_T1_jT2_SQ_T4_T3_P12ihipStream_tbEUlT_E_NS1_11comp_targetILNS1_3genE10ELNS1_11target_archE1201ELNS1_3gpuE5ELNS1_3repE0EEENS1_30default_config_static_selectorELNS0_4arch9wavefront6targetE1EEEvSP_.numbered_sgpr, 0
	.set _ZN7rocprim17ROCPRIM_400000_NS6detail17trampoline_kernelINS0_14default_configENS1_32segmented_reduce_config_selectorIdEEZNS1_21segmented_reduce_implIS3_PKdPdPKidN6hipcub16HIPCUB_304000_NS6detail27convert_result_type_wrapperIS8_S9_N2at6native12_GLOBAL__N_110CustomProdEEEEE10hipError_tPvRmT0_T1_jT2_SQ_T4_T3_P12ihipStream_tbEUlT_E_NS1_11comp_targetILNS1_3genE10ELNS1_11target_archE1201ELNS1_3gpuE5ELNS1_3repE0EEENS1_30default_config_static_selectorELNS0_4arch9wavefront6targetE1EEEvSP_.num_named_barrier, 0
	.set _ZN7rocprim17ROCPRIM_400000_NS6detail17trampoline_kernelINS0_14default_configENS1_32segmented_reduce_config_selectorIdEEZNS1_21segmented_reduce_implIS3_PKdPdPKidN6hipcub16HIPCUB_304000_NS6detail27convert_result_type_wrapperIS8_S9_N2at6native12_GLOBAL__N_110CustomProdEEEEE10hipError_tPvRmT0_T1_jT2_SQ_T4_T3_P12ihipStream_tbEUlT_E_NS1_11comp_targetILNS1_3genE10ELNS1_11target_archE1201ELNS1_3gpuE5ELNS1_3repE0EEENS1_30default_config_static_selectorELNS0_4arch9wavefront6targetE1EEEvSP_.private_seg_size, 0
	.set _ZN7rocprim17ROCPRIM_400000_NS6detail17trampoline_kernelINS0_14default_configENS1_32segmented_reduce_config_selectorIdEEZNS1_21segmented_reduce_implIS3_PKdPdPKidN6hipcub16HIPCUB_304000_NS6detail27convert_result_type_wrapperIS8_S9_N2at6native12_GLOBAL__N_110CustomProdEEEEE10hipError_tPvRmT0_T1_jT2_SQ_T4_T3_P12ihipStream_tbEUlT_E_NS1_11comp_targetILNS1_3genE10ELNS1_11target_archE1201ELNS1_3gpuE5ELNS1_3repE0EEENS1_30default_config_static_selectorELNS0_4arch9wavefront6targetE1EEEvSP_.uses_vcc, 0
	.set _ZN7rocprim17ROCPRIM_400000_NS6detail17trampoline_kernelINS0_14default_configENS1_32segmented_reduce_config_selectorIdEEZNS1_21segmented_reduce_implIS3_PKdPdPKidN6hipcub16HIPCUB_304000_NS6detail27convert_result_type_wrapperIS8_S9_N2at6native12_GLOBAL__N_110CustomProdEEEEE10hipError_tPvRmT0_T1_jT2_SQ_T4_T3_P12ihipStream_tbEUlT_E_NS1_11comp_targetILNS1_3genE10ELNS1_11target_archE1201ELNS1_3gpuE5ELNS1_3repE0EEENS1_30default_config_static_selectorELNS0_4arch9wavefront6targetE1EEEvSP_.uses_flat_scratch, 0
	.set _ZN7rocprim17ROCPRIM_400000_NS6detail17trampoline_kernelINS0_14default_configENS1_32segmented_reduce_config_selectorIdEEZNS1_21segmented_reduce_implIS3_PKdPdPKidN6hipcub16HIPCUB_304000_NS6detail27convert_result_type_wrapperIS8_S9_N2at6native12_GLOBAL__N_110CustomProdEEEEE10hipError_tPvRmT0_T1_jT2_SQ_T4_T3_P12ihipStream_tbEUlT_E_NS1_11comp_targetILNS1_3genE10ELNS1_11target_archE1201ELNS1_3gpuE5ELNS1_3repE0EEENS1_30default_config_static_selectorELNS0_4arch9wavefront6targetE1EEEvSP_.has_dyn_sized_stack, 0
	.set _ZN7rocprim17ROCPRIM_400000_NS6detail17trampoline_kernelINS0_14default_configENS1_32segmented_reduce_config_selectorIdEEZNS1_21segmented_reduce_implIS3_PKdPdPKidN6hipcub16HIPCUB_304000_NS6detail27convert_result_type_wrapperIS8_S9_N2at6native12_GLOBAL__N_110CustomProdEEEEE10hipError_tPvRmT0_T1_jT2_SQ_T4_T3_P12ihipStream_tbEUlT_E_NS1_11comp_targetILNS1_3genE10ELNS1_11target_archE1201ELNS1_3gpuE5ELNS1_3repE0EEENS1_30default_config_static_selectorELNS0_4arch9wavefront6targetE1EEEvSP_.has_recursion, 0
	.set _ZN7rocprim17ROCPRIM_400000_NS6detail17trampoline_kernelINS0_14default_configENS1_32segmented_reduce_config_selectorIdEEZNS1_21segmented_reduce_implIS3_PKdPdPKidN6hipcub16HIPCUB_304000_NS6detail27convert_result_type_wrapperIS8_S9_N2at6native12_GLOBAL__N_110CustomProdEEEEE10hipError_tPvRmT0_T1_jT2_SQ_T4_T3_P12ihipStream_tbEUlT_E_NS1_11comp_targetILNS1_3genE10ELNS1_11target_archE1201ELNS1_3gpuE5ELNS1_3repE0EEENS1_30default_config_static_selectorELNS0_4arch9wavefront6targetE1EEEvSP_.has_indirect_call, 0
	.section	.AMDGPU.csdata,"",@progbits
; Kernel info:
; codeLenInByte = 0
; TotalNumSgprs: 4
; NumVgprs: 0
; ScratchSize: 0
; MemoryBound: 0
; FloatMode: 240
; IeeeMode: 1
; LDSByteSize: 0 bytes/workgroup (compile time only)
; SGPRBlocks: 0
; VGPRBlocks: 0
; NumSGPRsForWavesPerEU: 4
; NumVGPRsForWavesPerEU: 1
; Occupancy: 10
; WaveLimiterHint : 0
; COMPUTE_PGM_RSRC2:SCRATCH_EN: 0
; COMPUTE_PGM_RSRC2:USER_SGPR: 6
; COMPUTE_PGM_RSRC2:TRAP_HANDLER: 0
; COMPUTE_PGM_RSRC2:TGID_X_EN: 1
; COMPUTE_PGM_RSRC2:TGID_Y_EN: 0
; COMPUTE_PGM_RSRC2:TGID_Z_EN: 0
; COMPUTE_PGM_RSRC2:TIDIG_COMP_CNT: 0
	.section	.text._ZN7rocprim17ROCPRIM_400000_NS6detail17trampoline_kernelINS0_14default_configENS1_32segmented_reduce_config_selectorIdEEZNS1_21segmented_reduce_implIS3_PKdPdPKidN6hipcub16HIPCUB_304000_NS6detail27convert_result_type_wrapperIS8_S9_N2at6native12_GLOBAL__N_110CustomProdEEEEE10hipError_tPvRmT0_T1_jT2_SQ_T4_T3_P12ihipStream_tbEUlT_E_NS1_11comp_targetILNS1_3genE4ELNS1_11target_archE910ELNS1_3gpuE8ELNS1_3repE0EEENS1_30default_config_static_selectorELNS0_4arch9wavefront6targetE1EEEvSP_,"axG",@progbits,_ZN7rocprim17ROCPRIM_400000_NS6detail17trampoline_kernelINS0_14default_configENS1_32segmented_reduce_config_selectorIdEEZNS1_21segmented_reduce_implIS3_PKdPdPKidN6hipcub16HIPCUB_304000_NS6detail27convert_result_type_wrapperIS8_S9_N2at6native12_GLOBAL__N_110CustomProdEEEEE10hipError_tPvRmT0_T1_jT2_SQ_T4_T3_P12ihipStream_tbEUlT_E_NS1_11comp_targetILNS1_3genE4ELNS1_11target_archE910ELNS1_3gpuE8ELNS1_3repE0EEENS1_30default_config_static_selectorELNS0_4arch9wavefront6targetE1EEEvSP_,comdat
	.globl	_ZN7rocprim17ROCPRIM_400000_NS6detail17trampoline_kernelINS0_14default_configENS1_32segmented_reduce_config_selectorIdEEZNS1_21segmented_reduce_implIS3_PKdPdPKidN6hipcub16HIPCUB_304000_NS6detail27convert_result_type_wrapperIS8_S9_N2at6native12_GLOBAL__N_110CustomProdEEEEE10hipError_tPvRmT0_T1_jT2_SQ_T4_T3_P12ihipStream_tbEUlT_E_NS1_11comp_targetILNS1_3genE4ELNS1_11target_archE910ELNS1_3gpuE8ELNS1_3repE0EEENS1_30default_config_static_selectorELNS0_4arch9wavefront6targetE1EEEvSP_ ; -- Begin function _ZN7rocprim17ROCPRIM_400000_NS6detail17trampoline_kernelINS0_14default_configENS1_32segmented_reduce_config_selectorIdEEZNS1_21segmented_reduce_implIS3_PKdPdPKidN6hipcub16HIPCUB_304000_NS6detail27convert_result_type_wrapperIS8_S9_N2at6native12_GLOBAL__N_110CustomProdEEEEE10hipError_tPvRmT0_T1_jT2_SQ_T4_T3_P12ihipStream_tbEUlT_E_NS1_11comp_targetILNS1_3genE4ELNS1_11target_archE910ELNS1_3gpuE8ELNS1_3repE0EEENS1_30default_config_static_selectorELNS0_4arch9wavefront6targetE1EEEvSP_
	.p2align	8
	.type	_ZN7rocprim17ROCPRIM_400000_NS6detail17trampoline_kernelINS0_14default_configENS1_32segmented_reduce_config_selectorIdEEZNS1_21segmented_reduce_implIS3_PKdPdPKidN6hipcub16HIPCUB_304000_NS6detail27convert_result_type_wrapperIS8_S9_N2at6native12_GLOBAL__N_110CustomProdEEEEE10hipError_tPvRmT0_T1_jT2_SQ_T4_T3_P12ihipStream_tbEUlT_E_NS1_11comp_targetILNS1_3genE4ELNS1_11target_archE910ELNS1_3gpuE8ELNS1_3repE0EEENS1_30default_config_static_selectorELNS0_4arch9wavefront6targetE1EEEvSP_,@function
_ZN7rocprim17ROCPRIM_400000_NS6detail17trampoline_kernelINS0_14default_configENS1_32segmented_reduce_config_selectorIdEEZNS1_21segmented_reduce_implIS3_PKdPdPKidN6hipcub16HIPCUB_304000_NS6detail27convert_result_type_wrapperIS8_S9_N2at6native12_GLOBAL__N_110CustomProdEEEEE10hipError_tPvRmT0_T1_jT2_SQ_T4_T3_P12ihipStream_tbEUlT_E_NS1_11comp_targetILNS1_3genE4ELNS1_11target_archE910ELNS1_3gpuE8ELNS1_3repE0EEENS1_30default_config_static_selectorELNS0_4arch9wavefront6targetE1EEEvSP_: ; @_ZN7rocprim17ROCPRIM_400000_NS6detail17trampoline_kernelINS0_14default_configENS1_32segmented_reduce_config_selectorIdEEZNS1_21segmented_reduce_implIS3_PKdPdPKidN6hipcub16HIPCUB_304000_NS6detail27convert_result_type_wrapperIS8_S9_N2at6native12_GLOBAL__N_110CustomProdEEEEE10hipError_tPvRmT0_T1_jT2_SQ_T4_T3_P12ihipStream_tbEUlT_E_NS1_11comp_targetILNS1_3genE4ELNS1_11target_archE910ELNS1_3gpuE8ELNS1_3repE0EEENS1_30default_config_static_selectorELNS0_4arch9wavefront6targetE1EEEvSP_
; %bb.0:
	.section	.rodata,"a",@progbits
	.p2align	6, 0x0
	.amdhsa_kernel _ZN7rocprim17ROCPRIM_400000_NS6detail17trampoline_kernelINS0_14default_configENS1_32segmented_reduce_config_selectorIdEEZNS1_21segmented_reduce_implIS3_PKdPdPKidN6hipcub16HIPCUB_304000_NS6detail27convert_result_type_wrapperIS8_S9_N2at6native12_GLOBAL__N_110CustomProdEEEEE10hipError_tPvRmT0_T1_jT2_SQ_T4_T3_P12ihipStream_tbEUlT_E_NS1_11comp_targetILNS1_3genE4ELNS1_11target_archE910ELNS1_3gpuE8ELNS1_3repE0EEENS1_30default_config_static_selectorELNS0_4arch9wavefront6targetE1EEEvSP_
		.amdhsa_group_segment_fixed_size 0
		.amdhsa_private_segment_fixed_size 0
		.amdhsa_kernarg_size 56
		.amdhsa_user_sgpr_count 6
		.amdhsa_user_sgpr_private_segment_buffer 1
		.amdhsa_user_sgpr_dispatch_ptr 0
		.amdhsa_user_sgpr_queue_ptr 0
		.amdhsa_user_sgpr_kernarg_segment_ptr 1
		.amdhsa_user_sgpr_dispatch_id 0
		.amdhsa_user_sgpr_flat_scratch_init 0
		.amdhsa_user_sgpr_private_segment_size 0
		.amdhsa_uses_dynamic_stack 0
		.amdhsa_system_sgpr_private_segment_wavefront_offset 0
		.amdhsa_system_sgpr_workgroup_id_x 1
		.amdhsa_system_sgpr_workgroup_id_y 0
		.amdhsa_system_sgpr_workgroup_id_z 0
		.amdhsa_system_sgpr_workgroup_info 0
		.amdhsa_system_vgpr_workitem_id 0
		.amdhsa_next_free_vgpr 1
		.amdhsa_next_free_sgpr 0
		.amdhsa_reserve_vcc 0
		.amdhsa_reserve_flat_scratch 0
		.amdhsa_float_round_mode_32 0
		.amdhsa_float_round_mode_16_64 0
		.amdhsa_float_denorm_mode_32 3
		.amdhsa_float_denorm_mode_16_64 3
		.amdhsa_dx10_clamp 1
		.amdhsa_ieee_mode 1
		.amdhsa_fp16_overflow 0
		.amdhsa_exception_fp_ieee_invalid_op 0
		.amdhsa_exception_fp_denorm_src 0
		.amdhsa_exception_fp_ieee_div_zero 0
		.amdhsa_exception_fp_ieee_overflow 0
		.amdhsa_exception_fp_ieee_underflow 0
		.amdhsa_exception_fp_ieee_inexact 0
		.amdhsa_exception_int_div_zero 0
	.end_amdhsa_kernel
	.section	.text._ZN7rocprim17ROCPRIM_400000_NS6detail17trampoline_kernelINS0_14default_configENS1_32segmented_reduce_config_selectorIdEEZNS1_21segmented_reduce_implIS3_PKdPdPKidN6hipcub16HIPCUB_304000_NS6detail27convert_result_type_wrapperIS8_S9_N2at6native12_GLOBAL__N_110CustomProdEEEEE10hipError_tPvRmT0_T1_jT2_SQ_T4_T3_P12ihipStream_tbEUlT_E_NS1_11comp_targetILNS1_3genE4ELNS1_11target_archE910ELNS1_3gpuE8ELNS1_3repE0EEENS1_30default_config_static_selectorELNS0_4arch9wavefront6targetE1EEEvSP_,"axG",@progbits,_ZN7rocprim17ROCPRIM_400000_NS6detail17trampoline_kernelINS0_14default_configENS1_32segmented_reduce_config_selectorIdEEZNS1_21segmented_reduce_implIS3_PKdPdPKidN6hipcub16HIPCUB_304000_NS6detail27convert_result_type_wrapperIS8_S9_N2at6native12_GLOBAL__N_110CustomProdEEEEE10hipError_tPvRmT0_T1_jT2_SQ_T4_T3_P12ihipStream_tbEUlT_E_NS1_11comp_targetILNS1_3genE4ELNS1_11target_archE910ELNS1_3gpuE8ELNS1_3repE0EEENS1_30default_config_static_selectorELNS0_4arch9wavefront6targetE1EEEvSP_,comdat
.Lfunc_end37:
	.size	_ZN7rocprim17ROCPRIM_400000_NS6detail17trampoline_kernelINS0_14default_configENS1_32segmented_reduce_config_selectorIdEEZNS1_21segmented_reduce_implIS3_PKdPdPKidN6hipcub16HIPCUB_304000_NS6detail27convert_result_type_wrapperIS8_S9_N2at6native12_GLOBAL__N_110CustomProdEEEEE10hipError_tPvRmT0_T1_jT2_SQ_T4_T3_P12ihipStream_tbEUlT_E_NS1_11comp_targetILNS1_3genE4ELNS1_11target_archE910ELNS1_3gpuE8ELNS1_3repE0EEENS1_30default_config_static_selectorELNS0_4arch9wavefront6targetE1EEEvSP_, .Lfunc_end37-_ZN7rocprim17ROCPRIM_400000_NS6detail17trampoline_kernelINS0_14default_configENS1_32segmented_reduce_config_selectorIdEEZNS1_21segmented_reduce_implIS3_PKdPdPKidN6hipcub16HIPCUB_304000_NS6detail27convert_result_type_wrapperIS8_S9_N2at6native12_GLOBAL__N_110CustomProdEEEEE10hipError_tPvRmT0_T1_jT2_SQ_T4_T3_P12ihipStream_tbEUlT_E_NS1_11comp_targetILNS1_3genE4ELNS1_11target_archE910ELNS1_3gpuE8ELNS1_3repE0EEENS1_30default_config_static_selectorELNS0_4arch9wavefront6targetE1EEEvSP_
                                        ; -- End function
	.set _ZN7rocprim17ROCPRIM_400000_NS6detail17trampoline_kernelINS0_14default_configENS1_32segmented_reduce_config_selectorIdEEZNS1_21segmented_reduce_implIS3_PKdPdPKidN6hipcub16HIPCUB_304000_NS6detail27convert_result_type_wrapperIS8_S9_N2at6native12_GLOBAL__N_110CustomProdEEEEE10hipError_tPvRmT0_T1_jT2_SQ_T4_T3_P12ihipStream_tbEUlT_E_NS1_11comp_targetILNS1_3genE4ELNS1_11target_archE910ELNS1_3gpuE8ELNS1_3repE0EEENS1_30default_config_static_selectorELNS0_4arch9wavefront6targetE1EEEvSP_.num_vgpr, 0
	.set _ZN7rocprim17ROCPRIM_400000_NS6detail17trampoline_kernelINS0_14default_configENS1_32segmented_reduce_config_selectorIdEEZNS1_21segmented_reduce_implIS3_PKdPdPKidN6hipcub16HIPCUB_304000_NS6detail27convert_result_type_wrapperIS8_S9_N2at6native12_GLOBAL__N_110CustomProdEEEEE10hipError_tPvRmT0_T1_jT2_SQ_T4_T3_P12ihipStream_tbEUlT_E_NS1_11comp_targetILNS1_3genE4ELNS1_11target_archE910ELNS1_3gpuE8ELNS1_3repE0EEENS1_30default_config_static_selectorELNS0_4arch9wavefront6targetE1EEEvSP_.num_agpr, 0
	.set _ZN7rocprim17ROCPRIM_400000_NS6detail17trampoline_kernelINS0_14default_configENS1_32segmented_reduce_config_selectorIdEEZNS1_21segmented_reduce_implIS3_PKdPdPKidN6hipcub16HIPCUB_304000_NS6detail27convert_result_type_wrapperIS8_S9_N2at6native12_GLOBAL__N_110CustomProdEEEEE10hipError_tPvRmT0_T1_jT2_SQ_T4_T3_P12ihipStream_tbEUlT_E_NS1_11comp_targetILNS1_3genE4ELNS1_11target_archE910ELNS1_3gpuE8ELNS1_3repE0EEENS1_30default_config_static_selectorELNS0_4arch9wavefront6targetE1EEEvSP_.numbered_sgpr, 0
	.set _ZN7rocprim17ROCPRIM_400000_NS6detail17trampoline_kernelINS0_14default_configENS1_32segmented_reduce_config_selectorIdEEZNS1_21segmented_reduce_implIS3_PKdPdPKidN6hipcub16HIPCUB_304000_NS6detail27convert_result_type_wrapperIS8_S9_N2at6native12_GLOBAL__N_110CustomProdEEEEE10hipError_tPvRmT0_T1_jT2_SQ_T4_T3_P12ihipStream_tbEUlT_E_NS1_11comp_targetILNS1_3genE4ELNS1_11target_archE910ELNS1_3gpuE8ELNS1_3repE0EEENS1_30default_config_static_selectorELNS0_4arch9wavefront6targetE1EEEvSP_.num_named_barrier, 0
	.set _ZN7rocprim17ROCPRIM_400000_NS6detail17trampoline_kernelINS0_14default_configENS1_32segmented_reduce_config_selectorIdEEZNS1_21segmented_reduce_implIS3_PKdPdPKidN6hipcub16HIPCUB_304000_NS6detail27convert_result_type_wrapperIS8_S9_N2at6native12_GLOBAL__N_110CustomProdEEEEE10hipError_tPvRmT0_T1_jT2_SQ_T4_T3_P12ihipStream_tbEUlT_E_NS1_11comp_targetILNS1_3genE4ELNS1_11target_archE910ELNS1_3gpuE8ELNS1_3repE0EEENS1_30default_config_static_selectorELNS0_4arch9wavefront6targetE1EEEvSP_.private_seg_size, 0
	.set _ZN7rocprim17ROCPRIM_400000_NS6detail17trampoline_kernelINS0_14default_configENS1_32segmented_reduce_config_selectorIdEEZNS1_21segmented_reduce_implIS3_PKdPdPKidN6hipcub16HIPCUB_304000_NS6detail27convert_result_type_wrapperIS8_S9_N2at6native12_GLOBAL__N_110CustomProdEEEEE10hipError_tPvRmT0_T1_jT2_SQ_T4_T3_P12ihipStream_tbEUlT_E_NS1_11comp_targetILNS1_3genE4ELNS1_11target_archE910ELNS1_3gpuE8ELNS1_3repE0EEENS1_30default_config_static_selectorELNS0_4arch9wavefront6targetE1EEEvSP_.uses_vcc, 0
	.set _ZN7rocprim17ROCPRIM_400000_NS6detail17trampoline_kernelINS0_14default_configENS1_32segmented_reduce_config_selectorIdEEZNS1_21segmented_reduce_implIS3_PKdPdPKidN6hipcub16HIPCUB_304000_NS6detail27convert_result_type_wrapperIS8_S9_N2at6native12_GLOBAL__N_110CustomProdEEEEE10hipError_tPvRmT0_T1_jT2_SQ_T4_T3_P12ihipStream_tbEUlT_E_NS1_11comp_targetILNS1_3genE4ELNS1_11target_archE910ELNS1_3gpuE8ELNS1_3repE0EEENS1_30default_config_static_selectorELNS0_4arch9wavefront6targetE1EEEvSP_.uses_flat_scratch, 0
	.set _ZN7rocprim17ROCPRIM_400000_NS6detail17trampoline_kernelINS0_14default_configENS1_32segmented_reduce_config_selectorIdEEZNS1_21segmented_reduce_implIS3_PKdPdPKidN6hipcub16HIPCUB_304000_NS6detail27convert_result_type_wrapperIS8_S9_N2at6native12_GLOBAL__N_110CustomProdEEEEE10hipError_tPvRmT0_T1_jT2_SQ_T4_T3_P12ihipStream_tbEUlT_E_NS1_11comp_targetILNS1_3genE4ELNS1_11target_archE910ELNS1_3gpuE8ELNS1_3repE0EEENS1_30default_config_static_selectorELNS0_4arch9wavefront6targetE1EEEvSP_.has_dyn_sized_stack, 0
	.set _ZN7rocprim17ROCPRIM_400000_NS6detail17trampoline_kernelINS0_14default_configENS1_32segmented_reduce_config_selectorIdEEZNS1_21segmented_reduce_implIS3_PKdPdPKidN6hipcub16HIPCUB_304000_NS6detail27convert_result_type_wrapperIS8_S9_N2at6native12_GLOBAL__N_110CustomProdEEEEE10hipError_tPvRmT0_T1_jT2_SQ_T4_T3_P12ihipStream_tbEUlT_E_NS1_11comp_targetILNS1_3genE4ELNS1_11target_archE910ELNS1_3gpuE8ELNS1_3repE0EEENS1_30default_config_static_selectorELNS0_4arch9wavefront6targetE1EEEvSP_.has_recursion, 0
	.set _ZN7rocprim17ROCPRIM_400000_NS6detail17trampoline_kernelINS0_14default_configENS1_32segmented_reduce_config_selectorIdEEZNS1_21segmented_reduce_implIS3_PKdPdPKidN6hipcub16HIPCUB_304000_NS6detail27convert_result_type_wrapperIS8_S9_N2at6native12_GLOBAL__N_110CustomProdEEEEE10hipError_tPvRmT0_T1_jT2_SQ_T4_T3_P12ihipStream_tbEUlT_E_NS1_11comp_targetILNS1_3genE4ELNS1_11target_archE910ELNS1_3gpuE8ELNS1_3repE0EEENS1_30default_config_static_selectorELNS0_4arch9wavefront6targetE1EEEvSP_.has_indirect_call, 0
	.section	.AMDGPU.csdata,"",@progbits
; Kernel info:
; codeLenInByte = 0
; TotalNumSgprs: 4
; NumVgprs: 0
; ScratchSize: 0
; MemoryBound: 0
; FloatMode: 240
; IeeeMode: 1
; LDSByteSize: 0 bytes/workgroup (compile time only)
; SGPRBlocks: 0
; VGPRBlocks: 0
; NumSGPRsForWavesPerEU: 4
; NumVGPRsForWavesPerEU: 1
; Occupancy: 10
; WaveLimiterHint : 0
; COMPUTE_PGM_RSRC2:SCRATCH_EN: 0
; COMPUTE_PGM_RSRC2:USER_SGPR: 6
; COMPUTE_PGM_RSRC2:TRAP_HANDLER: 0
; COMPUTE_PGM_RSRC2:TGID_X_EN: 1
; COMPUTE_PGM_RSRC2:TGID_Y_EN: 0
; COMPUTE_PGM_RSRC2:TGID_Z_EN: 0
; COMPUTE_PGM_RSRC2:TIDIG_COMP_CNT: 0
	.section	.text._ZN7rocprim17ROCPRIM_400000_NS6detail17trampoline_kernelINS0_14default_configENS1_32segmented_reduce_config_selectorIdEEZNS1_21segmented_reduce_implIS3_PKdPdPKidN6hipcub16HIPCUB_304000_NS6detail27convert_result_type_wrapperIS8_S9_N2at6native12_GLOBAL__N_110CustomProdEEEEE10hipError_tPvRmT0_T1_jT2_SQ_T4_T3_P12ihipStream_tbEUlT_E_NS1_11comp_targetILNS1_3genE3ELNS1_11target_archE908ELNS1_3gpuE7ELNS1_3repE0EEENS1_30default_config_static_selectorELNS0_4arch9wavefront6targetE1EEEvSP_,"axG",@progbits,_ZN7rocprim17ROCPRIM_400000_NS6detail17trampoline_kernelINS0_14default_configENS1_32segmented_reduce_config_selectorIdEEZNS1_21segmented_reduce_implIS3_PKdPdPKidN6hipcub16HIPCUB_304000_NS6detail27convert_result_type_wrapperIS8_S9_N2at6native12_GLOBAL__N_110CustomProdEEEEE10hipError_tPvRmT0_T1_jT2_SQ_T4_T3_P12ihipStream_tbEUlT_E_NS1_11comp_targetILNS1_3genE3ELNS1_11target_archE908ELNS1_3gpuE7ELNS1_3repE0EEENS1_30default_config_static_selectorELNS0_4arch9wavefront6targetE1EEEvSP_,comdat
	.globl	_ZN7rocprim17ROCPRIM_400000_NS6detail17trampoline_kernelINS0_14default_configENS1_32segmented_reduce_config_selectorIdEEZNS1_21segmented_reduce_implIS3_PKdPdPKidN6hipcub16HIPCUB_304000_NS6detail27convert_result_type_wrapperIS8_S9_N2at6native12_GLOBAL__N_110CustomProdEEEEE10hipError_tPvRmT0_T1_jT2_SQ_T4_T3_P12ihipStream_tbEUlT_E_NS1_11comp_targetILNS1_3genE3ELNS1_11target_archE908ELNS1_3gpuE7ELNS1_3repE0EEENS1_30default_config_static_selectorELNS0_4arch9wavefront6targetE1EEEvSP_ ; -- Begin function _ZN7rocprim17ROCPRIM_400000_NS6detail17trampoline_kernelINS0_14default_configENS1_32segmented_reduce_config_selectorIdEEZNS1_21segmented_reduce_implIS3_PKdPdPKidN6hipcub16HIPCUB_304000_NS6detail27convert_result_type_wrapperIS8_S9_N2at6native12_GLOBAL__N_110CustomProdEEEEE10hipError_tPvRmT0_T1_jT2_SQ_T4_T3_P12ihipStream_tbEUlT_E_NS1_11comp_targetILNS1_3genE3ELNS1_11target_archE908ELNS1_3gpuE7ELNS1_3repE0EEENS1_30default_config_static_selectorELNS0_4arch9wavefront6targetE1EEEvSP_
	.p2align	8
	.type	_ZN7rocprim17ROCPRIM_400000_NS6detail17trampoline_kernelINS0_14default_configENS1_32segmented_reduce_config_selectorIdEEZNS1_21segmented_reduce_implIS3_PKdPdPKidN6hipcub16HIPCUB_304000_NS6detail27convert_result_type_wrapperIS8_S9_N2at6native12_GLOBAL__N_110CustomProdEEEEE10hipError_tPvRmT0_T1_jT2_SQ_T4_T3_P12ihipStream_tbEUlT_E_NS1_11comp_targetILNS1_3genE3ELNS1_11target_archE908ELNS1_3gpuE7ELNS1_3repE0EEENS1_30default_config_static_selectorELNS0_4arch9wavefront6targetE1EEEvSP_,@function
_ZN7rocprim17ROCPRIM_400000_NS6detail17trampoline_kernelINS0_14default_configENS1_32segmented_reduce_config_selectorIdEEZNS1_21segmented_reduce_implIS3_PKdPdPKidN6hipcub16HIPCUB_304000_NS6detail27convert_result_type_wrapperIS8_S9_N2at6native12_GLOBAL__N_110CustomProdEEEEE10hipError_tPvRmT0_T1_jT2_SQ_T4_T3_P12ihipStream_tbEUlT_E_NS1_11comp_targetILNS1_3genE3ELNS1_11target_archE908ELNS1_3gpuE7ELNS1_3repE0EEENS1_30default_config_static_selectorELNS0_4arch9wavefront6targetE1EEEvSP_: ; @_ZN7rocprim17ROCPRIM_400000_NS6detail17trampoline_kernelINS0_14default_configENS1_32segmented_reduce_config_selectorIdEEZNS1_21segmented_reduce_implIS3_PKdPdPKidN6hipcub16HIPCUB_304000_NS6detail27convert_result_type_wrapperIS8_S9_N2at6native12_GLOBAL__N_110CustomProdEEEEE10hipError_tPvRmT0_T1_jT2_SQ_T4_T3_P12ihipStream_tbEUlT_E_NS1_11comp_targetILNS1_3genE3ELNS1_11target_archE908ELNS1_3gpuE7ELNS1_3repE0EEENS1_30default_config_static_selectorELNS0_4arch9wavefront6targetE1EEEvSP_
; %bb.0:
	.section	.rodata,"a",@progbits
	.p2align	6, 0x0
	.amdhsa_kernel _ZN7rocprim17ROCPRIM_400000_NS6detail17trampoline_kernelINS0_14default_configENS1_32segmented_reduce_config_selectorIdEEZNS1_21segmented_reduce_implIS3_PKdPdPKidN6hipcub16HIPCUB_304000_NS6detail27convert_result_type_wrapperIS8_S9_N2at6native12_GLOBAL__N_110CustomProdEEEEE10hipError_tPvRmT0_T1_jT2_SQ_T4_T3_P12ihipStream_tbEUlT_E_NS1_11comp_targetILNS1_3genE3ELNS1_11target_archE908ELNS1_3gpuE7ELNS1_3repE0EEENS1_30default_config_static_selectorELNS0_4arch9wavefront6targetE1EEEvSP_
		.amdhsa_group_segment_fixed_size 0
		.amdhsa_private_segment_fixed_size 0
		.amdhsa_kernarg_size 56
		.amdhsa_user_sgpr_count 6
		.amdhsa_user_sgpr_private_segment_buffer 1
		.amdhsa_user_sgpr_dispatch_ptr 0
		.amdhsa_user_sgpr_queue_ptr 0
		.amdhsa_user_sgpr_kernarg_segment_ptr 1
		.amdhsa_user_sgpr_dispatch_id 0
		.amdhsa_user_sgpr_flat_scratch_init 0
		.amdhsa_user_sgpr_private_segment_size 0
		.amdhsa_uses_dynamic_stack 0
		.amdhsa_system_sgpr_private_segment_wavefront_offset 0
		.amdhsa_system_sgpr_workgroup_id_x 1
		.amdhsa_system_sgpr_workgroup_id_y 0
		.amdhsa_system_sgpr_workgroup_id_z 0
		.amdhsa_system_sgpr_workgroup_info 0
		.amdhsa_system_vgpr_workitem_id 0
		.amdhsa_next_free_vgpr 1
		.amdhsa_next_free_sgpr 0
		.amdhsa_reserve_vcc 0
		.amdhsa_reserve_flat_scratch 0
		.amdhsa_float_round_mode_32 0
		.amdhsa_float_round_mode_16_64 0
		.amdhsa_float_denorm_mode_32 3
		.amdhsa_float_denorm_mode_16_64 3
		.amdhsa_dx10_clamp 1
		.amdhsa_ieee_mode 1
		.amdhsa_fp16_overflow 0
		.amdhsa_exception_fp_ieee_invalid_op 0
		.amdhsa_exception_fp_denorm_src 0
		.amdhsa_exception_fp_ieee_div_zero 0
		.amdhsa_exception_fp_ieee_overflow 0
		.amdhsa_exception_fp_ieee_underflow 0
		.amdhsa_exception_fp_ieee_inexact 0
		.amdhsa_exception_int_div_zero 0
	.end_amdhsa_kernel
	.section	.text._ZN7rocprim17ROCPRIM_400000_NS6detail17trampoline_kernelINS0_14default_configENS1_32segmented_reduce_config_selectorIdEEZNS1_21segmented_reduce_implIS3_PKdPdPKidN6hipcub16HIPCUB_304000_NS6detail27convert_result_type_wrapperIS8_S9_N2at6native12_GLOBAL__N_110CustomProdEEEEE10hipError_tPvRmT0_T1_jT2_SQ_T4_T3_P12ihipStream_tbEUlT_E_NS1_11comp_targetILNS1_3genE3ELNS1_11target_archE908ELNS1_3gpuE7ELNS1_3repE0EEENS1_30default_config_static_selectorELNS0_4arch9wavefront6targetE1EEEvSP_,"axG",@progbits,_ZN7rocprim17ROCPRIM_400000_NS6detail17trampoline_kernelINS0_14default_configENS1_32segmented_reduce_config_selectorIdEEZNS1_21segmented_reduce_implIS3_PKdPdPKidN6hipcub16HIPCUB_304000_NS6detail27convert_result_type_wrapperIS8_S9_N2at6native12_GLOBAL__N_110CustomProdEEEEE10hipError_tPvRmT0_T1_jT2_SQ_T4_T3_P12ihipStream_tbEUlT_E_NS1_11comp_targetILNS1_3genE3ELNS1_11target_archE908ELNS1_3gpuE7ELNS1_3repE0EEENS1_30default_config_static_selectorELNS0_4arch9wavefront6targetE1EEEvSP_,comdat
.Lfunc_end38:
	.size	_ZN7rocprim17ROCPRIM_400000_NS6detail17trampoline_kernelINS0_14default_configENS1_32segmented_reduce_config_selectorIdEEZNS1_21segmented_reduce_implIS3_PKdPdPKidN6hipcub16HIPCUB_304000_NS6detail27convert_result_type_wrapperIS8_S9_N2at6native12_GLOBAL__N_110CustomProdEEEEE10hipError_tPvRmT0_T1_jT2_SQ_T4_T3_P12ihipStream_tbEUlT_E_NS1_11comp_targetILNS1_3genE3ELNS1_11target_archE908ELNS1_3gpuE7ELNS1_3repE0EEENS1_30default_config_static_selectorELNS0_4arch9wavefront6targetE1EEEvSP_, .Lfunc_end38-_ZN7rocprim17ROCPRIM_400000_NS6detail17trampoline_kernelINS0_14default_configENS1_32segmented_reduce_config_selectorIdEEZNS1_21segmented_reduce_implIS3_PKdPdPKidN6hipcub16HIPCUB_304000_NS6detail27convert_result_type_wrapperIS8_S9_N2at6native12_GLOBAL__N_110CustomProdEEEEE10hipError_tPvRmT0_T1_jT2_SQ_T4_T3_P12ihipStream_tbEUlT_E_NS1_11comp_targetILNS1_3genE3ELNS1_11target_archE908ELNS1_3gpuE7ELNS1_3repE0EEENS1_30default_config_static_selectorELNS0_4arch9wavefront6targetE1EEEvSP_
                                        ; -- End function
	.set _ZN7rocprim17ROCPRIM_400000_NS6detail17trampoline_kernelINS0_14default_configENS1_32segmented_reduce_config_selectorIdEEZNS1_21segmented_reduce_implIS3_PKdPdPKidN6hipcub16HIPCUB_304000_NS6detail27convert_result_type_wrapperIS8_S9_N2at6native12_GLOBAL__N_110CustomProdEEEEE10hipError_tPvRmT0_T1_jT2_SQ_T4_T3_P12ihipStream_tbEUlT_E_NS1_11comp_targetILNS1_3genE3ELNS1_11target_archE908ELNS1_3gpuE7ELNS1_3repE0EEENS1_30default_config_static_selectorELNS0_4arch9wavefront6targetE1EEEvSP_.num_vgpr, 0
	.set _ZN7rocprim17ROCPRIM_400000_NS6detail17trampoline_kernelINS0_14default_configENS1_32segmented_reduce_config_selectorIdEEZNS1_21segmented_reduce_implIS3_PKdPdPKidN6hipcub16HIPCUB_304000_NS6detail27convert_result_type_wrapperIS8_S9_N2at6native12_GLOBAL__N_110CustomProdEEEEE10hipError_tPvRmT0_T1_jT2_SQ_T4_T3_P12ihipStream_tbEUlT_E_NS1_11comp_targetILNS1_3genE3ELNS1_11target_archE908ELNS1_3gpuE7ELNS1_3repE0EEENS1_30default_config_static_selectorELNS0_4arch9wavefront6targetE1EEEvSP_.num_agpr, 0
	.set _ZN7rocprim17ROCPRIM_400000_NS6detail17trampoline_kernelINS0_14default_configENS1_32segmented_reduce_config_selectorIdEEZNS1_21segmented_reduce_implIS3_PKdPdPKidN6hipcub16HIPCUB_304000_NS6detail27convert_result_type_wrapperIS8_S9_N2at6native12_GLOBAL__N_110CustomProdEEEEE10hipError_tPvRmT0_T1_jT2_SQ_T4_T3_P12ihipStream_tbEUlT_E_NS1_11comp_targetILNS1_3genE3ELNS1_11target_archE908ELNS1_3gpuE7ELNS1_3repE0EEENS1_30default_config_static_selectorELNS0_4arch9wavefront6targetE1EEEvSP_.numbered_sgpr, 0
	.set _ZN7rocprim17ROCPRIM_400000_NS6detail17trampoline_kernelINS0_14default_configENS1_32segmented_reduce_config_selectorIdEEZNS1_21segmented_reduce_implIS3_PKdPdPKidN6hipcub16HIPCUB_304000_NS6detail27convert_result_type_wrapperIS8_S9_N2at6native12_GLOBAL__N_110CustomProdEEEEE10hipError_tPvRmT0_T1_jT2_SQ_T4_T3_P12ihipStream_tbEUlT_E_NS1_11comp_targetILNS1_3genE3ELNS1_11target_archE908ELNS1_3gpuE7ELNS1_3repE0EEENS1_30default_config_static_selectorELNS0_4arch9wavefront6targetE1EEEvSP_.num_named_barrier, 0
	.set _ZN7rocprim17ROCPRIM_400000_NS6detail17trampoline_kernelINS0_14default_configENS1_32segmented_reduce_config_selectorIdEEZNS1_21segmented_reduce_implIS3_PKdPdPKidN6hipcub16HIPCUB_304000_NS6detail27convert_result_type_wrapperIS8_S9_N2at6native12_GLOBAL__N_110CustomProdEEEEE10hipError_tPvRmT0_T1_jT2_SQ_T4_T3_P12ihipStream_tbEUlT_E_NS1_11comp_targetILNS1_3genE3ELNS1_11target_archE908ELNS1_3gpuE7ELNS1_3repE0EEENS1_30default_config_static_selectorELNS0_4arch9wavefront6targetE1EEEvSP_.private_seg_size, 0
	.set _ZN7rocprim17ROCPRIM_400000_NS6detail17trampoline_kernelINS0_14default_configENS1_32segmented_reduce_config_selectorIdEEZNS1_21segmented_reduce_implIS3_PKdPdPKidN6hipcub16HIPCUB_304000_NS6detail27convert_result_type_wrapperIS8_S9_N2at6native12_GLOBAL__N_110CustomProdEEEEE10hipError_tPvRmT0_T1_jT2_SQ_T4_T3_P12ihipStream_tbEUlT_E_NS1_11comp_targetILNS1_3genE3ELNS1_11target_archE908ELNS1_3gpuE7ELNS1_3repE0EEENS1_30default_config_static_selectorELNS0_4arch9wavefront6targetE1EEEvSP_.uses_vcc, 0
	.set _ZN7rocprim17ROCPRIM_400000_NS6detail17trampoline_kernelINS0_14default_configENS1_32segmented_reduce_config_selectorIdEEZNS1_21segmented_reduce_implIS3_PKdPdPKidN6hipcub16HIPCUB_304000_NS6detail27convert_result_type_wrapperIS8_S9_N2at6native12_GLOBAL__N_110CustomProdEEEEE10hipError_tPvRmT0_T1_jT2_SQ_T4_T3_P12ihipStream_tbEUlT_E_NS1_11comp_targetILNS1_3genE3ELNS1_11target_archE908ELNS1_3gpuE7ELNS1_3repE0EEENS1_30default_config_static_selectorELNS0_4arch9wavefront6targetE1EEEvSP_.uses_flat_scratch, 0
	.set _ZN7rocprim17ROCPRIM_400000_NS6detail17trampoline_kernelINS0_14default_configENS1_32segmented_reduce_config_selectorIdEEZNS1_21segmented_reduce_implIS3_PKdPdPKidN6hipcub16HIPCUB_304000_NS6detail27convert_result_type_wrapperIS8_S9_N2at6native12_GLOBAL__N_110CustomProdEEEEE10hipError_tPvRmT0_T1_jT2_SQ_T4_T3_P12ihipStream_tbEUlT_E_NS1_11comp_targetILNS1_3genE3ELNS1_11target_archE908ELNS1_3gpuE7ELNS1_3repE0EEENS1_30default_config_static_selectorELNS0_4arch9wavefront6targetE1EEEvSP_.has_dyn_sized_stack, 0
	.set _ZN7rocprim17ROCPRIM_400000_NS6detail17trampoline_kernelINS0_14default_configENS1_32segmented_reduce_config_selectorIdEEZNS1_21segmented_reduce_implIS3_PKdPdPKidN6hipcub16HIPCUB_304000_NS6detail27convert_result_type_wrapperIS8_S9_N2at6native12_GLOBAL__N_110CustomProdEEEEE10hipError_tPvRmT0_T1_jT2_SQ_T4_T3_P12ihipStream_tbEUlT_E_NS1_11comp_targetILNS1_3genE3ELNS1_11target_archE908ELNS1_3gpuE7ELNS1_3repE0EEENS1_30default_config_static_selectorELNS0_4arch9wavefront6targetE1EEEvSP_.has_recursion, 0
	.set _ZN7rocprim17ROCPRIM_400000_NS6detail17trampoline_kernelINS0_14default_configENS1_32segmented_reduce_config_selectorIdEEZNS1_21segmented_reduce_implIS3_PKdPdPKidN6hipcub16HIPCUB_304000_NS6detail27convert_result_type_wrapperIS8_S9_N2at6native12_GLOBAL__N_110CustomProdEEEEE10hipError_tPvRmT0_T1_jT2_SQ_T4_T3_P12ihipStream_tbEUlT_E_NS1_11comp_targetILNS1_3genE3ELNS1_11target_archE908ELNS1_3gpuE7ELNS1_3repE0EEENS1_30default_config_static_selectorELNS0_4arch9wavefront6targetE1EEEvSP_.has_indirect_call, 0
	.section	.AMDGPU.csdata,"",@progbits
; Kernel info:
; codeLenInByte = 0
; TotalNumSgprs: 4
; NumVgprs: 0
; ScratchSize: 0
; MemoryBound: 0
; FloatMode: 240
; IeeeMode: 1
; LDSByteSize: 0 bytes/workgroup (compile time only)
; SGPRBlocks: 0
; VGPRBlocks: 0
; NumSGPRsForWavesPerEU: 4
; NumVGPRsForWavesPerEU: 1
; Occupancy: 10
; WaveLimiterHint : 0
; COMPUTE_PGM_RSRC2:SCRATCH_EN: 0
; COMPUTE_PGM_RSRC2:USER_SGPR: 6
; COMPUTE_PGM_RSRC2:TRAP_HANDLER: 0
; COMPUTE_PGM_RSRC2:TGID_X_EN: 1
; COMPUTE_PGM_RSRC2:TGID_Y_EN: 0
; COMPUTE_PGM_RSRC2:TGID_Z_EN: 0
; COMPUTE_PGM_RSRC2:TIDIG_COMP_CNT: 0
	.section	.text._ZN7rocprim17ROCPRIM_400000_NS6detail17trampoline_kernelINS0_14default_configENS1_32segmented_reduce_config_selectorIdEEZNS1_21segmented_reduce_implIS3_PKdPdPKidN6hipcub16HIPCUB_304000_NS6detail27convert_result_type_wrapperIS8_S9_N2at6native12_GLOBAL__N_110CustomProdEEEEE10hipError_tPvRmT0_T1_jT2_SQ_T4_T3_P12ihipStream_tbEUlT_E_NS1_11comp_targetILNS1_3genE2ELNS1_11target_archE906ELNS1_3gpuE6ELNS1_3repE0EEENS1_30default_config_static_selectorELNS0_4arch9wavefront6targetE1EEEvSP_,"axG",@progbits,_ZN7rocprim17ROCPRIM_400000_NS6detail17trampoline_kernelINS0_14default_configENS1_32segmented_reduce_config_selectorIdEEZNS1_21segmented_reduce_implIS3_PKdPdPKidN6hipcub16HIPCUB_304000_NS6detail27convert_result_type_wrapperIS8_S9_N2at6native12_GLOBAL__N_110CustomProdEEEEE10hipError_tPvRmT0_T1_jT2_SQ_T4_T3_P12ihipStream_tbEUlT_E_NS1_11comp_targetILNS1_3genE2ELNS1_11target_archE906ELNS1_3gpuE6ELNS1_3repE0EEENS1_30default_config_static_selectorELNS0_4arch9wavefront6targetE1EEEvSP_,comdat
	.globl	_ZN7rocprim17ROCPRIM_400000_NS6detail17trampoline_kernelINS0_14default_configENS1_32segmented_reduce_config_selectorIdEEZNS1_21segmented_reduce_implIS3_PKdPdPKidN6hipcub16HIPCUB_304000_NS6detail27convert_result_type_wrapperIS8_S9_N2at6native12_GLOBAL__N_110CustomProdEEEEE10hipError_tPvRmT0_T1_jT2_SQ_T4_T3_P12ihipStream_tbEUlT_E_NS1_11comp_targetILNS1_3genE2ELNS1_11target_archE906ELNS1_3gpuE6ELNS1_3repE0EEENS1_30default_config_static_selectorELNS0_4arch9wavefront6targetE1EEEvSP_ ; -- Begin function _ZN7rocprim17ROCPRIM_400000_NS6detail17trampoline_kernelINS0_14default_configENS1_32segmented_reduce_config_selectorIdEEZNS1_21segmented_reduce_implIS3_PKdPdPKidN6hipcub16HIPCUB_304000_NS6detail27convert_result_type_wrapperIS8_S9_N2at6native12_GLOBAL__N_110CustomProdEEEEE10hipError_tPvRmT0_T1_jT2_SQ_T4_T3_P12ihipStream_tbEUlT_E_NS1_11comp_targetILNS1_3genE2ELNS1_11target_archE906ELNS1_3gpuE6ELNS1_3repE0EEENS1_30default_config_static_selectorELNS0_4arch9wavefront6targetE1EEEvSP_
	.p2align	8
	.type	_ZN7rocprim17ROCPRIM_400000_NS6detail17trampoline_kernelINS0_14default_configENS1_32segmented_reduce_config_selectorIdEEZNS1_21segmented_reduce_implIS3_PKdPdPKidN6hipcub16HIPCUB_304000_NS6detail27convert_result_type_wrapperIS8_S9_N2at6native12_GLOBAL__N_110CustomProdEEEEE10hipError_tPvRmT0_T1_jT2_SQ_T4_T3_P12ihipStream_tbEUlT_E_NS1_11comp_targetILNS1_3genE2ELNS1_11target_archE906ELNS1_3gpuE6ELNS1_3repE0EEENS1_30default_config_static_selectorELNS0_4arch9wavefront6targetE1EEEvSP_,@function
_ZN7rocprim17ROCPRIM_400000_NS6detail17trampoline_kernelINS0_14default_configENS1_32segmented_reduce_config_selectorIdEEZNS1_21segmented_reduce_implIS3_PKdPdPKidN6hipcub16HIPCUB_304000_NS6detail27convert_result_type_wrapperIS8_S9_N2at6native12_GLOBAL__N_110CustomProdEEEEE10hipError_tPvRmT0_T1_jT2_SQ_T4_T3_P12ihipStream_tbEUlT_E_NS1_11comp_targetILNS1_3genE2ELNS1_11target_archE906ELNS1_3gpuE6ELNS1_3repE0EEENS1_30default_config_static_selectorELNS0_4arch9wavefront6targetE1EEEvSP_: ; @_ZN7rocprim17ROCPRIM_400000_NS6detail17trampoline_kernelINS0_14default_configENS1_32segmented_reduce_config_selectorIdEEZNS1_21segmented_reduce_implIS3_PKdPdPKidN6hipcub16HIPCUB_304000_NS6detail27convert_result_type_wrapperIS8_S9_N2at6native12_GLOBAL__N_110CustomProdEEEEE10hipError_tPvRmT0_T1_jT2_SQ_T4_T3_P12ihipStream_tbEUlT_E_NS1_11comp_targetILNS1_3genE2ELNS1_11target_archE906ELNS1_3gpuE6ELNS1_3repE0EEENS1_30default_config_static_selectorELNS0_4arch9wavefront6targetE1EEEvSP_
; %bb.0:
	s_load_dwordx8 s[16:23], s[4:5], 0x0
	s_load_dwordx2 s[0:1], s[4:5], 0x20
	s_load_dwordx2 s[24:25], s[4:5], 0x30
	s_mov_b32 s7, 0
	v_cmp_eq_u32_e32 vcc, 0, v0
	s_waitcnt lgkmcnt(0)
	s_lshl_b64 s[2:3], s[20:21], 2
	s_add_u32 s4, s22, s2
	s_addc_u32 s5, s23, s3
	s_add_u32 s8, s0, s2
	s_addc_u32 s9, s1, s3
	s_lshl_b64 s[0:1], s[6:7], 2
	s_add_u32 s2, s4, s0
	s_addc_u32 s3, s5, s1
	s_add_u32 s0, s8, s0
	s_addc_u32 s1, s9, s1
	s_load_dword s26, s[2:3], 0x0
	s_load_dword s33, s[0:1], 0x0
	s_waitcnt lgkmcnt(0)
	s_cmp_gt_i32 s33, s26
	s_cbranch_scc1 .LBB39_3
; %bb.1:
	s_and_b64 s[22:23], vcc, exec
	s_cbranch_execz .LBB39_4
; %bb.2:
	v_mov_b32_e32 v1, s24
	v_mov_b32_e32 v2, s25
	s_and_saveexec_b64 s[0:1], s[22:23]
	s_cbranch_execnz .LBB39_63
	s_branch .LBB39_64
.LBB39_3:
	s_mov_b64 s[22:23], 0
.LBB39_4:
	s_add_i32 s0, s26, 0x800
	s_cmp_le_i32 s0, s33
	s_cbranch_scc0 .LBB39_29
; %bb.5:
	s_ashr_i32 s27, s26, 31
	s_lshl_b64 s[2:3], s[26:27], 3
	s_add_u32 s2, s16, s2
	s_addc_u32 s3, s17, s3
	v_lshlrev_b32_e32 v19, 3, v0
	global_load_dwordx2 v[5:6], v19, s[2:3]
	global_load_dwordx2 v[1:2], v19, s[2:3] offset:2048
	v_mov_b32_e32 v3, s3
	v_add_co_u32_e32 v15, vcc, s2, v19
	v_addc_co_u32_e32 v16, vcc, 0, v3, vcc
	v_add_co_u32_e32 v7, vcc, 0x1000, v15
	v_addc_co_u32_e32 v8, vcc, 0, v16, vcc
	global_load_dwordx2 v[11:12], v[7:8], off
	global_load_dwordx2 v[3:4], v[7:8], off offset:2048
	v_add_co_u32_e32 v9, vcc, 0x2000, v15
	v_addc_co_u32_e32 v10, vcc, 0, v16, vcc
	global_load_dwordx2 v[13:14], v[9:10], off
	global_load_dwordx2 v[7:8], v[9:10], off offset:2048
	;; [unrolled: 4-line block ×3, first 2 shown]
	s_add_i32 s1, s26, 0x1000
	s_cmp_ge_i32 s1, s33
	s_waitcnt vmcnt(6)
	v_mul_f64 v[17:18], v[5:6], v[1:2]
	s_waitcnt vmcnt(5)
	v_mul_f64 v[17:18], v[17:18], v[11:12]
	;; [unrolled: 2-line block ×7, first 2 shown]
	s_cbranch_scc1 .LBB39_8
; %bb.6:
	v_mov_b32_e32 v1, s17
	v_add_co_u32_e32 v20, vcc, s16, v19
	v_addc_co_u32_e32 v21, vcc, 0, v1, vcc
.LBB39_7:                               ; =>This Inner Loop Header: Depth=1
	s_mov_b32 s2, s0
	s_ashr_i32 s3, s0, 31
	s_lshl_b64 s[0:1], s[2:3], 3
	v_mov_b32_e32 v1, s1
	v_add_co_u32_e32 v9, vcc, s0, v20
	v_addc_co_u32_e32 v10, vcc, v21, v1, vcc
	global_load_dwordx2 v[5:6], v[9:10], off
	global_load_dwordx2 v[1:2], v[9:10], off offset:2048
	v_add_co_u32_e32 v7, vcc, 0x1000, v9
	v_addc_co_u32_e32 v8, vcc, 0, v10, vcc
	global_load_dwordx2 v[11:12], v[7:8], off
	global_load_dwordx2 v[3:4], v[7:8], off offset:2048
	;; [unrolled: 4-line block ×4, first 2 shown]
	s_add_i32 s0, s2, 0x800
	s_add_i32 s1, s2, 0x1000
	s_cmp_lt_i32 s1, s33
	s_waitcnt vmcnt(7)
	v_mul_f64 v[17:18], v[17:18], v[5:6]
	s_waitcnt vmcnt(6)
	v_mul_f64 v[17:18], v[17:18], v[1:2]
	;; [unrolled: 2-line block ×8, first 2 shown]
	s_cbranch_scc1 .LBB39_7
.LBB39_8:
	s_ashr_i32 s1, s0, 31
	s_sub_i32 s27, s33, s0
	s_lshl_b64 s[0:1], s[0:1], 3
	s_add_u32 s28, s16, s0
	s_addc_u32 s29, s17, s1
	v_cmp_gt_u32_e32 vcc, s27, v0
	s_and_saveexec_b64 s[0:1], vcc
	s_cbranch_execz .LBB39_10
; %bb.9:
	global_load_dwordx2 v[5:6], v19, s[28:29]
.LBB39_10:
	s_or_b64 exec, exec, s[0:1]
	v_or_b32_e32 v20, 0x100, v0
	v_cmp_gt_u32_e64 s[0:1], s27, v20
	s_and_saveexec_b64 s[2:3], s[0:1]
	s_cbranch_execz .LBB39_12
; %bb.11:
	global_load_dwordx2 v[1:2], v19, s[28:29] offset:2048
.LBB39_12:
	s_or_b64 exec, exec, s[2:3]
	v_or_b32_e32 v19, 0x200, v0
	v_cmp_gt_u32_e64 s[2:3], s27, v19
	s_and_saveexec_b64 s[4:5], s[2:3]
	s_cbranch_execz .LBB39_14
; %bb.13:
	v_lshlrev_b32_e32 v11, 3, v19
	global_load_dwordx2 v[11:12], v11, s[28:29]
.LBB39_14:
	s_or_b64 exec, exec, s[4:5]
	v_or_b32_e32 v19, 0x300, v0
	v_cmp_gt_u32_e64 s[4:5], s27, v19
	s_and_saveexec_b64 s[8:9], s[4:5]
	s_cbranch_execz .LBB39_16
; %bb.15:
	v_lshlrev_b32_e32 v3, 3, v19
	global_load_dwordx2 v[3:4], v3, s[28:29]
.LBB39_16:
	;; [unrolled: 9-line block ×6, first 2 shown]
	s_or_b64 exec, exec, s[30:31]
	s_waitcnt vmcnt(0)
	v_mul_f64 v[5:6], v[17:18], v[5:6]
	v_cndmask_b32_e32 v6, v18, v6, vcc
	v_cndmask_b32_e32 v5, v17, v5, vcc
	v_mul_f64 v[1:2], v[1:2], v[5:6]
	v_cndmask_b32_e64 v2, v6, v2, s[0:1]
	v_cndmask_b32_e64 v1, v5, v1, s[0:1]
	v_mul_f64 v[5:6], v[11:12], v[1:2]
	v_cndmask_b32_e64 v2, v2, v6, s[2:3]
	v_cndmask_b32_e64 v1, v1, v5, s[2:3]
	;; [unrolled: 3-line block ×7, first 2 shown]
	s_nop 0
	v_mov_b32_dpp v4, v2 quad_perm:[1,0,3,2] row_mask:0xf bank_mask:0xf bound_ctrl:1
	v_mov_b32_dpp v3, v1 quad_perm:[1,0,3,2] row_mask:0xf bank_mask:0xf bound_ctrl:1
	v_mul_f64 v[1:2], v[1:2], v[3:4]
	s_nop 1
	v_mov_b32_dpp v3, v1 quad_perm:[2,3,0,1] row_mask:0xf bank_mask:0xf bound_ctrl:1
	v_mov_b32_dpp v4, v2 quad_perm:[2,3,0,1] row_mask:0xf bank_mask:0xf bound_ctrl:1
	v_mul_f64 v[1:2], v[1:2], v[3:4]
	s_nop 1
	v_mov_b32_dpp v3, v1 row_ror:4 row_mask:0xf bank_mask:0xf bound_ctrl:1
	v_mov_b32_dpp v4, v2 row_ror:4 row_mask:0xf bank_mask:0xf bound_ctrl:1
	v_mul_f64 v[1:2], v[1:2], v[3:4]
	s_nop 1
	v_mov_b32_dpp v3, v1 row_ror:8 row_mask:0xf bank_mask:0xf bound_ctrl:1
	v_mov_b32_dpp v4, v2 row_ror:8 row_mask:0xf bank_mask:0xf bound_ctrl:1
	v_mul_f64 v[1:2], v[1:2], v[3:4]
	s_nop 1
	v_mov_b32_dpp v3, v1 row_bcast:15 row_mask:0xf bank_mask:0xf bound_ctrl:1
	v_mov_b32_dpp v4, v2 row_bcast:15 row_mask:0xf bank_mask:0xf bound_ctrl:1
	v_mul_f64 v[1:2], v[1:2], v[3:4]
	s_nop 1
	v_mov_b32_dpp v3, v1 row_bcast:31 row_mask:0xf bank_mask:0xf bound_ctrl:1
	v_mov_b32_dpp v4, v2 row_bcast:31 row_mask:0xf bank_mask:0xf bound_ctrl:1
	v_mul_f64 v[3:4], v[1:2], v[3:4]
	v_mbcnt_lo_u32_b32 v1, -1, 0
	v_mbcnt_hi_u32_b32 v2, -1, v1
	v_lshlrev_b32_e32 v1, 2, v2
	v_or_b32_e32 v5, 0xfc, v1
	v_cmp_eq_u32_e32 vcc, 0, v2
	ds_bpermute_b32 v3, v5, v3
	ds_bpermute_b32 v4, v5, v4
	s_and_saveexec_b64 s[0:1], vcc
	s_cbranch_execz .LBB39_26
; %bb.25:
	v_lshrrev_b32_e32 v5, 3, v0
	v_and_b32_e32 v5, 24, v5
	s_waitcnt lgkmcnt(0)
	ds_write_b64 v5, v[3:4]
.LBB39_26:
	s_or_b64 exec, exec, s[0:1]
	v_cmp_gt_u32_e32 vcc, 64, v0
	s_waitcnt lgkmcnt(0)
	s_barrier
	s_and_saveexec_b64 s[0:1], vcc
	s_cbranch_execz .LBB39_28
; %bb.27:
	v_and_b32_e32 v5, 3, v2
	v_lshlrev_b32_e32 v3, 3, v5
	ds_read_b64 v[3:4], v3
	v_cmp_ne_u32_e32 vcc, 3, v5
	v_addc_co_u32_e32 v2, vcc, 0, v2, vcc
	v_lshlrev_b32_e32 v2, 2, v2
	s_waitcnt lgkmcnt(0)
	ds_bpermute_b32 v5, v2, v3
	ds_bpermute_b32 v6, v2, v4
	v_or_b32_e32 v1, 8, v1
	s_waitcnt lgkmcnt(0)
	v_mul_f64 v[2:3], v[3:4], v[5:6]
	ds_bpermute_b32 v4, v1, v2
	ds_bpermute_b32 v5, v1, v3
	s_waitcnt lgkmcnt(0)
	v_mul_f64 v[3:4], v[2:3], v[4:5]
.LBB39_28:
	s_or_b64 exec, exec, s[0:1]
	s_branch .LBB39_60
.LBB39_29:
                                        ; implicit-def: $vgpr3_vgpr4
	s_cbranch_execz .LBB39_60
; %bb.30:
	s_sub_i32 s8, s33, s26
	v_cmp_gt_u32_e32 vcc, s8, v0
                                        ; implicit-def: $vgpr1_vgpr2
	s_and_saveexec_b64 s[0:1], vcc
	s_cbranch_execz .LBB39_36
; %bb.31:
	v_add_u32_e32 v3, s26, v0
	v_ashrrev_i32_e32 v4, 31, v3
	v_lshlrev_b64 v[1:2], 3, v[3:4]
	v_mov_b32_e32 v4, s17
	v_add_co_u32_e32 v1, vcc, s16, v1
	v_addc_co_u32_e32 v2, vcc, v4, v2, vcc
	global_load_dwordx2 v[1:2], v[1:2], off
	v_add_u32_e32 v3, 0x100, v3
	v_cmp_gt_i32_e32 vcc, s33, v3
	s_and_saveexec_b64 s[2:3], vcc
	s_cbranch_execz .LBB39_35
; %bb.32:
	s_mov_b64 s[4:5], 0
	v_mov_b32_e32 v5, s17
.LBB39_33:                              ; =>This Inner Loop Header: Depth=1
	v_ashrrev_i32_e32 v4, 31, v3
	v_lshlrev_b64 v[6:7], 3, v[3:4]
	v_add_u32_e32 v3, 0x100, v3
	v_add_co_u32_e32 v6, vcc, s16, v6
	v_addc_co_u32_e32 v7, vcc, v5, v7, vcc
	global_load_dwordx2 v[6:7], v[6:7], off
	v_cmp_le_i32_e32 vcc, s33, v3
	s_or_b64 s[4:5], vcc, s[4:5]
	s_waitcnt vmcnt(0)
	v_mul_f64 v[1:2], v[1:2], v[6:7]
	s_andn2_b64 exec, exec, s[4:5]
	s_cbranch_execnz .LBB39_33
; %bb.34:
	s_or_b64 exec, exec, s[4:5]
.LBB39_35:
	s_or_b64 exec, exec, s[2:3]
.LBB39_36:
	s_or_b64 exec, exec, s[0:1]
	s_cmpk_lt_u32 s8, 0x100
	v_mbcnt_lo_u32_b32 v7, -1, 0
	s_cbranch_scc0 .LBB39_54
; %bb.37:
	v_mbcnt_hi_u32_b32 v8, -1, v7
	v_and_b32_e32 v10, 63, v8
	v_cmp_ne_u32_e32 vcc, 63, v10
	v_addc_co_u32_e32 v4, vcc, 0, v8, vcc
	v_lshlrev_b32_e32 v4, 2, v4
	s_waitcnt vmcnt(0)
	ds_bpermute_b32 v5, v4, v1
	ds_bpermute_b32 v6, v4, v2
	v_and_b32_e32 v3, 0xc0, v0
	v_sub_u32_e64 v9, s8, v3 clamp
	v_add_u32_e32 v3, 1, v10
	v_cmp_lt_u32_e32 vcc, v3, v9
	v_mov_b32_e32 v4, v2
	v_mov_b32_e32 v3, v1
	;; [unrolled: 1-line block ×4, first 2 shown]
	s_and_saveexec_b64 s[0:1], vcc
	s_cbranch_execz .LBB39_39
; %bb.38:
	s_waitcnt lgkmcnt(0)
	v_mul_f64 v[3:4], v[1:2], v[5:6]
	v_mov_b32_e32 v11, v4
	v_mov_b32_e32 v12, v3
.LBB39_39:
	s_or_b64 exec, exec, s[0:1]
	v_cmp_gt_u32_e32 vcc, 62, v10
	s_waitcnt lgkmcnt(1)
	v_cndmask_b32_e64 v5, 0, 2, vcc
	s_waitcnt lgkmcnt(0)
	v_add_lshl_u32 v6, v5, v8, 2
	ds_bpermute_b32 v5, v6, v12
	ds_bpermute_b32 v6, v6, v11
	v_add_u32_e32 v13, 2, v10
	v_cmp_lt_u32_e32 vcc, v13, v9
	s_and_saveexec_b64 s[0:1], vcc
	s_cbranch_execz .LBB39_41
; %bb.40:
	s_waitcnt lgkmcnt(0)
	v_mul_f64 v[3:4], v[3:4], v[5:6]
	v_mov_b32_e32 v11, v4
	v_mov_b32_e32 v12, v3
.LBB39_41:
	s_or_b64 exec, exec, s[0:1]
	v_cmp_gt_u32_e32 vcc, 60, v10
	s_waitcnt lgkmcnt(1)
	v_cndmask_b32_e64 v5, 0, 4, vcc
	s_waitcnt lgkmcnt(0)
	v_add_lshl_u32 v6, v5, v8, 2
	ds_bpermute_b32 v5, v6, v12
	ds_bpermute_b32 v6, v6, v11
	v_add_u32_e32 v13, 4, v10
	v_cmp_lt_u32_e32 vcc, v13, v9
	;; [unrolled: 18-line block ×4, first 2 shown]
	s_and_saveexec_b64 s[0:1], vcc
	s_cbranch_execz .LBB39_47
; %bb.46:
	s_waitcnt lgkmcnt(0)
	v_mul_f64 v[3:4], v[3:4], v[5:6]
	v_mov_b32_e32 v11, v4
	v_mov_b32_e32 v12, v3
.LBB39_47:
	s_or_b64 exec, exec, s[0:1]
	v_lshlrev_b32_e32 v13, 2, v8
	s_waitcnt lgkmcnt(0)
	v_or_b32_e32 v6, 0x80, v13
	ds_bpermute_b32 v5, v6, v12
	ds_bpermute_b32 v6, v6, v11
	v_add_u32_e32 v10, 32, v10
	v_cmp_lt_u32_e32 vcc, v10, v9
	s_waitcnt lgkmcnt(0)
	v_mul_f64 v[5:6], v[3:4], v[5:6]
	v_cndmask_b32_e32 v4, v4, v6, vcc
	v_cndmask_b32_e32 v3, v3, v5, vcc
	v_cmp_eq_u32_e32 vcc, 0, v8
	s_and_saveexec_b64 s[0:1], vcc
; %bb.48:
	v_lshrrev_b32_e32 v5, 3, v0
	v_and_b32_e32 v5, 24, v5
	ds_write_b64 v5, v[3:4]
; %bb.49:
	s_or_b64 exec, exec, s[0:1]
	v_cmp_gt_u32_e32 vcc, 4, v0
	s_waitcnt lgkmcnt(0)
	s_barrier
	s_and_saveexec_b64 s[0:1], vcc
	s_cbranch_execz .LBB39_53
; %bb.50:
	v_lshlrev_b32_e32 v3, 3, v8
	ds_read_b64 v[3:4], v3
	v_and_b32_e32 v9, 3, v8
	v_cmp_ne_u32_e32 vcc, 3, v9
	v_addc_co_u32_e32 v5, vcc, 0, v8, vcc
	v_lshlrev_b32_e32 v6, 2, v5
	s_waitcnt lgkmcnt(0)
	ds_bpermute_b32 v5, v6, v3
	ds_bpermute_b32 v6, v6, v4
	s_add_i32 s8, s8, 63
	s_lshr_b32 s4, s8, 6
	v_add_u32_e32 v8, 1, v9
	v_cmp_gt_u32_e32 vcc, s4, v8
	s_and_saveexec_b64 s[2:3], vcc
	s_cbranch_execz .LBB39_52
; %bb.51:
	s_waitcnt lgkmcnt(0)
	v_mul_f64 v[3:4], v[3:4], v[5:6]
.LBB39_52:
	s_or_b64 exec, exec, s[2:3]
	s_waitcnt lgkmcnt(0)
	v_or_b32_e32 v6, 8, v13
	ds_bpermute_b32 v5, v6, v3
	ds_bpermute_b32 v6, v6, v4
	v_add_u32_e32 v8, 2, v9
	v_cmp_gt_u32_e32 vcc, s4, v8
	s_waitcnt lgkmcnt(0)
	v_mul_f64 v[5:6], v[3:4], v[5:6]
	v_cndmask_b32_e32 v4, v4, v6, vcc
	v_cndmask_b32_e32 v3, v3, v5, vcc
.LBB39_53:
	s_or_b64 exec, exec, s[0:1]
	s_branch .LBB39_60
.LBB39_54:
                                        ; implicit-def: $vgpr3_vgpr4
	s_cbranch_execz .LBB39_60
; %bb.55:
	s_waitcnt vmcnt(0)
	v_mov_b32_dpp v3, v1 quad_perm:[1,0,3,2] row_mask:0xf bank_mask:0xf bound_ctrl:1
	v_mov_b32_dpp v4, v2 quad_perm:[1,0,3,2] row_mask:0xf bank_mask:0xf bound_ctrl:1
	v_mul_f64 v[1:2], v[1:2], v[3:4]
	s_nop 1
	v_mov_b32_dpp v3, v1 quad_perm:[2,3,0,1] row_mask:0xf bank_mask:0xf bound_ctrl:1
	v_mov_b32_dpp v4, v2 quad_perm:[2,3,0,1] row_mask:0xf bank_mask:0xf bound_ctrl:1
	v_mul_f64 v[1:2], v[1:2], v[3:4]
	s_nop 1
	v_mov_b32_dpp v3, v1 row_ror:4 row_mask:0xf bank_mask:0xf bound_ctrl:1
	v_mov_b32_dpp v4, v2 row_ror:4 row_mask:0xf bank_mask:0xf bound_ctrl:1
	v_mul_f64 v[1:2], v[1:2], v[3:4]
	s_nop 1
	v_mov_b32_dpp v3, v1 row_ror:8 row_mask:0xf bank_mask:0xf bound_ctrl:1
	v_mov_b32_dpp v4, v2 row_ror:8 row_mask:0xf bank_mask:0xf bound_ctrl:1
	v_mul_f64 v[1:2], v[1:2], v[3:4]
	s_nop 1
	v_mov_b32_dpp v3, v1 row_bcast:15 row_mask:0xf bank_mask:0xf bound_ctrl:1
	v_mov_b32_dpp v4, v2 row_bcast:15 row_mask:0xf bank_mask:0xf bound_ctrl:1
	v_mul_f64 v[1:2], v[1:2], v[3:4]
	s_nop 1
	v_mov_b32_dpp v3, v1 row_bcast:31 row_mask:0xf bank_mask:0xf bound_ctrl:1
	v_mov_b32_dpp v4, v2 row_bcast:31 row_mask:0xf bank_mask:0xf bound_ctrl:1
	v_mul_f64 v[3:4], v[1:2], v[3:4]
	v_mbcnt_hi_u32_b32 v2, -1, v7
	v_lshlrev_b32_e32 v1, 2, v2
	v_or_b32_e32 v5, 0xfc, v1
	v_cmp_eq_u32_e32 vcc, 0, v2
	ds_bpermute_b32 v3, v5, v3
	ds_bpermute_b32 v4, v5, v4
	s_and_saveexec_b64 s[0:1], vcc
	s_cbranch_execz .LBB39_57
; %bb.56:
	v_lshrrev_b32_e32 v5, 3, v0
	v_and_b32_e32 v5, 24, v5
	s_waitcnt lgkmcnt(0)
	ds_write_b64 v5, v[3:4]
.LBB39_57:
	s_or_b64 exec, exec, s[0:1]
	v_cmp_gt_u32_e32 vcc, 64, v0
	s_waitcnt lgkmcnt(0)
	s_barrier
	s_and_saveexec_b64 s[0:1], vcc
	s_cbranch_execz .LBB39_59
; %bb.58:
	v_and_b32_e32 v5, 3, v2
	v_lshlrev_b32_e32 v3, 3, v5
	ds_read_b64 v[3:4], v3
	v_cmp_ne_u32_e32 vcc, 3, v5
	v_addc_co_u32_e32 v2, vcc, 0, v2, vcc
	v_lshlrev_b32_e32 v2, 2, v2
	s_waitcnt lgkmcnt(0)
	ds_bpermute_b32 v5, v2, v3
	ds_bpermute_b32 v6, v2, v4
	v_or_b32_e32 v1, 8, v1
	s_waitcnt lgkmcnt(0)
	v_mul_f64 v[2:3], v[3:4], v[5:6]
	ds_bpermute_b32 v4, v1, v2
	ds_bpermute_b32 v5, v1, v3
	s_waitcnt lgkmcnt(0)
	v_mul_f64 v[3:4], v[2:3], v[4:5]
.LBB39_59:
	s_or_b64 exec, exec, s[0:1]
.LBB39_60:
	v_cmp_eq_u32_e32 vcc, 0, v0
                                        ; implicit-def: $vgpr1_vgpr2
	s_and_saveexec_b64 s[0:1], vcc
	s_cbranch_execz .LBB39_62
; %bb.61:
	s_waitcnt vmcnt(0)
	v_mul_f64 v[1:2], s[24:25], v[3:4]
	s_or_b64 s[22:23], s[22:23], exec
.LBB39_62:
	s_or_b64 exec, exec, s[0:1]
	s_and_saveexec_b64 s[0:1], s[22:23]
	s_cbranch_execz .LBB39_64
.LBB39_63:
	s_lshl_b64 s[0:1], s[20:21], 3
	s_add_u32 s2, s18, s0
	s_addc_u32 s3, s19, s1
	s_lshl_b64 s[0:1], s[6:7], 3
	s_add_u32 s0, s2, s0
	s_addc_u32 s1, s3, s1
	v_mov_b32_e32 v0, 0
	s_waitcnt vmcnt(0)
	global_store_dwordx2 v0, v[1:2], s[0:1]
.LBB39_64:
	s_endpgm
	.section	.rodata,"a",@progbits
	.p2align	6, 0x0
	.amdhsa_kernel _ZN7rocprim17ROCPRIM_400000_NS6detail17trampoline_kernelINS0_14default_configENS1_32segmented_reduce_config_selectorIdEEZNS1_21segmented_reduce_implIS3_PKdPdPKidN6hipcub16HIPCUB_304000_NS6detail27convert_result_type_wrapperIS8_S9_N2at6native12_GLOBAL__N_110CustomProdEEEEE10hipError_tPvRmT0_T1_jT2_SQ_T4_T3_P12ihipStream_tbEUlT_E_NS1_11comp_targetILNS1_3genE2ELNS1_11target_archE906ELNS1_3gpuE6ELNS1_3repE0EEENS1_30default_config_static_selectorELNS0_4arch9wavefront6targetE1EEEvSP_
		.amdhsa_group_segment_fixed_size 32
		.amdhsa_private_segment_fixed_size 0
		.amdhsa_kernarg_size 56
		.amdhsa_user_sgpr_count 6
		.amdhsa_user_sgpr_private_segment_buffer 1
		.amdhsa_user_sgpr_dispatch_ptr 0
		.amdhsa_user_sgpr_queue_ptr 0
		.amdhsa_user_sgpr_kernarg_segment_ptr 1
		.amdhsa_user_sgpr_dispatch_id 0
		.amdhsa_user_sgpr_flat_scratch_init 0
		.amdhsa_user_sgpr_private_segment_size 0
		.amdhsa_uses_dynamic_stack 0
		.amdhsa_system_sgpr_private_segment_wavefront_offset 0
		.amdhsa_system_sgpr_workgroup_id_x 1
		.amdhsa_system_sgpr_workgroup_id_y 0
		.amdhsa_system_sgpr_workgroup_id_z 0
		.amdhsa_system_sgpr_workgroup_info 0
		.amdhsa_system_vgpr_workitem_id 0
		.amdhsa_next_free_vgpr 24
		.amdhsa_next_free_sgpr 34
		.amdhsa_reserve_vcc 1
		.amdhsa_reserve_flat_scratch 0
		.amdhsa_float_round_mode_32 0
		.amdhsa_float_round_mode_16_64 0
		.amdhsa_float_denorm_mode_32 3
		.amdhsa_float_denorm_mode_16_64 3
		.amdhsa_dx10_clamp 1
		.amdhsa_ieee_mode 1
		.amdhsa_fp16_overflow 0
		.amdhsa_exception_fp_ieee_invalid_op 0
		.amdhsa_exception_fp_denorm_src 0
		.amdhsa_exception_fp_ieee_div_zero 0
		.amdhsa_exception_fp_ieee_overflow 0
		.amdhsa_exception_fp_ieee_underflow 0
		.amdhsa_exception_fp_ieee_inexact 0
		.amdhsa_exception_int_div_zero 0
	.end_amdhsa_kernel
	.section	.text._ZN7rocprim17ROCPRIM_400000_NS6detail17trampoline_kernelINS0_14default_configENS1_32segmented_reduce_config_selectorIdEEZNS1_21segmented_reduce_implIS3_PKdPdPKidN6hipcub16HIPCUB_304000_NS6detail27convert_result_type_wrapperIS8_S9_N2at6native12_GLOBAL__N_110CustomProdEEEEE10hipError_tPvRmT0_T1_jT2_SQ_T4_T3_P12ihipStream_tbEUlT_E_NS1_11comp_targetILNS1_3genE2ELNS1_11target_archE906ELNS1_3gpuE6ELNS1_3repE0EEENS1_30default_config_static_selectorELNS0_4arch9wavefront6targetE1EEEvSP_,"axG",@progbits,_ZN7rocprim17ROCPRIM_400000_NS6detail17trampoline_kernelINS0_14default_configENS1_32segmented_reduce_config_selectorIdEEZNS1_21segmented_reduce_implIS3_PKdPdPKidN6hipcub16HIPCUB_304000_NS6detail27convert_result_type_wrapperIS8_S9_N2at6native12_GLOBAL__N_110CustomProdEEEEE10hipError_tPvRmT0_T1_jT2_SQ_T4_T3_P12ihipStream_tbEUlT_E_NS1_11comp_targetILNS1_3genE2ELNS1_11target_archE906ELNS1_3gpuE6ELNS1_3repE0EEENS1_30default_config_static_selectorELNS0_4arch9wavefront6targetE1EEEvSP_,comdat
.Lfunc_end39:
	.size	_ZN7rocprim17ROCPRIM_400000_NS6detail17trampoline_kernelINS0_14default_configENS1_32segmented_reduce_config_selectorIdEEZNS1_21segmented_reduce_implIS3_PKdPdPKidN6hipcub16HIPCUB_304000_NS6detail27convert_result_type_wrapperIS8_S9_N2at6native12_GLOBAL__N_110CustomProdEEEEE10hipError_tPvRmT0_T1_jT2_SQ_T4_T3_P12ihipStream_tbEUlT_E_NS1_11comp_targetILNS1_3genE2ELNS1_11target_archE906ELNS1_3gpuE6ELNS1_3repE0EEENS1_30default_config_static_selectorELNS0_4arch9wavefront6targetE1EEEvSP_, .Lfunc_end39-_ZN7rocprim17ROCPRIM_400000_NS6detail17trampoline_kernelINS0_14default_configENS1_32segmented_reduce_config_selectorIdEEZNS1_21segmented_reduce_implIS3_PKdPdPKidN6hipcub16HIPCUB_304000_NS6detail27convert_result_type_wrapperIS8_S9_N2at6native12_GLOBAL__N_110CustomProdEEEEE10hipError_tPvRmT0_T1_jT2_SQ_T4_T3_P12ihipStream_tbEUlT_E_NS1_11comp_targetILNS1_3genE2ELNS1_11target_archE906ELNS1_3gpuE6ELNS1_3repE0EEENS1_30default_config_static_selectorELNS0_4arch9wavefront6targetE1EEEvSP_
                                        ; -- End function
	.set _ZN7rocprim17ROCPRIM_400000_NS6detail17trampoline_kernelINS0_14default_configENS1_32segmented_reduce_config_selectorIdEEZNS1_21segmented_reduce_implIS3_PKdPdPKidN6hipcub16HIPCUB_304000_NS6detail27convert_result_type_wrapperIS8_S9_N2at6native12_GLOBAL__N_110CustomProdEEEEE10hipError_tPvRmT0_T1_jT2_SQ_T4_T3_P12ihipStream_tbEUlT_E_NS1_11comp_targetILNS1_3genE2ELNS1_11target_archE906ELNS1_3gpuE6ELNS1_3repE0EEENS1_30default_config_static_selectorELNS0_4arch9wavefront6targetE1EEEvSP_.num_vgpr, 24
	.set _ZN7rocprim17ROCPRIM_400000_NS6detail17trampoline_kernelINS0_14default_configENS1_32segmented_reduce_config_selectorIdEEZNS1_21segmented_reduce_implIS3_PKdPdPKidN6hipcub16HIPCUB_304000_NS6detail27convert_result_type_wrapperIS8_S9_N2at6native12_GLOBAL__N_110CustomProdEEEEE10hipError_tPvRmT0_T1_jT2_SQ_T4_T3_P12ihipStream_tbEUlT_E_NS1_11comp_targetILNS1_3genE2ELNS1_11target_archE906ELNS1_3gpuE6ELNS1_3repE0EEENS1_30default_config_static_selectorELNS0_4arch9wavefront6targetE1EEEvSP_.num_agpr, 0
	.set _ZN7rocprim17ROCPRIM_400000_NS6detail17trampoline_kernelINS0_14default_configENS1_32segmented_reduce_config_selectorIdEEZNS1_21segmented_reduce_implIS3_PKdPdPKidN6hipcub16HIPCUB_304000_NS6detail27convert_result_type_wrapperIS8_S9_N2at6native12_GLOBAL__N_110CustomProdEEEEE10hipError_tPvRmT0_T1_jT2_SQ_T4_T3_P12ihipStream_tbEUlT_E_NS1_11comp_targetILNS1_3genE2ELNS1_11target_archE906ELNS1_3gpuE6ELNS1_3repE0EEENS1_30default_config_static_selectorELNS0_4arch9wavefront6targetE1EEEvSP_.numbered_sgpr, 34
	.set _ZN7rocprim17ROCPRIM_400000_NS6detail17trampoline_kernelINS0_14default_configENS1_32segmented_reduce_config_selectorIdEEZNS1_21segmented_reduce_implIS3_PKdPdPKidN6hipcub16HIPCUB_304000_NS6detail27convert_result_type_wrapperIS8_S9_N2at6native12_GLOBAL__N_110CustomProdEEEEE10hipError_tPvRmT0_T1_jT2_SQ_T4_T3_P12ihipStream_tbEUlT_E_NS1_11comp_targetILNS1_3genE2ELNS1_11target_archE906ELNS1_3gpuE6ELNS1_3repE0EEENS1_30default_config_static_selectorELNS0_4arch9wavefront6targetE1EEEvSP_.num_named_barrier, 0
	.set _ZN7rocprim17ROCPRIM_400000_NS6detail17trampoline_kernelINS0_14default_configENS1_32segmented_reduce_config_selectorIdEEZNS1_21segmented_reduce_implIS3_PKdPdPKidN6hipcub16HIPCUB_304000_NS6detail27convert_result_type_wrapperIS8_S9_N2at6native12_GLOBAL__N_110CustomProdEEEEE10hipError_tPvRmT0_T1_jT2_SQ_T4_T3_P12ihipStream_tbEUlT_E_NS1_11comp_targetILNS1_3genE2ELNS1_11target_archE906ELNS1_3gpuE6ELNS1_3repE0EEENS1_30default_config_static_selectorELNS0_4arch9wavefront6targetE1EEEvSP_.private_seg_size, 0
	.set _ZN7rocprim17ROCPRIM_400000_NS6detail17trampoline_kernelINS0_14default_configENS1_32segmented_reduce_config_selectorIdEEZNS1_21segmented_reduce_implIS3_PKdPdPKidN6hipcub16HIPCUB_304000_NS6detail27convert_result_type_wrapperIS8_S9_N2at6native12_GLOBAL__N_110CustomProdEEEEE10hipError_tPvRmT0_T1_jT2_SQ_T4_T3_P12ihipStream_tbEUlT_E_NS1_11comp_targetILNS1_3genE2ELNS1_11target_archE906ELNS1_3gpuE6ELNS1_3repE0EEENS1_30default_config_static_selectorELNS0_4arch9wavefront6targetE1EEEvSP_.uses_vcc, 1
	.set _ZN7rocprim17ROCPRIM_400000_NS6detail17trampoline_kernelINS0_14default_configENS1_32segmented_reduce_config_selectorIdEEZNS1_21segmented_reduce_implIS3_PKdPdPKidN6hipcub16HIPCUB_304000_NS6detail27convert_result_type_wrapperIS8_S9_N2at6native12_GLOBAL__N_110CustomProdEEEEE10hipError_tPvRmT0_T1_jT2_SQ_T4_T3_P12ihipStream_tbEUlT_E_NS1_11comp_targetILNS1_3genE2ELNS1_11target_archE906ELNS1_3gpuE6ELNS1_3repE0EEENS1_30default_config_static_selectorELNS0_4arch9wavefront6targetE1EEEvSP_.uses_flat_scratch, 0
	.set _ZN7rocprim17ROCPRIM_400000_NS6detail17trampoline_kernelINS0_14default_configENS1_32segmented_reduce_config_selectorIdEEZNS1_21segmented_reduce_implIS3_PKdPdPKidN6hipcub16HIPCUB_304000_NS6detail27convert_result_type_wrapperIS8_S9_N2at6native12_GLOBAL__N_110CustomProdEEEEE10hipError_tPvRmT0_T1_jT2_SQ_T4_T3_P12ihipStream_tbEUlT_E_NS1_11comp_targetILNS1_3genE2ELNS1_11target_archE906ELNS1_3gpuE6ELNS1_3repE0EEENS1_30default_config_static_selectorELNS0_4arch9wavefront6targetE1EEEvSP_.has_dyn_sized_stack, 0
	.set _ZN7rocprim17ROCPRIM_400000_NS6detail17trampoline_kernelINS0_14default_configENS1_32segmented_reduce_config_selectorIdEEZNS1_21segmented_reduce_implIS3_PKdPdPKidN6hipcub16HIPCUB_304000_NS6detail27convert_result_type_wrapperIS8_S9_N2at6native12_GLOBAL__N_110CustomProdEEEEE10hipError_tPvRmT0_T1_jT2_SQ_T4_T3_P12ihipStream_tbEUlT_E_NS1_11comp_targetILNS1_3genE2ELNS1_11target_archE906ELNS1_3gpuE6ELNS1_3repE0EEENS1_30default_config_static_selectorELNS0_4arch9wavefront6targetE1EEEvSP_.has_recursion, 0
	.set _ZN7rocprim17ROCPRIM_400000_NS6detail17trampoline_kernelINS0_14default_configENS1_32segmented_reduce_config_selectorIdEEZNS1_21segmented_reduce_implIS3_PKdPdPKidN6hipcub16HIPCUB_304000_NS6detail27convert_result_type_wrapperIS8_S9_N2at6native12_GLOBAL__N_110CustomProdEEEEE10hipError_tPvRmT0_T1_jT2_SQ_T4_T3_P12ihipStream_tbEUlT_E_NS1_11comp_targetILNS1_3genE2ELNS1_11target_archE906ELNS1_3gpuE6ELNS1_3repE0EEENS1_30default_config_static_selectorELNS0_4arch9wavefront6targetE1EEEvSP_.has_indirect_call, 0
	.section	.AMDGPU.csdata,"",@progbits
; Kernel info:
; codeLenInByte = 2844
; TotalNumSgprs: 38
; NumVgprs: 24
; ScratchSize: 0
; MemoryBound: 1
; FloatMode: 240
; IeeeMode: 1
; LDSByteSize: 32 bytes/workgroup (compile time only)
; SGPRBlocks: 4
; VGPRBlocks: 5
; NumSGPRsForWavesPerEU: 38
; NumVGPRsForWavesPerEU: 24
; Occupancy: 10
; WaveLimiterHint : 1
; COMPUTE_PGM_RSRC2:SCRATCH_EN: 0
; COMPUTE_PGM_RSRC2:USER_SGPR: 6
; COMPUTE_PGM_RSRC2:TRAP_HANDLER: 0
; COMPUTE_PGM_RSRC2:TGID_X_EN: 1
; COMPUTE_PGM_RSRC2:TGID_Y_EN: 0
; COMPUTE_PGM_RSRC2:TGID_Z_EN: 0
; COMPUTE_PGM_RSRC2:TIDIG_COMP_CNT: 0
	.section	.text._ZN7rocprim17ROCPRIM_400000_NS6detail17trampoline_kernelINS0_14default_configENS1_32segmented_reduce_config_selectorIdEEZNS1_21segmented_reduce_implIS3_PKdPdPKidN6hipcub16HIPCUB_304000_NS6detail27convert_result_type_wrapperIS8_S9_N2at6native12_GLOBAL__N_110CustomProdEEEEE10hipError_tPvRmT0_T1_jT2_SQ_T4_T3_P12ihipStream_tbEUlT_E_NS1_11comp_targetILNS1_3genE9ELNS1_11target_archE1100ELNS1_3gpuE3ELNS1_3repE0EEENS1_30default_config_static_selectorELNS0_4arch9wavefront6targetE1EEEvSP_,"axG",@progbits,_ZN7rocprim17ROCPRIM_400000_NS6detail17trampoline_kernelINS0_14default_configENS1_32segmented_reduce_config_selectorIdEEZNS1_21segmented_reduce_implIS3_PKdPdPKidN6hipcub16HIPCUB_304000_NS6detail27convert_result_type_wrapperIS8_S9_N2at6native12_GLOBAL__N_110CustomProdEEEEE10hipError_tPvRmT0_T1_jT2_SQ_T4_T3_P12ihipStream_tbEUlT_E_NS1_11comp_targetILNS1_3genE9ELNS1_11target_archE1100ELNS1_3gpuE3ELNS1_3repE0EEENS1_30default_config_static_selectorELNS0_4arch9wavefront6targetE1EEEvSP_,comdat
	.globl	_ZN7rocprim17ROCPRIM_400000_NS6detail17trampoline_kernelINS0_14default_configENS1_32segmented_reduce_config_selectorIdEEZNS1_21segmented_reduce_implIS3_PKdPdPKidN6hipcub16HIPCUB_304000_NS6detail27convert_result_type_wrapperIS8_S9_N2at6native12_GLOBAL__N_110CustomProdEEEEE10hipError_tPvRmT0_T1_jT2_SQ_T4_T3_P12ihipStream_tbEUlT_E_NS1_11comp_targetILNS1_3genE9ELNS1_11target_archE1100ELNS1_3gpuE3ELNS1_3repE0EEENS1_30default_config_static_selectorELNS0_4arch9wavefront6targetE1EEEvSP_ ; -- Begin function _ZN7rocprim17ROCPRIM_400000_NS6detail17trampoline_kernelINS0_14default_configENS1_32segmented_reduce_config_selectorIdEEZNS1_21segmented_reduce_implIS3_PKdPdPKidN6hipcub16HIPCUB_304000_NS6detail27convert_result_type_wrapperIS8_S9_N2at6native12_GLOBAL__N_110CustomProdEEEEE10hipError_tPvRmT0_T1_jT2_SQ_T4_T3_P12ihipStream_tbEUlT_E_NS1_11comp_targetILNS1_3genE9ELNS1_11target_archE1100ELNS1_3gpuE3ELNS1_3repE0EEENS1_30default_config_static_selectorELNS0_4arch9wavefront6targetE1EEEvSP_
	.p2align	8
	.type	_ZN7rocprim17ROCPRIM_400000_NS6detail17trampoline_kernelINS0_14default_configENS1_32segmented_reduce_config_selectorIdEEZNS1_21segmented_reduce_implIS3_PKdPdPKidN6hipcub16HIPCUB_304000_NS6detail27convert_result_type_wrapperIS8_S9_N2at6native12_GLOBAL__N_110CustomProdEEEEE10hipError_tPvRmT0_T1_jT2_SQ_T4_T3_P12ihipStream_tbEUlT_E_NS1_11comp_targetILNS1_3genE9ELNS1_11target_archE1100ELNS1_3gpuE3ELNS1_3repE0EEENS1_30default_config_static_selectorELNS0_4arch9wavefront6targetE1EEEvSP_,@function
_ZN7rocprim17ROCPRIM_400000_NS6detail17trampoline_kernelINS0_14default_configENS1_32segmented_reduce_config_selectorIdEEZNS1_21segmented_reduce_implIS3_PKdPdPKidN6hipcub16HIPCUB_304000_NS6detail27convert_result_type_wrapperIS8_S9_N2at6native12_GLOBAL__N_110CustomProdEEEEE10hipError_tPvRmT0_T1_jT2_SQ_T4_T3_P12ihipStream_tbEUlT_E_NS1_11comp_targetILNS1_3genE9ELNS1_11target_archE1100ELNS1_3gpuE3ELNS1_3repE0EEENS1_30default_config_static_selectorELNS0_4arch9wavefront6targetE1EEEvSP_: ; @_ZN7rocprim17ROCPRIM_400000_NS6detail17trampoline_kernelINS0_14default_configENS1_32segmented_reduce_config_selectorIdEEZNS1_21segmented_reduce_implIS3_PKdPdPKidN6hipcub16HIPCUB_304000_NS6detail27convert_result_type_wrapperIS8_S9_N2at6native12_GLOBAL__N_110CustomProdEEEEE10hipError_tPvRmT0_T1_jT2_SQ_T4_T3_P12ihipStream_tbEUlT_E_NS1_11comp_targetILNS1_3genE9ELNS1_11target_archE1100ELNS1_3gpuE3ELNS1_3repE0EEENS1_30default_config_static_selectorELNS0_4arch9wavefront6targetE1EEEvSP_
; %bb.0:
	.section	.rodata,"a",@progbits
	.p2align	6, 0x0
	.amdhsa_kernel _ZN7rocprim17ROCPRIM_400000_NS6detail17trampoline_kernelINS0_14default_configENS1_32segmented_reduce_config_selectorIdEEZNS1_21segmented_reduce_implIS3_PKdPdPKidN6hipcub16HIPCUB_304000_NS6detail27convert_result_type_wrapperIS8_S9_N2at6native12_GLOBAL__N_110CustomProdEEEEE10hipError_tPvRmT0_T1_jT2_SQ_T4_T3_P12ihipStream_tbEUlT_E_NS1_11comp_targetILNS1_3genE9ELNS1_11target_archE1100ELNS1_3gpuE3ELNS1_3repE0EEENS1_30default_config_static_selectorELNS0_4arch9wavefront6targetE1EEEvSP_
		.amdhsa_group_segment_fixed_size 0
		.amdhsa_private_segment_fixed_size 0
		.amdhsa_kernarg_size 56
		.amdhsa_user_sgpr_count 6
		.amdhsa_user_sgpr_private_segment_buffer 1
		.amdhsa_user_sgpr_dispatch_ptr 0
		.amdhsa_user_sgpr_queue_ptr 0
		.amdhsa_user_sgpr_kernarg_segment_ptr 1
		.amdhsa_user_sgpr_dispatch_id 0
		.amdhsa_user_sgpr_flat_scratch_init 0
		.amdhsa_user_sgpr_private_segment_size 0
		.amdhsa_uses_dynamic_stack 0
		.amdhsa_system_sgpr_private_segment_wavefront_offset 0
		.amdhsa_system_sgpr_workgroup_id_x 1
		.amdhsa_system_sgpr_workgroup_id_y 0
		.amdhsa_system_sgpr_workgroup_id_z 0
		.amdhsa_system_sgpr_workgroup_info 0
		.amdhsa_system_vgpr_workitem_id 0
		.amdhsa_next_free_vgpr 1
		.amdhsa_next_free_sgpr 0
		.amdhsa_reserve_vcc 0
		.amdhsa_reserve_flat_scratch 0
		.amdhsa_float_round_mode_32 0
		.amdhsa_float_round_mode_16_64 0
		.amdhsa_float_denorm_mode_32 3
		.amdhsa_float_denorm_mode_16_64 3
		.amdhsa_dx10_clamp 1
		.amdhsa_ieee_mode 1
		.amdhsa_fp16_overflow 0
		.amdhsa_exception_fp_ieee_invalid_op 0
		.amdhsa_exception_fp_denorm_src 0
		.amdhsa_exception_fp_ieee_div_zero 0
		.amdhsa_exception_fp_ieee_overflow 0
		.amdhsa_exception_fp_ieee_underflow 0
		.amdhsa_exception_fp_ieee_inexact 0
		.amdhsa_exception_int_div_zero 0
	.end_amdhsa_kernel
	.section	.text._ZN7rocprim17ROCPRIM_400000_NS6detail17trampoline_kernelINS0_14default_configENS1_32segmented_reduce_config_selectorIdEEZNS1_21segmented_reduce_implIS3_PKdPdPKidN6hipcub16HIPCUB_304000_NS6detail27convert_result_type_wrapperIS8_S9_N2at6native12_GLOBAL__N_110CustomProdEEEEE10hipError_tPvRmT0_T1_jT2_SQ_T4_T3_P12ihipStream_tbEUlT_E_NS1_11comp_targetILNS1_3genE9ELNS1_11target_archE1100ELNS1_3gpuE3ELNS1_3repE0EEENS1_30default_config_static_selectorELNS0_4arch9wavefront6targetE1EEEvSP_,"axG",@progbits,_ZN7rocprim17ROCPRIM_400000_NS6detail17trampoline_kernelINS0_14default_configENS1_32segmented_reduce_config_selectorIdEEZNS1_21segmented_reduce_implIS3_PKdPdPKidN6hipcub16HIPCUB_304000_NS6detail27convert_result_type_wrapperIS8_S9_N2at6native12_GLOBAL__N_110CustomProdEEEEE10hipError_tPvRmT0_T1_jT2_SQ_T4_T3_P12ihipStream_tbEUlT_E_NS1_11comp_targetILNS1_3genE9ELNS1_11target_archE1100ELNS1_3gpuE3ELNS1_3repE0EEENS1_30default_config_static_selectorELNS0_4arch9wavefront6targetE1EEEvSP_,comdat
.Lfunc_end40:
	.size	_ZN7rocprim17ROCPRIM_400000_NS6detail17trampoline_kernelINS0_14default_configENS1_32segmented_reduce_config_selectorIdEEZNS1_21segmented_reduce_implIS3_PKdPdPKidN6hipcub16HIPCUB_304000_NS6detail27convert_result_type_wrapperIS8_S9_N2at6native12_GLOBAL__N_110CustomProdEEEEE10hipError_tPvRmT0_T1_jT2_SQ_T4_T3_P12ihipStream_tbEUlT_E_NS1_11comp_targetILNS1_3genE9ELNS1_11target_archE1100ELNS1_3gpuE3ELNS1_3repE0EEENS1_30default_config_static_selectorELNS0_4arch9wavefront6targetE1EEEvSP_, .Lfunc_end40-_ZN7rocprim17ROCPRIM_400000_NS6detail17trampoline_kernelINS0_14default_configENS1_32segmented_reduce_config_selectorIdEEZNS1_21segmented_reduce_implIS3_PKdPdPKidN6hipcub16HIPCUB_304000_NS6detail27convert_result_type_wrapperIS8_S9_N2at6native12_GLOBAL__N_110CustomProdEEEEE10hipError_tPvRmT0_T1_jT2_SQ_T4_T3_P12ihipStream_tbEUlT_E_NS1_11comp_targetILNS1_3genE9ELNS1_11target_archE1100ELNS1_3gpuE3ELNS1_3repE0EEENS1_30default_config_static_selectorELNS0_4arch9wavefront6targetE1EEEvSP_
                                        ; -- End function
	.set _ZN7rocprim17ROCPRIM_400000_NS6detail17trampoline_kernelINS0_14default_configENS1_32segmented_reduce_config_selectorIdEEZNS1_21segmented_reduce_implIS3_PKdPdPKidN6hipcub16HIPCUB_304000_NS6detail27convert_result_type_wrapperIS8_S9_N2at6native12_GLOBAL__N_110CustomProdEEEEE10hipError_tPvRmT0_T1_jT2_SQ_T4_T3_P12ihipStream_tbEUlT_E_NS1_11comp_targetILNS1_3genE9ELNS1_11target_archE1100ELNS1_3gpuE3ELNS1_3repE0EEENS1_30default_config_static_selectorELNS0_4arch9wavefront6targetE1EEEvSP_.num_vgpr, 0
	.set _ZN7rocprim17ROCPRIM_400000_NS6detail17trampoline_kernelINS0_14default_configENS1_32segmented_reduce_config_selectorIdEEZNS1_21segmented_reduce_implIS3_PKdPdPKidN6hipcub16HIPCUB_304000_NS6detail27convert_result_type_wrapperIS8_S9_N2at6native12_GLOBAL__N_110CustomProdEEEEE10hipError_tPvRmT0_T1_jT2_SQ_T4_T3_P12ihipStream_tbEUlT_E_NS1_11comp_targetILNS1_3genE9ELNS1_11target_archE1100ELNS1_3gpuE3ELNS1_3repE0EEENS1_30default_config_static_selectorELNS0_4arch9wavefront6targetE1EEEvSP_.num_agpr, 0
	.set _ZN7rocprim17ROCPRIM_400000_NS6detail17trampoline_kernelINS0_14default_configENS1_32segmented_reduce_config_selectorIdEEZNS1_21segmented_reduce_implIS3_PKdPdPKidN6hipcub16HIPCUB_304000_NS6detail27convert_result_type_wrapperIS8_S9_N2at6native12_GLOBAL__N_110CustomProdEEEEE10hipError_tPvRmT0_T1_jT2_SQ_T4_T3_P12ihipStream_tbEUlT_E_NS1_11comp_targetILNS1_3genE9ELNS1_11target_archE1100ELNS1_3gpuE3ELNS1_3repE0EEENS1_30default_config_static_selectorELNS0_4arch9wavefront6targetE1EEEvSP_.numbered_sgpr, 0
	.set _ZN7rocprim17ROCPRIM_400000_NS6detail17trampoline_kernelINS0_14default_configENS1_32segmented_reduce_config_selectorIdEEZNS1_21segmented_reduce_implIS3_PKdPdPKidN6hipcub16HIPCUB_304000_NS6detail27convert_result_type_wrapperIS8_S9_N2at6native12_GLOBAL__N_110CustomProdEEEEE10hipError_tPvRmT0_T1_jT2_SQ_T4_T3_P12ihipStream_tbEUlT_E_NS1_11comp_targetILNS1_3genE9ELNS1_11target_archE1100ELNS1_3gpuE3ELNS1_3repE0EEENS1_30default_config_static_selectorELNS0_4arch9wavefront6targetE1EEEvSP_.num_named_barrier, 0
	.set _ZN7rocprim17ROCPRIM_400000_NS6detail17trampoline_kernelINS0_14default_configENS1_32segmented_reduce_config_selectorIdEEZNS1_21segmented_reduce_implIS3_PKdPdPKidN6hipcub16HIPCUB_304000_NS6detail27convert_result_type_wrapperIS8_S9_N2at6native12_GLOBAL__N_110CustomProdEEEEE10hipError_tPvRmT0_T1_jT2_SQ_T4_T3_P12ihipStream_tbEUlT_E_NS1_11comp_targetILNS1_3genE9ELNS1_11target_archE1100ELNS1_3gpuE3ELNS1_3repE0EEENS1_30default_config_static_selectorELNS0_4arch9wavefront6targetE1EEEvSP_.private_seg_size, 0
	.set _ZN7rocprim17ROCPRIM_400000_NS6detail17trampoline_kernelINS0_14default_configENS1_32segmented_reduce_config_selectorIdEEZNS1_21segmented_reduce_implIS3_PKdPdPKidN6hipcub16HIPCUB_304000_NS6detail27convert_result_type_wrapperIS8_S9_N2at6native12_GLOBAL__N_110CustomProdEEEEE10hipError_tPvRmT0_T1_jT2_SQ_T4_T3_P12ihipStream_tbEUlT_E_NS1_11comp_targetILNS1_3genE9ELNS1_11target_archE1100ELNS1_3gpuE3ELNS1_3repE0EEENS1_30default_config_static_selectorELNS0_4arch9wavefront6targetE1EEEvSP_.uses_vcc, 0
	.set _ZN7rocprim17ROCPRIM_400000_NS6detail17trampoline_kernelINS0_14default_configENS1_32segmented_reduce_config_selectorIdEEZNS1_21segmented_reduce_implIS3_PKdPdPKidN6hipcub16HIPCUB_304000_NS6detail27convert_result_type_wrapperIS8_S9_N2at6native12_GLOBAL__N_110CustomProdEEEEE10hipError_tPvRmT0_T1_jT2_SQ_T4_T3_P12ihipStream_tbEUlT_E_NS1_11comp_targetILNS1_3genE9ELNS1_11target_archE1100ELNS1_3gpuE3ELNS1_3repE0EEENS1_30default_config_static_selectorELNS0_4arch9wavefront6targetE1EEEvSP_.uses_flat_scratch, 0
	.set _ZN7rocprim17ROCPRIM_400000_NS6detail17trampoline_kernelINS0_14default_configENS1_32segmented_reduce_config_selectorIdEEZNS1_21segmented_reduce_implIS3_PKdPdPKidN6hipcub16HIPCUB_304000_NS6detail27convert_result_type_wrapperIS8_S9_N2at6native12_GLOBAL__N_110CustomProdEEEEE10hipError_tPvRmT0_T1_jT2_SQ_T4_T3_P12ihipStream_tbEUlT_E_NS1_11comp_targetILNS1_3genE9ELNS1_11target_archE1100ELNS1_3gpuE3ELNS1_3repE0EEENS1_30default_config_static_selectorELNS0_4arch9wavefront6targetE1EEEvSP_.has_dyn_sized_stack, 0
	.set _ZN7rocprim17ROCPRIM_400000_NS6detail17trampoline_kernelINS0_14default_configENS1_32segmented_reduce_config_selectorIdEEZNS1_21segmented_reduce_implIS3_PKdPdPKidN6hipcub16HIPCUB_304000_NS6detail27convert_result_type_wrapperIS8_S9_N2at6native12_GLOBAL__N_110CustomProdEEEEE10hipError_tPvRmT0_T1_jT2_SQ_T4_T3_P12ihipStream_tbEUlT_E_NS1_11comp_targetILNS1_3genE9ELNS1_11target_archE1100ELNS1_3gpuE3ELNS1_3repE0EEENS1_30default_config_static_selectorELNS0_4arch9wavefront6targetE1EEEvSP_.has_recursion, 0
	.set _ZN7rocprim17ROCPRIM_400000_NS6detail17trampoline_kernelINS0_14default_configENS1_32segmented_reduce_config_selectorIdEEZNS1_21segmented_reduce_implIS3_PKdPdPKidN6hipcub16HIPCUB_304000_NS6detail27convert_result_type_wrapperIS8_S9_N2at6native12_GLOBAL__N_110CustomProdEEEEE10hipError_tPvRmT0_T1_jT2_SQ_T4_T3_P12ihipStream_tbEUlT_E_NS1_11comp_targetILNS1_3genE9ELNS1_11target_archE1100ELNS1_3gpuE3ELNS1_3repE0EEENS1_30default_config_static_selectorELNS0_4arch9wavefront6targetE1EEEvSP_.has_indirect_call, 0
	.section	.AMDGPU.csdata,"",@progbits
; Kernel info:
; codeLenInByte = 0
; TotalNumSgprs: 4
; NumVgprs: 0
; ScratchSize: 0
; MemoryBound: 0
; FloatMode: 240
; IeeeMode: 1
; LDSByteSize: 0 bytes/workgroup (compile time only)
; SGPRBlocks: 0
; VGPRBlocks: 0
; NumSGPRsForWavesPerEU: 4
; NumVGPRsForWavesPerEU: 1
; Occupancy: 10
; WaveLimiterHint : 0
; COMPUTE_PGM_RSRC2:SCRATCH_EN: 0
; COMPUTE_PGM_RSRC2:USER_SGPR: 6
; COMPUTE_PGM_RSRC2:TRAP_HANDLER: 0
; COMPUTE_PGM_RSRC2:TGID_X_EN: 1
; COMPUTE_PGM_RSRC2:TGID_Y_EN: 0
; COMPUTE_PGM_RSRC2:TGID_Z_EN: 0
; COMPUTE_PGM_RSRC2:TIDIG_COMP_CNT: 0
	.section	.text._ZN7rocprim17ROCPRIM_400000_NS6detail17trampoline_kernelINS0_14default_configENS1_32segmented_reduce_config_selectorIdEEZNS1_21segmented_reduce_implIS3_PKdPdPKidN6hipcub16HIPCUB_304000_NS6detail27convert_result_type_wrapperIS8_S9_N2at6native12_GLOBAL__N_110CustomProdEEEEE10hipError_tPvRmT0_T1_jT2_SQ_T4_T3_P12ihipStream_tbEUlT_E_NS1_11comp_targetILNS1_3genE8ELNS1_11target_archE1030ELNS1_3gpuE2ELNS1_3repE0EEENS1_30default_config_static_selectorELNS0_4arch9wavefront6targetE1EEEvSP_,"axG",@progbits,_ZN7rocprim17ROCPRIM_400000_NS6detail17trampoline_kernelINS0_14default_configENS1_32segmented_reduce_config_selectorIdEEZNS1_21segmented_reduce_implIS3_PKdPdPKidN6hipcub16HIPCUB_304000_NS6detail27convert_result_type_wrapperIS8_S9_N2at6native12_GLOBAL__N_110CustomProdEEEEE10hipError_tPvRmT0_T1_jT2_SQ_T4_T3_P12ihipStream_tbEUlT_E_NS1_11comp_targetILNS1_3genE8ELNS1_11target_archE1030ELNS1_3gpuE2ELNS1_3repE0EEENS1_30default_config_static_selectorELNS0_4arch9wavefront6targetE1EEEvSP_,comdat
	.globl	_ZN7rocprim17ROCPRIM_400000_NS6detail17trampoline_kernelINS0_14default_configENS1_32segmented_reduce_config_selectorIdEEZNS1_21segmented_reduce_implIS3_PKdPdPKidN6hipcub16HIPCUB_304000_NS6detail27convert_result_type_wrapperIS8_S9_N2at6native12_GLOBAL__N_110CustomProdEEEEE10hipError_tPvRmT0_T1_jT2_SQ_T4_T3_P12ihipStream_tbEUlT_E_NS1_11comp_targetILNS1_3genE8ELNS1_11target_archE1030ELNS1_3gpuE2ELNS1_3repE0EEENS1_30default_config_static_selectorELNS0_4arch9wavefront6targetE1EEEvSP_ ; -- Begin function _ZN7rocprim17ROCPRIM_400000_NS6detail17trampoline_kernelINS0_14default_configENS1_32segmented_reduce_config_selectorIdEEZNS1_21segmented_reduce_implIS3_PKdPdPKidN6hipcub16HIPCUB_304000_NS6detail27convert_result_type_wrapperIS8_S9_N2at6native12_GLOBAL__N_110CustomProdEEEEE10hipError_tPvRmT0_T1_jT2_SQ_T4_T3_P12ihipStream_tbEUlT_E_NS1_11comp_targetILNS1_3genE8ELNS1_11target_archE1030ELNS1_3gpuE2ELNS1_3repE0EEENS1_30default_config_static_selectorELNS0_4arch9wavefront6targetE1EEEvSP_
	.p2align	8
	.type	_ZN7rocprim17ROCPRIM_400000_NS6detail17trampoline_kernelINS0_14default_configENS1_32segmented_reduce_config_selectorIdEEZNS1_21segmented_reduce_implIS3_PKdPdPKidN6hipcub16HIPCUB_304000_NS6detail27convert_result_type_wrapperIS8_S9_N2at6native12_GLOBAL__N_110CustomProdEEEEE10hipError_tPvRmT0_T1_jT2_SQ_T4_T3_P12ihipStream_tbEUlT_E_NS1_11comp_targetILNS1_3genE8ELNS1_11target_archE1030ELNS1_3gpuE2ELNS1_3repE0EEENS1_30default_config_static_selectorELNS0_4arch9wavefront6targetE1EEEvSP_,@function
_ZN7rocprim17ROCPRIM_400000_NS6detail17trampoline_kernelINS0_14default_configENS1_32segmented_reduce_config_selectorIdEEZNS1_21segmented_reduce_implIS3_PKdPdPKidN6hipcub16HIPCUB_304000_NS6detail27convert_result_type_wrapperIS8_S9_N2at6native12_GLOBAL__N_110CustomProdEEEEE10hipError_tPvRmT0_T1_jT2_SQ_T4_T3_P12ihipStream_tbEUlT_E_NS1_11comp_targetILNS1_3genE8ELNS1_11target_archE1030ELNS1_3gpuE2ELNS1_3repE0EEENS1_30default_config_static_selectorELNS0_4arch9wavefront6targetE1EEEvSP_: ; @_ZN7rocprim17ROCPRIM_400000_NS6detail17trampoline_kernelINS0_14default_configENS1_32segmented_reduce_config_selectorIdEEZNS1_21segmented_reduce_implIS3_PKdPdPKidN6hipcub16HIPCUB_304000_NS6detail27convert_result_type_wrapperIS8_S9_N2at6native12_GLOBAL__N_110CustomProdEEEEE10hipError_tPvRmT0_T1_jT2_SQ_T4_T3_P12ihipStream_tbEUlT_E_NS1_11comp_targetILNS1_3genE8ELNS1_11target_archE1030ELNS1_3gpuE2ELNS1_3repE0EEENS1_30default_config_static_selectorELNS0_4arch9wavefront6targetE1EEEvSP_
; %bb.0:
	.section	.rodata,"a",@progbits
	.p2align	6, 0x0
	.amdhsa_kernel _ZN7rocprim17ROCPRIM_400000_NS6detail17trampoline_kernelINS0_14default_configENS1_32segmented_reduce_config_selectorIdEEZNS1_21segmented_reduce_implIS3_PKdPdPKidN6hipcub16HIPCUB_304000_NS6detail27convert_result_type_wrapperIS8_S9_N2at6native12_GLOBAL__N_110CustomProdEEEEE10hipError_tPvRmT0_T1_jT2_SQ_T4_T3_P12ihipStream_tbEUlT_E_NS1_11comp_targetILNS1_3genE8ELNS1_11target_archE1030ELNS1_3gpuE2ELNS1_3repE0EEENS1_30default_config_static_selectorELNS0_4arch9wavefront6targetE1EEEvSP_
		.amdhsa_group_segment_fixed_size 0
		.amdhsa_private_segment_fixed_size 0
		.amdhsa_kernarg_size 56
		.amdhsa_user_sgpr_count 6
		.amdhsa_user_sgpr_private_segment_buffer 1
		.amdhsa_user_sgpr_dispatch_ptr 0
		.amdhsa_user_sgpr_queue_ptr 0
		.amdhsa_user_sgpr_kernarg_segment_ptr 1
		.amdhsa_user_sgpr_dispatch_id 0
		.amdhsa_user_sgpr_flat_scratch_init 0
		.amdhsa_user_sgpr_private_segment_size 0
		.amdhsa_uses_dynamic_stack 0
		.amdhsa_system_sgpr_private_segment_wavefront_offset 0
		.amdhsa_system_sgpr_workgroup_id_x 1
		.amdhsa_system_sgpr_workgroup_id_y 0
		.amdhsa_system_sgpr_workgroup_id_z 0
		.amdhsa_system_sgpr_workgroup_info 0
		.amdhsa_system_vgpr_workitem_id 0
		.amdhsa_next_free_vgpr 1
		.amdhsa_next_free_sgpr 0
		.amdhsa_reserve_vcc 0
		.amdhsa_reserve_flat_scratch 0
		.amdhsa_float_round_mode_32 0
		.amdhsa_float_round_mode_16_64 0
		.amdhsa_float_denorm_mode_32 3
		.amdhsa_float_denorm_mode_16_64 3
		.amdhsa_dx10_clamp 1
		.amdhsa_ieee_mode 1
		.amdhsa_fp16_overflow 0
		.amdhsa_exception_fp_ieee_invalid_op 0
		.amdhsa_exception_fp_denorm_src 0
		.amdhsa_exception_fp_ieee_div_zero 0
		.amdhsa_exception_fp_ieee_overflow 0
		.amdhsa_exception_fp_ieee_underflow 0
		.amdhsa_exception_fp_ieee_inexact 0
		.amdhsa_exception_int_div_zero 0
	.end_amdhsa_kernel
	.section	.text._ZN7rocprim17ROCPRIM_400000_NS6detail17trampoline_kernelINS0_14default_configENS1_32segmented_reduce_config_selectorIdEEZNS1_21segmented_reduce_implIS3_PKdPdPKidN6hipcub16HIPCUB_304000_NS6detail27convert_result_type_wrapperIS8_S9_N2at6native12_GLOBAL__N_110CustomProdEEEEE10hipError_tPvRmT0_T1_jT2_SQ_T4_T3_P12ihipStream_tbEUlT_E_NS1_11comp_targetILNS1_3genE8ELNS1_11target_archE1030ELNS1_3gpuE2ELNS1_3repE0EEENS1_30default_config_static_selectorELNS0_4arch9wavefront6targetE1EEEvSP_,"axG",@progbits,_ZN7rocprim17ROCPRIM_400000_NS6detail17trampoline_kernelINS0_14default_configENS1_32segmented_reduce_config_selectorIdEEZNS1_21segmented_reduce_implIS3_PKdPdPKidN6hipcub16HIPCUB_304000_NS6detail27convert_result_type_wrapperIS8_S9_N2at6native12_GLOBAL__N_110CustomProdEEEEE10hipError_tPvRmT0_T1_jT2_SQ_T4_T3_P12ihipStream_tbEUlT_E_NS1_11comp_targetILNS1_3genE8ELNS1_11target_archE1030ELNS1_3gpuE2ELNS1_3repE0EEENS1_30default_config_static_selectorELNS0_4arch9wavefront6targetE1EEEvSP_,comdat
.Lfunc_end41:
	.size	_ZN7rocprim17ROCPRIM_400000_NS6detail17trampoline_kernelINS0_14default_configENS1_32segmented_reduce_config_selectorIdEEZNS1_21segmented_reduce_implIS3_PKdPdPKidN6hipcub16HIPCUB_304000_NS6detail27convert_result_type_wrapperIS8_S9_N2at6native12_GLOBAL__N_110CustomProdEEEEE10hipError_tPvRmT0_T1_jT2_SQ_T4_T3_P12ihipStream_tbEUlT_E_NS1_11comp_targetILNS1_3genE8ELNS1_11target_archE1030ELNS1_3gpuE2ELNS1_3repE0EEENS1_30default_config_static_selectorELNS0_4arch9wavefront6targetE1EEEvSP_, .Lfunc_end41-_ZN7rocprim17ROCPRIM_400000_NS6detail17trampoline_kernelINS0_14default_configENS1_32segmented_reduce_config_selectorIdEEZNS1_21segmented_reduce_implIS3_PKdPdPKidN6hipcub16HIPCUB_304000_NS6detail27convert_result_type_wrapperIS8_S9_N2at6native12_GLOBAL__N_110CustomProdEEEEE10hipError_tPvRmT0_T1_jT2_SQ_T4_T3_P12ihipStream_tbEUlT_E_NS1_11comp_targetILNS1_3genE8ELNS1_11target_archE1030ELNS1_3gpuE2ELNS1_3repE0EEENS1_30default_config_static_selectorELNS0_4arch9wavefront6targetE1EEEvSP_
                                        ; -- End function
	.set _ZN7rocprim17ROCPRIM_400000_NS6detail17trampoline_kernelINS0_14default_configENS1_32segmented_reduce_config_selectorIdEEZNS1_21segmented_reduce_implIS3_PKdPdPKidN6hipcub16HIPCUB_304000_NS6detail27convert_result_type_wrapperIS8_S9_N2at6native12_GLOBAL__N_110CustomProdEEEEE10hipError_tPvRmT0_T1_jT2_SQ_T4_T3_P12ihipStream_tbEUlT_E_NS1_11comp_targetILNS1_3genE8ELNS1_11target_archE1030ELNS1_3gpuE2ELNS1_3repE0EEENS1_30default_config_static_selectorELNS0_4arch9wavefront6targetE1EEEvSP_.num_vgpr, 0
	.set _ZN7rocprim17ROCPRIM_400000_NS6detail17trampoline_kernelINS0_14default_configENS1_32segmented_reduce_config_selectorIdEEZNS1_21segmented_reduce_implIS3_PKdPdPKidN6hipcub16HIPCUB_304000_NS6detail27convert_result_type_wrapperIS8_S9_N2at6native12_GLOBAL__N_110CustomProdEEEEE10hipError_tPvRmT0_T1_jT2_SQ_T4_T3_P12ihipStream_tbEUlT_E_NS1_11comp_targetILNS1_3genE8ELNS1_11target_archE1030ELNS1_3gpuE2ELNS1_3repE0EEENS1_30default_config_static_selectorELNS0_4arch9wavefront6targetE1EEEvSP_.num_agpr, 0
	.set _ZN7rocprim17ROCPRIM_400000_NS6detail17trampoline_kernelINS0_14default_configENS1_32segmented_reduce_config_selectorIdEEZNS1_21segmented_reduce_implIS3_PKdPdPKidN6hipcub16HIPCUB_304000_NS6detail27convert_result_type_wrapperIS8_S9_N2at6native12_GLOBAL__N_110CustomProdEEEEE10hipError_tPvRmT0_T1_jT2_SQ_T4_T3_P12ihipStream_tbEUlT_E_NS1_11comp_targetILNS1_3genE8ELNS1_11target_archE1030ELNS1_3gpuE2ELNS1_3repE0EEENS1_30default_config_static_selectorELNS0_4arch9wavefront6targetE1EEEvSP_.numbered_sgpr, 0
	.set _ZN7rocprim17ROCPRIM_400000_NS6detail17trampoline_kernelINS0_14default_configENS1_32segmented_reduce_config_selectorIdEEZNS1_21segmented_reduce_implIS3_PKdPdPKidN6hipcub16HIPCUB_304000_NS6detail27convert_result_type_wrapperIS8_S9_N2at6native12_GLOBAL__N_110CustomProdEEEEE10hipError_tPvRmT0_T1_jT2_SQ_T4_T3_P12ihipStream_tbEUlT_E_NS1_11comp_targetILNS1_3genE8ELNS1_11target_archE1030ELNS1_3gpuE2ELNS1_3repE0EEENS1_30default_config_static_selectorELNS0_4arch9wavefront6targetE1EEEvSP_.num_named_barrier, 0
	.set _ZN7rocprim17ROCPRIM_400000_NS6detail17trampoline_kernelINS0_14default_configENS1_32segmented_reduce_config_selectorIdEEZNS1_21segmented_reduce_implIS3_PKdPdPKidN6hipcub16HIPCUB_304000_NS6detail27convert_result_type_wrapperIS8_S9_N2at6native12_GLOBAL__N_110CustomProdEEEEE10hipError_tPvRmT0_T1_jT2_SQ_T4_T3_P12ihipStream_tbEUlT_E_NS1_11comp_targetILNS1_3genE8ELNS1_11target_archE1030ELNS1_3gpuE2ELNS1_3repE0EEENS1_30default_config_static_selectorELNS0_4arch9wavefront6targetE1EEEvSP_.private_seg_size, 0
	.set _ZN7rocprim17ROCPRIM_400000_NS6detail17trampoline_kernelINS0_14default_configENS1_32segmented_reduce_config_selectorIdEEZNS1_21segmented_reduce_implIS3_PKdPdPKidN6hipcub16HIPCUB_304000_NS6detail27convert_result_type_wrapperIS8_S9_N2at6native12_GLOBAL__N_110CustomProdEEEEE10hipError_tPvRmT0_T1_jT2_SQ_T4_T3_P12ihipStream_tbEUlT_E_NS1_11comp_targetILNS1_3genE8ELNS1_11target_archE1030ELNS1_3gpuE2ELNS1_3repE0EEENS1_30default_config_static_selectorELNS0_4arch9wavefront6targetE1EEEvSP_.uses_vcc, 0
	.set _ZN7rocprim17ROCPRIM_400000_NS6detail17trampoline_kernelINS0_14default_configENS1_32segmented_reduce_config_selectorIdEEZNS1_21segmented_reduce_implIS3_PKdPdPKidN6hipcub16HIPCUB_304000_NS6detail27convert_result_type_wrapperIS8_S9_N2at6native12_GLOBAL__N_110CustomProdEEEEE10hipError_tPvRmT0_T1_jT2_SQ_T4_T3_P12ihipStream_tbEUlT_E_NS1_11comp_targetILNS1_3genE8ELNS1_11target_archE1030ELNS1_3gpuE2ELNS1_3repE0EEENS1_30default_config_static_selectorELNS0_4arch9wavefront6targetE1EEEvSP_.uses_flat_scratch, 0
	.set _ZN7rocprim17ROCPRIM_400000_NS6detail17trampoline_kernelINS0_14default_configENS1_32segmented_reduce_config_selectorIdEEZNS1_21segmented_reduce_implIS3_PKdPdPKidN6hipcub16HIPCUB_304000_NS6detail27convert_result_type_wrapperIS8_S9_N2at6native12_GLOBAL__N_110CustomProdEEEEE10hipError_tPvRmT0_T1_jT2_SQ_T4_T3_P12ihipStream_tbEUlT_E_NS1_11comp_targetILNS1_3genE8ELNS1_11target_archE1030ELNS1_3gpuE2ELNS1_3repE0EEENS1_30default_config_static_selectorELNS0_4arch9wavefront6targetE1EEEvSP_.has_dyn_sized_stack, 0
	.set _ZN7rocprim17ROCPRIM_400000_NS6detail17trampoline_kernelINS0_14default_configENS1_32segmented_reduce_config_selectorIdEEZNS1_21segmented_reduce_implIS3_PKdPdPKidN6hipcub16HIPCUB_304000_NS6detail27convert_result_type_wrapperIS8_S9_N2at6native12_GLOBAL__N_110CustomProdEEEEE10hipError_tPvRmT0_T1_jT2_SQ_T4_T3_P12ihipStream_tbEUlT_E_NS1_11comp_targetILNS1_3genE8ELNS1_11target_archE1030ELNS1_3gpuE2ELNS1_3repE0EEENS1_30default_config_static_selectorELNS0_4arch9wavefront6targetE1EEEvSP_.has_recursion, 0
	.set _ZN7rocprim17ROCPRIM_400000_NS6detail17trampoline_kernelINS0_14default_configENS1_32segmented_reduce_config_selectorIdEEZNS1_21segmented_reduce_implIS3_PKdPdPKidN6hipcub16HIPCUB_304000_NS6detail27convert_result_type_wrapperIS8_S9_N2at6native12_GLOBAL__N_110CustomProdEEEEE10hipError_tPvRmT0_T1_jT2_SQ_T4_T3_P12ihipStream_tbEUlT_E_NS1_11comp_targetILNS1_3genE8ELNS1_11target_archE1030ELNS1_3gpuE2ELNS1_3repE0EEENS1_30default_config_static_selectorELNS0_4arch9wavefront6targetE1EEEvSP_.has_indirect_call, 0
	.section	.AMDGPU.csdata,"",@progbits
; Kernel info:
; codeLenInByte = 0
; TotalNumSgprs: 4
; NumVgprs: 0
; ScratchSize: 0
; MemoryBound: 0
; FloatMode: 240
; IeeeMode: 1
; LDSByteSize: 0 bytes/workgroup (compile time only)
; SGPRBlocks: 0
; VGPRBlocks: 0
; NumSGPRsForWavesPerEU: 4
; NumVGPRsForWavesPerEU: 1
; Occupancy: 10
; WaveLimiterHint : 0
; COMPUTE_PGM_RSRC2:SCRATCH_EN: 0
; COMPUTE_PGM_RSRC2:USER_SGPR: 6
; COMPUTE_PGM_RSRC2:TRAP_HANDLER: 0
; COMPUTE_PGM_RSRC2:TGID_X_EN: 1
; COMPUTE_PGM_RSRC2:TGID_Y_EN: 0
; COMPUTE_PGM_RSRC2:TGID_Z_EN: 0
; COMPUTE_PGM_RSRC2:TIDIG_COMP_CNT: 0
	.section	.text._ZN2at6native12_GLOBAL__N_129segment_reduce_forward_kernelIfiEEvNS0_13ReductionTypeEPT_PKS4_PKT0_SA_llbS4_lllllll,"axG",@progbits,_ZN2at6native12_GLOBAL__N_129segment_reduce_forward_kernelIfiEEvNS0_13ReductionTypeEPT_PKS4_PKT0_SA_llbS4_lllllll,comdat
	.globl	_ZN2at6native12_GLOBAL__N_129segment_reduce_forward_kernelIfiEEvNS0_13ReductionTypeEPT_PKS4_PKT0_SA_llbS4_lllllll ; -- Begin function _ZN2at6native12_GLOBAL__N_129segment_reduce_forward_kernelIfiEEvNS0_13ReductionTypeEPT_PKS4_PKT0_SA_llbS4_lllllll
	.p2align	8
	.type	_ZN2at6native12_GLOBAL__N_129segment_reduce_forward_kernelIfiEEvNS0_13ReductionTypeEPT_PKS4_PKT0_SA_llbS4_lllllll,@function
_ZN2at6native12_GLOBAL__N_129segment_reduce_forward_kernelIfiEEvNS0_13ReductionTypeEPT_PKS4_PKT0_SA_llbS4_lllllll: ; @_ZN2at6native12_GLOBAL__N_129segment_reduce_forward_kernelIfiEEvNS0_13ReductionTypeEPT_PKS4_PKT0_SA_llbS4_lllllll
; %bb.0:
	s_load_dword s0, s[4:5], 0x84
	s_load_dwordx4 s[36:39], s[4:5], 0x28
	s_load_dwordx8 s[24:31], s[4:5], 0x40
	v_mov_b32_e32 v2, 0
	v_mov_b32_e32 v1, v2
	s_waitcnt lgkmcnt(0)
	s_and_b32 s0, s0, 0xffff
	v_mov_b32_e32 v3, s6
	v_mad_u64_u32 v[0:1], s[0:1], s0, v3, v[0:1]
	s_mul_i32 s0, s24, s37
	s_mul_hi_u32 s1, s24, s36
	s_add_i32 s0, s1, s0
	s_mul_i32 s1, s25, s36
	s_mul_i32 s2, s24, s36
	s_add_i32 s0, s0, s1
	s_mul_i32 s1, s2, s27
	s_mul_hi_u32 s3, s2, s26
	s_add_i32 s1, s3, s1
	s_mul_i32 s0, s0, s26
	s_add_i32 s1, s1, s0
	s_mul_i32 s0, s2, s26
	v_cmp_gt_i64_e32 vcc, s[0:1], v[0:1]
	s_and_saveexec_b64 s[0:1], vcc
	s_cbranch_execz .LBB42_35
; %bb.1:
	v_or_b32_e32 v3, s27, v1
	v_cmp_ne_u64_e32 vcc, 0, v[2:3]
                                        ; implicit-def: $vgpr6_vgpr7
	s_and_saveexec_b64 s[0:1], vcc
	s_xor_b64 s[2:3], exec, s[0:1]
	s_cbranch_execz .LBB42_3
; %bb.2:
	s_ashr_i32 s6, s27, 31
	s_add_u32 s0, s26, s6
	s_mov_b32 s7, s6
	s_addc_u32 s1, s27, s6
	s_xor_b64 s[8:9], s[0:1], s[6:7]
	v_cvt_f32_u32_e32 v2, s8
	v_cvt_f32_u32_e32 v3, s9
	s_sub_u32 s7, 0, s8
	s_subb_u32 s10, 0, s9
	v_ashrrev_i32_e32 v6, 31, v1
	v_madmk_f32 v2, v3, 0x4f800000, v2
	v_rcp_f32_e32 v2, v2
	v_mul_f32_e32 v2, 0x5f7ffffc, v2
	v_mul_f32_e32 v3, 0x2f800000, v2
	v_trunc_f32_e32 v3, v3
	v_madmk_f32 v2, v3, 0xcf800000, v2
	v_cvt_u32_f32_e32 v3, v3
	v_cvt_u32_f32_e32 v2, v2
	v_readfirstlane_b32 s11, v3
	v_readfirstlane_b32 s0, v2
	s_mul_i32 s1, s7, s11
	s_mul_hi_u32 s13, s7, s0
	s_mul_i32 s12, s10, s0
	s_add_i32 s1, s13, s1
	s_add_i32 s1, s1, s12
	s_mul_i32 s14, s7, s0
	s_mul_i32 s13, s0, s1
	s_mul_hi_u32 s15, s0, s14
	s_mul_hi_u32 s12, s0, s1
	s_add_u32 s13, s15, s13
	s_addc_u32 s12, 0, s12
	s_mul_hi_u32 s16, s11, s14
	s_mul_i32 s14, s11, s14
	s_add_u32 s13, s13, s14
	s_mul_hi_u32 s15, s11, s1
	s_addc_u32 s12, s12, s16
	s_addc_u32 s13, s15, 0
	s_mul_i32 s1, s11, s1
	s_add_u32 s1, s12, s1
	s_addc_u32 s12, 0, s13
	s_add_u32 s13, s0, s1
	s_cselect_b64 s[0:1], -1, 0
	s_cmp_lg_u64 s[0:1], 0
	s_addc_u32 s11, s11, s12
	s_mul_i32 s0, s7, s11
	s_mul_hi_u32 s1, s7, s13
	s_add_i32 s0, s1, s0
	s_mul_i32 s10, s10, s13
	s_add_i32 s0, s0, s10
	s_mul_i32 s7, s7, s13
	s_mul_hi_u32 s10, s11, s7
	s_mul_i32 s12, s11, s7
	s_mul_i32 s15, s13, s0
	s_mul_hi_u32 s7, s13, s7
	s_mul_hi_u32 s14, s13, s0
	s_add_u32 s7, s7, s15
	s_addc_u32 s14, 0, s14
	s_add_u32 s7, s7, s12
	s_mul_hi_u32 s1, s11, s0
	s_addc_u32 s7, s14, s10
	s_addc_u32 s1, s1, 0
	s_mul_i32 s0, s11, s0
	s_add_u32 s0, s7, s0
	s_addc_u32 s7, 0, s1
	s_add_u32 s10, s13, s0
	s_cselect_b64 s[0:1], -1, 0
	s_cmp_lg_u64 s[0:1], 0
	v_add_co_u32_e32 v2, vcc, v0, v6
	s_addc_u32 s7, s11, s7
	v_xor_b32_e32 v7, v2, v6
	v_mad_u64_u32 v[2:3], s[0:1], v7, s7, 0
	v_mul_hi_u32 v5, v7, s10
	v_addc_co_u32_e32 v4, vcc, v1, v6, vcc
	v_xor_b32_e32 v8, v4, v6
	v_add_co_u32_e32 v9, vcc, v5, v2
	v_addc_co_u32_e32 v10, vcc, 0, v3, vcc
	v_mad_u64_u32 v[2:3], s[0:1], v8, s10, 0
	v_mad_u64_u32 v[4:5], s[0:1], v8, s7, 0
	v_add_co_u32_e32 v2, vcc, v9, v2
	v_addc_co_u32_e32 v2, vcc, v10, v3, vcc
	v_addc_co_u32_e32 v3, vcc, 0, v5, vcc
	v_add_co_u32_e32 v4, vcc, v2, v4
	v_addc_co_u32_e32 v5, vcc, 0, v3, vcc
	v_mul_lo_u32 v9, s9, v4
	v_mul_lo_u32 v10, s8, v5
	v_mad_u64_u32 v[2:3], s[0:1], s8, v4, 0
	v_add3_u32 v3, v3, v10, v9
	v_sub_u32_e32 v9, v8, v3
	v_mov_b32_e32 v10, s9
	v_sub_co_u32_e32 v2, vcc, v7, v2
	v_subb_co_u32_e64 v7, s[0:1], v9, v10, vcc
	v_subrev_co_u32_e64 v9, s[0:1], s8, v2
	v_subbrev_co_u32_e64 v7, s[0:1], 0, v7, s[0:1]
	v_cmp_le_u32_e64 s[0:1], s9, v7
	v_cndmask_b32_e64 v10, 0, -1, s[0:1]
	v_cmp_le_u32_e64 s[0:1], s8, v9
	v_cndmask_b32_e64 v9, 0, -1, s[0:1]
	v_cmp_eq_u32_e64 s[0:1], s9, v7
	v_cndmask_b32_e64 v7, v10, v9, s[0:1]
	v_add_co_u32_e64 v9, s[0:1], 2, v4
	v_subb_co_u32_e32 v3, vcc, v8, v3, vcc
	v_addc_co_u32_e64 v10, s[0:1], 0, v5, s[0:1]
	v_cmp_le_u32_e32 vcc, s9, v3
	v_add_co_u32_e64 v11, s[0:1], 1, v4
	v_cndmask_b32_e64 v8, 0, -1, vcc
	v_cmp_le_u32_e32 vcc, s8, v2
	v_addc_co_u32_e64 v12, s[0:1], 0, v5, s[0:1]
	v_cndmask_b32_e64 v2, 0, -1, vcc
	v_cmp_eq_u32_e32 vcc, s9, v3
	v_cmp_ne_u32_e64 s[0:1], 0, v7
	v_cndmask_b32_e32 v2, v8, v2, vcc
	v_cmp_ne_u32_e32 vcc, 0, v2
	v_cndmask_b32_e64 v3, v11, v9, s[0:1]
	v_cndmask_b32_e64 v7, v12, v10, s[0:1]
	v_cndmask_b32_e32 v3, v4, v3, vcc
	v_xor_b32_e32 v4, s6, v6
	v_cndmask_b32_e32 v2, v5, v7, vcc
	v_xor_b32_e32 v3, v3, v4
	v_xor_b32_e32 v2, v2, v4
	v_sub_co_u32_e32 v6, vcc, v3, v4
	v_subb_co_u32_e32 v7, vcc, v2, v4, vcc
.LBB42_3:
	s_or_saveexec_b64 s[0:1], s[2:3]
	s_load_dwordx8 s[8:15], s[4:5], 0x8
	s_load_dwordx8 s[16:23], s[4:5], 0x60
	s_xor_b64 exec, exec, s[0:1]
	s_cbranch_execz .LBB42_5
; %bb.4:
	v_cvt_f32_u32_e32 v2, s26
	s_sub_i32 s2, 0, s26
	v_mov_b32_e32 v7, 0
	v_rcp_iflag_f32_e32 v2, v2
	v_mul_f32_e32 v2, 0x4f7ffffe, v2
	v_cvt_u32_f32_e32 v2, v2
	v_mul_lo_u32 v3, s2, v2
	v_mul_hi_u32 v3, v2, v3
	v_add_u32_e32 v2, v2, v3
	v_mul_hi_u32 v2, v0, v2
	v_mul_lo_u32 v3, v2, s26
	v_add_u32_e32 v4, 1, v2
	v_sub_u32_e32 v3, v0, v3
	v_subrev_u32_e32 v5, s26, v3
	v_cmp_le_u32_e32 vcc, s26, v3
	v_cndmask_b32_e32 v3, v3, v5, vcc
	v_cndmask_b32_e32 v2, v2, v4, vcc
	v_add_u32_e32 v4, 1, v2
	v_cmp_le_u32_e32 vcc, s26, v3
	v_cndmask_b32_e32 v6, v2, v4, vcc
.LBB42_5:
	s_or_b64 exec, exec, s[0:1]
	v_or_b32_e32 v3, s37, v7
	v_mov_b32_e32 v2, 0
	v_cmp_ne_u64_e32 vcc, 0, v[2:3]
                                        ; implicit-def: $vgpr2_vgpr3
	s_and_saveexec_b64 s[0:1], vcc
	s_xor_b64 s[2:3], exec, s[0:1]
	s_cbranch_execz .LBB42_7
; %bb.6:
	s_ashr_i32 s6, s37, 31
	s_add_u32 s0, s36, s6
	s_mov_b32 s7, s6
	s_addc_u32 s1, s37, s6
	s_waitcnt lgkmcnt(0)
	s_xor_b64 s[22:23], s[0:1], s[6:7]
	v_cvt_f32_u32_e32 v2, s22
	v_cvt_f32_u32_e32 v3, s23
	s_sub_u32 s7, 0, s22
	s_subb_u32 s24, 0, s23
	v_ashrrev_i32_e32 v8, 31, v7
	v_madmk_f32 v2, v3, 0x4f800000, v2
	v_rcp_f32_e32 v2, v2
	v_mul_f32_e32 v2, 0x5f7ffffc, v2
	v_mul_f32_e32 v3, 0x2f800000, v2
	v_trunc_f32_e32 v3, v3
	v_madmk_f32 v2, v3, 0xcf800000, v2
	v_cvt_u32_f32_e32 v3, v3
	v_cvt_u32_f32_e32 v2, v2
	v_readfirstlane_b32 s25, v3
	v_readfirstlane_b32 s0, v2
	s_mul_i32 s1, s7, s25
	s_mul_hi_u32 s34, s7, s0
	s_mul_i32 s33, s24, s0
	s_add_i32 s1, s34, s1
	s_add_i32 s1, s1, s33
	s_mul_i32 s35, s7, s0
	s_mul_i32 s34, s0, s1
	s_mul_hi_u32 s40, s0, s35
	s_mul_hi_u32 s33, s0, s1
	s_add_u32 s34, s40, s34
	s_addc_u32 s33, 0, s33
	s_mul_hi_u32 s41, s25, s35
	s_mul_i32 s35, s25, s35
	s_add_u32 s34, s34, s35
	s_mul_hi_u32 s40, s25, s1
	s_addc_u32 s33, s33, s41
	s_addc_u32 s34, s40, 0
	s_mul_i32 s1, s25, s1
	s_add_u32 s1, s33, s1
	s_addc_u32 s33, 0, s34
	s_add_u32 s34, s0, s1
	s_cselect_b64 s[0:1], -1, 0
	s_cmp_lg_u64 s[0:1], 0
	s_addc_u32 s25, s25, s33
	s_mul_i32 s0, s7, s25
	s_mul_hi_u32 s1, s7, s34
	s_add_i32 s0, s1, s0
	s_mul_i32 s24, s24, s34
	s_add_i32 s0, s0, s24
	s_mul_i32 s7, s7, s34
	s_mul_hi_u32 s24, s25, s7
	s_mul_i32 s33, s25, s7
	s_mul_i32 s40, s34, s0
	s_mul_hi_u32 s7, s34, s7
	s_mul_hi_u32 s35, s34, s0
	s_add_u32 s7, s7, s40
	s_addc_u32 s35, 0, s35
	s_add_u32 s7, s7, s33
	s_mul_hi_u32 s1, s25, s0
	s_addc_u32 s7, s35, s24
	s_addc_u32 s1, s1, 0
	s_mul_i32 s0, s25, s0
	s_add_u32 s0, s7, s0
	s_addc_u32 s7, 0, s1
	s_add_u32 s24, s34, s0
	s_cselect_b64 s[0:1], -1, 0
	s_cmp_lg_u64 s[0:1], 0
	v_add_co_u32_e32 v2, vcc, v6, v8
	s_addc_u32 s7, s25, s7
	v_xor_b32_e32 v9, v2, v8
	v_mad_u64_u32 v[2:3], s[0:1], v9, s7, 0
	v_mul_hi_u32 v5, v9, s24
	v_addc_co_u32_e32 v4, vcc, v7, v8, vcc
	v_xor_b32_e32 v10, v4, v8
	v_add_co_u32_e32 v11, vcc, v5, v2
	v_addc_co_u32_e32 v12, vcc, 0, v3, vcc
	v_mad_u64_u32 v[2:3], s[0:1], v10, s24, 0
	v_mad_u64_u32 v[4:5], s[0:1], v10, s7, 0
	v_add_co_u32_e32 v2, vcc, v11, v2
	v_addc_co_u32_e32 v2, vcc, v12, v3, vcc
	v_addc_co_u32_e32 v3, vcc, 0, v5, vcc
	v_add_co_u32_e32 v4, vcc, v2, v4
	v_addc_co_u32_e32 v5, vcc, 0, v3, vcc
	v_mul_lo_u32 v11, s23, v4
	v_mul_lo_u32 v12, s22, v5
	v_mad_u64_u32 v[2:3], s[0:1], s22, v4, 0
	v_add3_u32 v3, v3, v12, v11
	v_sub_u32_e32 v11, v10, v3
	v_mov_b32_e32 v12, s23
	v_sub_co_u32_e32 v2, vcc, v9, v2
	v_subb_co_u32_e64 v9, s[0:1], v11, v12, vcc
	v_subrev_co_u32_e64 v11, s[0:1], s22, v2
	v_subbrev_co_u32_e64 v9, s[0:1], 0, v9, s[0:1]
	v_cmp_le_u32_e64 s[0:1], s23, v9
	v_cndmask_b32_e64 v12, 0, -1, s[0:1]
	v_cmp_le_u32_e64 s[0:1], s22, v11
	v_cndmask_b32_e64 v11, 0, -1, s[0:1]
	v_cmp_eq_u32_e64 s[0:1], s23, v9
	v_cndmask_b32_e64 v9, v12, v11, s[0:1]
	v_add_co_u32_e64 v11, s[0:1], 2, v4
	v_subb_co_u32_e32 v3, vcc, v10, v3, vcc
	v_addc_co_u32_e64 v12, s[0:1], 0, v5, s[0:1]
	v_cmp_le_u32_e32 vcc, s23, v3
	v_add_co_u32_e64 v13, s[0:1], 1, v4
	v_cndmask_b32_e64 v10, 0, -1, vcc
	v_cmp_le_u32_e32 vcc, s22, v2
	v_addc_co_u32_e64 v14, s[0:1], 0, v5, s[0:1]
	v_cndmask_b32_e64 v2, 0, -1, vcc
	v_cmp_eq_u32_e32 vcc, s23, v3
	v_cmp_ne_u32_e64 s[0:1], 0, v9
	v_cndmask_b32_e32 v2, v10, v2, vcc
	v_cndmask_b32_e64 v9, v14, v12, s[0:1]
	v_cmp_ne_u32_e32 vcc, 0, v2
	v_cndmask_b32_e64 v3, v13, v11, s[0:1]
	v_cndmask_b32_e32 v2, v5, v9, vcc
	v_cndmask_b32_e32 v3, v4, v3, vcc
	v_xor_b32_e32 v4, s6, v8
	v_xor_b32_e32 v5, v2, v4
	;; [unrolled: 1-line block ×3, first 2 shown]
	v_sub_co_u32_e32 v2, vcc, v2, v4
	v_subb_co_u32_e32 v3, vcc, v5, v4, vcc
.LBB42_7:
	s_andn2_saveexec_b64 s[0:1], s[2:3]
	s_cbranch_execz .LBB42_9
; %bb.8:
	v_cvt_f32_u32_e32 v2, s36
	s_sub_i32 s2, 0, s36
	v_rcp_iflag_f32_e32 v2, v2
	v_mul_f32_e32 v2, 0x4f7ffffe, v2
	v_cvt_u32_f32_e32 v2, v2
	v_mul_lo_u32 v3, s2, v2
	v_mul_hi_u32 v3, v2, v3
	v_add_u32_e32 v2, v2, v3
	v_mul_hi_u32 v2, v6, v2
	v_mul_lo_u32 v3, v2, s36
	v_add_u32_e32 v4, 1, v2
	v_sub_u32_e32 v3, v6, v3
	v_subrev_u32_e32 v5, s36, v3
	v_cmp_le_u32_e32 vcc, s36, v3
	v_cndmask_b32_e32 v3, v3, v5, vcc
	v_cndmask_b32_e32 v2, v2, v4, vcc
	v_add_u32_e32 v4, 1, v2
	v_cmp_le_u32_e32 vcc, s36, v3
	v_cndmask_b32_e32 v2, v2, v4, vcc
	v_mov_b32_e32 v3, 0
.LBB42_9:
	s_or_b64 exec, exec, s[0:1]
	v_mad_u64_u32 v[8:9], s[0:1], v2, s36, 0
	s_add_u32 s0, s36, 1
	s_addc_u32 s1, s37, 0
	s_waitcnt lgkmcnt(0)
	s_mul_i32 s1, s20, s1
	s_mul_hi_u32 s2, s20, s0
	s_add_i32 s1, s2, s1
	s_mul_i32 s2, s21, s0
	s_add_i32 s1, s1, s2
	s_mul_i32 s0, s20, s0
	v_mul_lo_u32 v12, s1, v2
	v_mul_lo_u32 v13, s0, v3
	v_mad_u64_u32 v[10:11], s[0:1], s0, v2, 0
	v_mul_lo_u32 v4, v3, s36
	v_mul_lo_u32 v5, v2, s37
	v_add3_u32 v11, v11, v13, v12
	v_lshlrev_b64 v[10:11], 2, v[10:11]
	v_mov_b32_e32 v12, s15
	v_add3_u32 v9, v9, v5, v4
	v_sub_co_u32_e32 v4, vcc, v6, v8
	v_subb_co_u32_e32 v5, vcc, v7, v9, vcc
	v_add_co_u32_e32 v13, vcc, s14, v10
	v_addc_co_u32_e32 v14, vcc, v12, v11, vcc
	v_lshlrev_b64 v[10:11], 2, v[4:5]
	v_mul_lo_u32 v15, v6, s27
	v_add_co_u32_e32 v12, vcc, v13, v10
	v_addc_co_u32_e32 v13, vcc, v14, v11, vcc
	global_load_dwordx2 v[12:13], v[12:13], off
	v_mul_lo_u32 v14, v7, s26
	v_mad_u64_u32 v[6:7], s[0:1], v6, s26, 0
	s_load_dwordx2 s[2:3], s[4:5], 0x38
	s_load_dword s22, s[4:5], 0x0
	v_add3_u32 v7, v7, v15, v14
	s_waitcnt lgkmcnt(0)
	v_mov_b32_e32 v16, s3
	s_waitcnt vmcnt(0)
	v_cmp_lt_i32_e32 vcc, v12, v13
	s_and_saveexec_b64 s[4:5], vcc
	s_cbranch_execz .LBB42_28
; %bb.10:
	v_mul_lo_u32 v16, v3, s30
	v_mul_lo_u32 v17, v2, s31
	v_mad_u64_u32 v[14:15], s[0:1], v2, s30, 0
	s_cmp_lg_u32 s22, 0
	s_cselect_b64 s[6:7], -1, 0
	v_add3_u32 v15, v15, v17, v16
	v_ashrrev_i32_e32 v17, 31, v12
	v_mov_b32_e32 v16, v12
	v_lshlrev_b64 v[14:15], 2, v[14:15]
	v_lshlrev_b64 v[16:17], 2, v[16:17]
	v_add_co_u32_e32 v16, vcc, v14, v16
	v_addc_co_u32_e32 v17, vcc, v15, v17, vcc
	v_lshlrev_b64 v[14:15], 2, v[0:1]
	v_mul_lo_u32 v17, s28, v17
	v_mul_lo_u32 v18, s29, v16
	v_mad_u64_u32 v[14:15], s[0:1], s28, v16, v[14:15]
	s_and_b32 s0, s22, -3
	s_cmp_lg_u32 s0, 1
	v_add3_u32 v17, v18, v15, v17
	v_lshlrev_b64 v[15:16], 2, v[6:7]
	s_cselect_b64 s[14:15], -1, 0
	v_sub_co_u32_e32 v14, vcc, v14, v15
	v_subb_co_u32_e32 v15, vcc, v17, v16, vcc
	v_mov_b32_e32 v16, s11
	v_add_co_u32_e32 v14, vcc, s10, v14
	v_addc_co_u32_e32 v15, vcc, v16, v15, vcc
	s_lshl_b64 s[20:21], s[28:29], 2
	s_mov_b64 s[10:11], 0
	v_mov_b32_e32 v17, s3
	s_branch .LBB42_12
.LBB42_11:                              ;   in Loop: Header=BB42_12 Depth=1
	v_mov_b32_e32 v17, s21
	v_add_co_u32_e32 v14, vcc, s20, v14
	v_add_u32_e32 v12, 1, v12
	v_addc_co_u32_e32 v15, vcc, v15, v17, vcc
	v_cmp_ge_i32_e32 vcc, v12, v13
	s_or_b64 s[10:11], vcc, s[10:11]
	v_mov_b32_e32 v17, v16
	s_andn2_b64 exec, exec, s[10:11]
	s_cbranch_execz .LBB42_27
.LBB42_12:                              ; =>This Inner Loop Header: Depth=1
	global_load_dword v18, v[14:15], off
	s_mov_b64 s[0:1], -1
	s_and_b64 vcc, exec, s[6:7]
	s_cbranch_vccz .LBB42_25
; %bb.13:                               ;   in Loop: Header=BB42_12 Depth=1
	s_and_b64 vcc, exec, s[14:15]
                                        ; implicit-def: $vgpr16
	s_cbranch_vccz .LBB42_22
; %bb.14:                               ;   in Loop: Header=BB42_12 Depth=1
	s_cmp_lt_i32 s22, 4
                                        ; implicit-def: $vgpr16
	s_cbranch_scc1 .LBB42_18
; %bb.15:                               ;   in Loop: Header=BB42_12 Depth=1
	s_cmp_eq_u32 s22, 4
	v_mov_b32_e32 v16, v17
	s_cbranch_scc0 .LBB42_17
; %bb.16:                               ;   in Loop: Header=BB42_12 Depth=1
	s_waitcnt vmcnt(0)
	v_mul_f32_e32 v16, v18, v17
.LBB42_17:                              ;   in Loop: Header=BB42_12 Depth=1
	s_mov_b64 s[0:1], 0
.LBB42_18:                              ;   in Loop: Header=BB42_12 Depth=1
	s_andn2_b64 vcc, exec, s[0:1]
	s_cbranch_vccnz .LBB42_21
; %bb.19:                               ;   in Loop: Header=BB42_12 Depth=1
	s_cmp_lg_u32 s22, 2
	v_mov_b32_e32 v16, v17
	s_cbranch_scc1 .LBB42_21
; %bb.20:                               ;   in Loop: Header=BB42_12 Depth=1
	s_waitcnt vmcnt(0)
	v_cmp_u_f32_e32 vcc, v18, v18
	v_cmp_lt_f32_e64 s[0:1], v18, v17
	s_or_b64 vcc, vcc, s[0:1]
	v_cndmask_b32_e32 v16, v17, v18, vcc
.LBB42_21:                              ;   in Loop: Header=BB42_12 Depth=1
	s_mov_b64 s[0:1], 0
.LBB42_22:                              ;   in Loop: Header=BB42_12 Depth=1
	s_and_b64 vcc, exec, s[0:1]
	s_cbranch_vccz .LBB42_24
; %bb.23:                               ;   in Loop: Header=BB42_12 Depth=1
	s_waitcnt vmcnt(0)
	v_add_f32_e32 v16, v18, v17
.LBB42_24:                              ;   in Loop: Header=BB42_12 Depth=1
	s_cbranch_execnz .LBB42_11
	s_branch .LBB42_26
.LBB42_25:                              ;   in Loop: Header=BB42_12 Depth=1
                                        ; implicit-def: $vgpr16
	s_andn2_b64 vcc, exec, s[0:1]
	s_cbranch_vccnz .LBB42_11
.LBB42_26:                              ;   in Loop: Header=BB42_12 Depth=1
	s_waitcnt vmcnt(0)
	v_cmp_u_f32_e32 vcc, v18, v18
	v_cmp_lt_f32_e64 s[0:1], v17, v18
	s_or_b64 vcc, vcc, s[0:1]
	v_cndmask_b32_e32 v16, v17, v18, vcc
	s_branch .LBB42_11
.LBB42_27:
	s_or_b64 exec, exec, s[10:11]
.LBB42_28:
	s_or_b64 exec, exec, s[4:5]
	v_mul_lo_u32 v12, v9, s38
	v_mul_lo_u32 v13, v8, s39
	v_mad_u64_u32 v[8:9], s[0:1], v8, s38, 0
	v_add3_u32 v9, v9, v13, v12
	v_lshlrev_b64 v[8:9], 2, v[8:9]
	v_mov_b32_e32 v12, s13
	v_add_co_u32_e32 v8, vcc, s12, v8
	v_addc_co_u32_e32 v9, vcc, v12, v9, vcc
	v_add_co_u32_e32 v8, vcc, v8, v10
	v_addc_co_u32_e32 v9, vcc, v9, v11, vcc
	global_load_dword v9, v[8:9], off
	s_waitcnt vmcnt(0)
	v_cmp_lt_i32_e32 vcc, -1, v9
	s_and_saveexec_b64 s[0:1], vcc
	s_xor_b64 s[0:1], exec, s[0:1]
	s_cbranch_execz .LBB42_34
; %bb.29:
	s_bitcmp1_b32 s2, 0
	s_cselect_b64 s[2:3], -1, 0
	v_cmp_ne_u32_e32 vcc, 0, v9
	s_or_b64 s[2:3], s[2:3], vcc
	s_cmp_lg_u32 s22, 1
	s_cselect_b64 s[4:5], -1, 0
	s_or_b64 s[6:7], s[4:5], s[2:3]
	v_mov_b32_e32 v8, 0x7fc00000
	s_and_saveexec_b64 s[2:3], s[6:7]
	s_cbranch_execz .LBB42_33
; %bb.30:
	v_cmp_ne_u32_e32 vcc, 0, v9
	s_xor_b64 s[4:5], s[4:5], -1
	s_and_b64 s[4:5], s[4:5], vcc
	v_cmp_o_f32_e32 vcc, v16, v16
	s_and_b64 s[6:7], s[4:5], vcc
	s_and_saveexec_b64 s[4:5], s[6:7]
	s_cbranch_execz .LBB42_32
; %bb.31:
	v_cvt_f32_u32_e32 v8, v9
	v_div_scale_f32 v9, s[6:7], v8, v8, v16
	v_div_scale_f32 v10, vcc, v16, v8, v16
	v_rcp_f32_e32 v11, v9
	v_fma_f32 v12, -v9, v11, 1.0
	v_fmac_f32_e32 v11, v12, v11
	v_mul_f32_e32 v12, v10, v11
	v_fma_f32 v13, -v9, v12, v10
	v_fmac_f32_e32 v12, v13, v11
	v_fma_f32 v9, -v9, v12, v10
	v_div_fmas_f32 v9, v9, v11, v12
	v_div_fixup_f32 v16, v9, v8, v16
.LBB42_32:
	s_or_b64 exec, exec, s[4:5]
	v_mov_b32_e32 v8, v16
.LBB42_33:
	s_or_b64 exec, exec, s[2:3]
	s_mul_i32 s2, s18, s17
	s_mul_hi_u32 s3, s18, s16
	s_add_i32 s2, s3, s2
	s_mul_i32 s3, s19, s16
	s_add_i32 s2, s2, s3
	s_mul_i32 s3, s18, s16
	v_mul_lo_u32 v9, s2, v2
	v_mul_lo_u32 v10, s3, v3
	v_mad_u64_u32 v[2:3], s[2:3], s3, v2, 0
	v_mul_lo_u32 v11, v5, s16
	v_mul_lo_u32 v12, v4, s17
	v_mad_u64_u32 v[4:5], s[2:3], v4, s16, 0
	v_add3_u32 v3, v3, v10, v9
	v_sub_co_u32_e32 v0, vcc, v0, v6
	v_lshlrev_b64 v[2:3], 2, v[2:3]
	v_subb_co_u32_e32 v1, vcc, v1, v7, vcc
	v_add3_u32 v5, v5, v12, v11
	v_mov_b32_e32 v6, s9
	v_add_co_u32_e32 v7, vcc, s8, v2
	v_addc_co_u32_e32 v6, vcc, v6, v3, vcc
	v_lshlrev_b64 v[2:3], 2, v[4:5]
	v_lshlrev_b64 v[0:1], 2, v[0:1]
	v_add_co_u32_e32 v2, vcc, v7, v2
	v_addc_co_u32_e32 v3, vcc, v6, v3, vcc
	v_add_co_u32_e32 v0, vcc, v2, v0
	v_addc_co_u32_e32 v1, vcc, v3, v1, vcc
	global_store_dword v[0:1], v8, off
.LBB42_34:
	s_andn2_saveexec_b64 s[0:1], s[0:1]
	s_cbranch_execnz .LBB42_36
.LBB42_35:
	s_endpgm
.LBB42_36:
	s_trap 2
	; divergent unreachable
	s_endpgm
	.section	.rodata,"a",@progbits
	.p2align	6, 0x0
	.amdhsa_kernel _ZN2at6native12_GLOBAL__N_129segment_reduce_forward_kernelIfiEEvNS0_13ReductionTypeEPT_PKS4_PKT0_SA_llbS4_lllllll
		.amdhsa_group_segment_fixed_size 0
		.amdhsa_private_segment_fixed_size 0
		.amdhsa_kernarg_size 376
		.amdhsa_user_sgpr_count 6
		.amdhsa_user_sgpr_private_segment_buffer 1
		.amdhsa_user_sgpr_dispatch_ptr 0
		.amdhsa_user_sgpr_queue_ptr 0
		.amdhsa_user_sgpr_kernarg_segment_ptr 1
		.amdhsa_user_sgpr_dispatch_id 0
		.amdhsa_user_sgpr_flat_scratch_init 0
		.amdhsa_user_sgpr_private_segment_size 0
		.amdhsa_uses_dynamic_stack 0
		.amdhsa_system_sgpr_private_segment_wavefront_offset 0
		.amdhsa_system_sgpr_workgroup_id_x 1
		.amdhsa_system_sgpr_workgroup_id_y 0
		.amdhsa_system_sgpr_workgroup_id_z 0
		.amdhsa_system_sgpr_workgroup_info 0
		.amdhsa_system_vgpr_workitem_id 0
		.amdhsa_next_free_vgpr 19
		.amdhsa_next_free_sgpr 42
		.amdhsa_reserve_vcc 1
		.amdhsa_reserve_flat_scratch 0
		.amdhsa_float_round_mode_32 0
		.amdhsa_float_round_mode_16_64 0
		.amdhsa_float_denorm_mode_32 3
		.amdhsa_float_denorm_mode_16_64 3
		.amdhsa_dx10_clamp 1
		.amdhsa_ieee_mode 1
		.amdhsa_fp16_overflow 0
		.amdhsa_exception_fp_ieee_invalid_op 0
		.amdhsa_exception_fp_denorm_src 0
		.amdhsa_exception_fp_ieee_div_zero 0
		.amdhsa_exception_fp_ieee_overflow 0
		.amdhsa_exception_fp_ieee_underflow 0
		.amdhsa_exception_fp_ieee_inexact 0
		.amdhsa_exception_int_div_zero 0
	.end_amdhsa_kernel
	.section	.text._ZN2at6native12_GLOBAL__N_129segment_reduce_forward_kernelIfiEEvNS0_13ReductionTypeEPT_PKS4_PKT0_SA_llbS4_lllllll,"axG",@progbits,_ZN2at6native12_GLOBAL__N_129segment_reduce_forward_kernelIfiEEvNS0_13ReductionTypeEPT_PKS4_PKT0_SA_llbS4_lllllll,comdat
.Lfunc_end42:
	.size	_ZN2at6native12_GLOBAL__N_129segment_reduce_forward_kernelIfiEEvNS0_13ReductionTypeEPT_PKS4_PKT0_SA_llbS4_lllllll, .Lfunc_end42-_ZN2at6native12_GLOBAL__N_129segment_reduce_forward_kernelIfiEEvNS0_13ReductionTypeEPT_PKS4_PKT0_SA_llbS4_lllllll
                                        ; -- End function
	.set _ZN2at6native12_GLOBAL__N_129segment_reduce_forward_kernelIfiEEvNS0_13ReductionTypeEPT_PKS4_PKT0_SA_llbS4_lllllll.num_vgpr, 19
	.set _ZN2at6native12_GLOBAL__N_129segment_reduce_forward_kernelIfiEEvNS0_13ReductionTypeEPT_PKS4_PKT0_SA_llbS4_lllllll.num_agpr, 0
	.set _ZN2at6native12_GLOBAL__N_129segment_reduce_forward_kernelIfiEEvNS0_13ReductionTypeEPT_PKS4_PKT0_SA_llbS4_lllllll.numbered_sgpr, 42
	.set _ZN2at6native12_GLOBAL__N_129segment_reduce_forward_kernelIfiEEvNS0_13ReductionTypeEPT_PKS4_PKT0_SA_llbS4_lllllll.num_named_barrier, 0
	.set _ZN2at6native12_GLOBAL__N_129segment_reduce_forward_kernelIfiEEvNS0_13ReductionTypeEPT_PKS4_PKT0_SA_llbS4_lllllll.private_seg_size, 0
	.set _ZN2at6native12_GLOBAL__N_129segment_reduce_forward_kernelIfiEEvNS0_13ReductionTypeEPT_PKS4_PKT0_SA_llbS4_lllllll.uses_vcc, 1
	.set _ZN2at6native12_GLOBAL__N_129segment_reduce_forward_kernelIfiEEvNS0_13ReductionTypeEPT_PKS4_PKT0_SA_llbS4_lllllll.uses_flat_scratch, 0
	.set _ZN2at6native12_GLOBAL__N_129segment_reduce_forward_kernelIfiEEvNS0_13ReductionTypeEPT_PKS4_PKT0_SA_llbS4_lllllll.has_dyn_sized_stack, 0
	.set _ZN2at6native12_GLOBAL__N_129segment_reduce_forward_kernelIfiEEvNS0_13ReductionTypeEPT_PKS4_PKT0_SA_llbS4_lllllll.has_recursion, 0
	.set _ZN2at6native12_GLOBAL__N_129segment_reduce_forward_kernelIfiEEvNS0_13ReductionTypeEPT_PKS4_PKT0_SA_llbS4_lllllll.has_indirect_call, 0
	.section	.AMDGPU.csdata,"",@progbits
; Kernel info:
; codeLenInByte = 2660
; TotalNumSgprs: 46
; NumVgprs: 19
; ScratchSize: 0
; MemoryBound: 0
; FloatMode: 240
; IeeeMode: 1
; LDSByteSize: 0 bytes/workgroup (compile time only)
; SGPRBlocks: 5
; VGPRBlocks: 4
; NumSGPRsForWavesPerEU: 46
; NumVGPRsForWavesPerEU: 19
; Occupancy: 10
; WaveLimiterHint : 0
; COMPUTE_PGM_RSRC2:SCRATCH_EN: 0
; COMPUTE_PGM_RSRC2:USER_SGPR: 6
; COMPUTE_PGM_RSRC2:TRAP_HANDLER: 0
; COMPUTE_PGM_RSRC2:TGID_X_EN: 1
; COMPUTE_PGM_RSRC2:TGID_Y_EN: 0
; COMPUTE_PGM_RSRC2:TGID_Z_EN: 0
; COMPUTE_PGM_RSRC2:TIDIG_COMP_CNT: 0
	.section	.text._ZN7rocprim17ROCPRIM_400000_NS6detail17trampoline_kernelINS0_14default_configENS1_32segmented_reduce_config_selectorIfEEZNS1_21segmented_reduce_implIS3_PKfPfPKifN6hipcub16HIPCUB_304000_NS6detail27convert_result_type_wrapperIS8_S9_N2at6native12_GLOBAL__N_19CustomMaxEEEEE10hipError_tPvRmT0_T1_jT2_SQ_T4_T3_P12ihipStream_tbEUlT_E_NS1_11comp_targetILNS1_3genE0ELNS1_11target_archE4294967295ELNS1_3gpuE0ELNS1_3repE0EEENS1_30default_config_static_selectorELNS0_4arch9wavefront6targetE1EEEvSP_,"axG",@progbits,_ZN7rocprim17ROCPRIM_400000_NS6detail17trampoline_kernelINS0_14default_configENS1_32segmented_reduce_config_selectorIfEEZNS1_21segmented_reduce_implIS3_PKfPfPKifN6hipcub16HIPCUB_304000_NS6detail27convert_result_type_wrapperIS8_S9_N2at6native12_GLOBAL__N_19CustomMaxEEEEE10hipError_tPvRmT0_T1_jT2_SQ_T4_T3_P12ihipStream_tbEUlT_E_NS1_11comp_targetILNS1_3genE0ELNS1_11target_archE4294967295ELNS1_3gpuE0ELNS1_3repE0EEENS1_30default_config_static_selectorELNS0_4arch9wavefront6targetE1EEEvSP_,comdat
	.globl	_ZN7rocprim17ROCPRIM_400000_NS6detail17trampoline_kernelINS0_14default_configENS1_32segmented_reduce_config_selectorIfEEZNS1_21segmented_reduce_implIS3_PKfPfPKifN6hipcub16HIPCUB_304000_NS6detail27convert_result_type_wrapperIS8_S9_N2at6native12_GLOBAL__N_19CustomMaxEEEEE10hipError_tPvRmT0_T1_jT2_SQ_T4_T3_P12ihipStream_tbEUlT_E_NS1_11comp_targetILNS1_3genE0ELNS1_11target_archE4294967295ELNS1_3gpuE0ELNS1_3repE0EEENS1_30default_config_static_selectorELNS0_4arch9wavefront6targetE1EEEvSP_ ; -- Begin function _ZN7rocprim17ROCPRIM_400000_NS6detail17trampoline_kernelINS0_14default_configENS1_32segmented_reduce_config_selectorIfEEZNS1_21segmented_reduce_implIS3_PKfPfPKifN6hipcub16HIPCUB_304000_NS6detail27convert_result_type_wrapperIS8_S9_N2at6native12_GLOBAL__N_19CustomMaxEEEEE10hipError_tPvRmT0_T1_jT2_SQ_T4_T3_P12ihipStream_tbEUlT_E_NS1_11comp_targetILNS1_3genE0ELNS1_11target_archE4294967295ELNS1_3gpuE0ELNS1_3repE0EEENS1_30default_config_static_selectorELNS0_4arch9wavefront6targetE1EEEvSP_
	.p2align	8
	.type	_ZN7rocprim17ROCPRIM_400000_NS6detail17trampoline_kernelINS0_14default_configENS1_32segmented_reduce_config_selectorIfEEZNS1_21segmented_reduce_implIS3_PKfPfPKifN6hipcub16HIPCUB_304000_NS6detail27convert_result_type_wrapperIS8_S9_N2at6native12_GLOBAL__N_19CustomMaxEEEEE10hipError_tPvRmT0_T1_jT2_SQ_T4_T3_P12ihipStream_tbEUlT_E_NS1_11comp_targetILNS1_3genE0ELNS1_11target_archE4294967295ELNS1_3gpuE0ELNS1_3repE0EEENS1_30default_config_static_selectorELNS0_4arch9wavefront6targetE1EEEvSP_,@function
_ZN7rocprim17ROCPRIM_400000_NS6detail17trampoline_kernelINS0_14default_configENS1_32segmented_reduce_config_selectorIfEEZNS1_21segmented_reduce_implIS3_PKfPfPKifN6hipcub16HIPCUB_304000_NS6detail27convert_result_type_wrapperIS8_S9_N2at6native12_GLOBAL__N_19CustomMaxEEEEE10hipError_tPvRmT0_T1_jT2_SQ_T4_T3_P12ihipStream_tbEUlT_E_NS1_11comp_targetILNS1_3genE0ELNS1_11target_archE4294967295ELNS1_3gpuE0ELNS1_3repE0EEENS1_30default_config_static_selectorELNS0_4arch9wavefront6targetE1EEEvSP_: ; @_ZN7rocprim17ROCPRIM_400000_NS6detail17trampoline_kernelINS0_14default_configENS1_32segmented_reduce_config_selectorIfEEZNS1_21segmented_reduce_implIS3_PKfPfPKifN6hipcub16HIPCUB_304000_NS6detail27convert_result_type_wrapperIS8_S9_N2at6native12_GLOBAL__N_19CustomMaxEEEEE10hipError_tPvRmT0_T1_jT2_SQ_T4_T3_P12ihipStream_tbEUlT_E_NS1_11comp_targetILNS1_3genE0ELNS1_11target_archE4294967295ELNS1_3gpuE0ELNS1_3repE0EEENS1_30default_config_static_selectorELNS0_4arch9wavefront6targetE1EEEvSP_
; %bb.0:
	.section	.rodata,"a",@progbits
	.p2align	6, 0x0
	.amdhsa_kernel _ZN7rocprim17ROCPRIM_400000_NS6detail17trampoline_kernelINS0_14default_configENS1_32segmented_reduce_config_selectorIfEEZNS1_21segmented_reduce_implIS3_PKfPfPKifN6hipcub16HIPCUB_304000_NS6detail27convert_result_type_wrapperIS8_S9_N2at6native12_GLOBAL__N_19CustomMaxEEEEE10hipError_tPvRmT0_T1_jT2_SQ_T4_T3_P12ihipStream_tbEUlT_E_NS1_11comp_targetILNS1_3genE0ELNS1_11target_archE4294967295ELNS1_3gpuE0ELNS1_3repE0EEENS1_30default_config_static_selectorELNS0_4arch9wavefront6targetE1EEEvSP_
		.amdhsa_group_segment_fixed_size 0
		.amdhsa_private_segment_fixed_size 0
		.amdhsa_kernarg_size 48
		.amdhsa_user_sgpr_count 6
		.amdhsa_user_sgpr_private_segment_buffer 1
		.amdhsa_user_sgpr_dispatch_ptr 0
		.amdhsa_user_sgpr_queue_ptr 0
		.amdhsa_user_sgpr_kernarg_segment_ptr 1
		.amdhsa_user_sgpr_dispatch_id 0
		.amdhsa_user_sgpr_flat_scratch_init 0
		.amdhsa_user_sgpr_private_segment_size 0
		.amdhsa_uses_dynamic_stack 0
		.amdhsa_system_sgpr_private_segment_wavefront_offset 0
		.amdhsa_system_sgpr_workgroup_id_x 1
		.amdhsa_system_sgpr_workgroup_id_y 0
		.amdhsa_system_sgpr_workgroup_id_z 0
		.amdhsa_system_sgpr_workgroup_info 0
		.amdhsa_system_vgpr_workitem_id 0
		.amdhsa_next_free_vgpr 1
		.amdhsa_next_free_sgpr 0
		.amdhsa_reserve_vcc 0
		.amdhsa_reserve_flat_scratch 0
		.amdhsa_float_round_mode_32 0
		.amdhsa_float_round_mode_16_64 0
		.amdhsa_float_denorm_mode_32 3
		.amdhsa_float_denorm_mode_16_64 3
		.amdhsa_dx10_clamp 1
		.amdhsa_ieee_mode 1
		.amdhsa_fp16_overflow 0
		.amdhsa_exception_fp_ieee_invalid_op 0
		.amdhsa_exception_fp_denorm_src 0
		.amdhsa_exception_fp_ieee_div_zero 0
		.amdhsa_exception_fp_ieee_overflow 0
		.amdhsa_exception_fp_ieee_underflow 0
		.amdhsa_exception_fp_ieee_inexact 0
		.amdhsa_exception_int_div_zero 0
	.end_amdhsa_kernel
	.section	.text._ZN7rocprim17ROCPRIM_400000_NS6detail17trampoline_kernelINS0_14default_configENS1_32segmented_reduce_config_selectorIfEEZNS1_21segmented_reduce_implIS3_PKfPfPKifN6hipcub16HIPCUB_304000_NS6detail27convert_result_type_wrapperIS8_S9_N2at6native12_GLOBAL__N_19CustomMaxEEEEE10hipError_tPvRmT0_T1_jT2_SQ_T4_T3_P12ihipStream_tbEUlT_E_NS1_11comp_targetILNS1_3genE0ELNS1_11target_archE4294967295ELNS1_3gpuE0ELNS1_3repE0EEENS1_30default_config_static_selectorELNS0_4arch9wavefront6targetE1EEEvSP_,"axG",@progbits,_ZN7rocprim17ROCPRIM_400000_NS6detail17trampoline_kernelINS0_14default_configENS1_32segmented_reduce_config_selectorIfEEZNS1_21segmented_reduce_implIS3_PKfPfPKifN6hipcub16HIPCUB_304000_NS6detail27convert_result_type_wrapperIS8_S9_N2at6native12_GLOBAL__N_19CustomMaxEEEEE10hipError_tPvRmT0_T1_jT2_SQ_T4_T3_P12ihipStream_tbEUlT_E_NS1_11comp_targetILNS1_3genE0ELNS1_11target_archE4294967295ELNS1_3gpuE0ELNS1_3repE0EEENS1_30default_config_static_selectorELNS0_4arch9wavefront6targetE1EEEvSP_,comdat
.Lfunc_end43:
	.size	_ZN7rocprim17ROCPRIM_400000_NS6detail17trampoline_kernelINS0_14default_configENS1_32segmented_reduce_config_selectorIfEEZNS1_21segmented_reduce_implIS3_PKfPfPKifN6hipcub16HIPCUB_304000_NS6detail27convert_result_type_wrapperIS8_S9_N2at6native12_GLOBAL__N_19CustomMaxEEEEE10hipError_tPvRmT0_T1_jT2_SQ_T4_T3_P12ihipStream_tbEUlT_E_NS1_11comp_targetILNS1_3genE0ELNS1_11target_archE4294967295ELNS1_3gpuE0ELNS1_3repE0EEENS1_30default_config_static_selectorELNS0_4arch9wavefront6targetE1EEEvSP_, .Lfunc_end43-_ZN7rocprim17ROCPRIM_400000_NS6detail17trampoline_kernelINS0_14default_configENS1_32segmented_reduce_config_selectorIfEEZNS1_21segmented_reduce_implIS3_PKfPfPKifN6hipcub16HIPCUB_304000_NS6detail27convert_result_type_wrapperIS8_S9_N2at6native12_GLOBAL__N_19CustomMaxEEEEE10hipError_tPvRmT0_T1_jT2_SQ_T4_T3_P12ihipStream_tbEUlT_E_NS1_11comp_targetILNS1_3genE0ELNS1_11target_archE4294967295ELNS1_3gpuE0ELNS1_3repE0EEENS1_30default_config_static_selectorELNS0_4arch9wavefront6targetE1EEEvSP_
                                        ; -- End function
	.set _ZN7rocprim17ROCPRIM_400000_NS6detail17trampoline_kernelINS0_14default_configENS1_32segmented_reduce_config_selectorIfEEZNS1_21segmented_reduce_implIS3_PKfPfPKifN6hipcub16HIPCUB_304000_NS6detail27convert_result_type_wrapperIS8_S9_N2at6native12_GLOBAL__N_19CustomMaxEEEEE10hipError_tPvRmT0_T1_jT2_SQ_T4_T3_P12ihipStream_tbEUlT_E_NS1_11comp_targetILNS1_3genE0ELNS1_11target_archE4294967295ELNS1_3gpuE0ELNS1_3repE0EEENS1_30default_config_static_selectorELNS0_4arch9wavefront6targetE1EEEvSP_.num_vgpr, 0
	.set _ZN7rocprim17ROCPRIM_400000_NS6detail17trampoline_kernelINS0_14default_configENS1_32segmented_reduce_config_selectorIfEEZNS1_21segmented_reduce_implIS3_PKfPfPKifN6hipcub16HIPCUB_304000_NS6detail27convert_result_type_wrapperIS8_S9_N2at6native12_GLOBAL__N_19CustomMaxEEEEE10hipError_tPvRmT0_T1_jT2_SQ_T4_T3_P12ihipStream_tbEUlT_E_NS1_11comp_targetILNS1_3genE0ELNS1_11target_archE4294967295ELNS1_3gpuE0ELNS1_3repE0EEENS1_30default_config_static_selectorELNS0_4arch9wavefront6targetE1EEEvSP_.num_agpr, 0
	.set _ZN7rocprim17ROCPRIM_400000_NS6detail17trampoline_kernelINS0_14default_configENS1_32segmented_reduce_config_selectorIfEEZNS1_21segmented_reduce_implIS3_PKfPfPKifN6hipcub16HIPCUB_304000_NS6detail27convert_result_type_wrapperIS8_S9_N2at6native12_GLOBAL__N_19CustomMaxEEEEE10hipError_tPvRmT0_T1_jT2_SQ_T4_T3_P12ihipStream_tbEUlT_E_NS1_11comp_targetILNS1_3genE0ELNS1_11target_archE4294967295ELNS1_3gpuE0ELNS1_3repE0EEENS1_30default_config_static_selectorELNS0_4arch9wavefront6targetE1EEEvSP_.numbered_sgpr, 0
	.set _ZN7rocprim17ROCPRIM_400000_NS6detail17trampoline_kernelINS0_14default_configENS1_32segmented_reduce_config_selectorIfEEZNS1_21segmented_reduce_implIS3_PKfPfPKifN6hipcub16HIPCUB_304000_NS6detail27convert_result_type_wrapperIS8_S9_N2at6native12_GLOBAL__N_19CustomMaxEEEEE10hipError_tPvRmT0_T1_jT2_SQ_T4_T3_P12ihipStream_tbEUlT_E_NS1_11comp_targetILNS1_3genE0ELNS1_11target_archE4294967295ELNS1_3gpuE0ELNS1_3repE0EEENS1_30default_config_static_selectorELNS0_4arch9wavefront6targetE1EEEvSP_.num_named_barrier, 0
	.set _ZN7rocprim17ROCPRIM_400000_NS6detail17trampoline_kernelINS0_14default_configENS1_32segmented_reduce_config_selectorIfEEZNS1_21segmented_reduce_implIS3_PKfPfPKifN6hipcub16HIPCUB_304000_NS6detail27convert_result_type_wrapperIS8_S9_N2at6native12_GLOBAL__N_19CustomMaxEEEEE10hipError_tPvRmT0_T1_jT2_SQ_T4_T3_P12ihipStream_tbEUlT_E_NS1_11comp_targetILNS1_3genE0ELNS1_11target_archE4294967295ELNS1_3gpuE0ELNS1_3repE0EEENS1_30default_config_static_selectorELNS0_4arch9wavefront6targetE1EEEvSP_.private_seg_size, 0
	.set _ZN7rocprim17ROCPRIM_400000_NS6detail17trampoline_kernelINS0_14default_configENS1_32segmented_reduce_config_selectorIfEEZNS1_21segmented_reduce_implIS3_PKfPfPKifN6hipcub16HIPCUB_304000_NS6detail27convert_result_type_wrapperIS8_S9_N2at6native12_GLOBAL__N_19CustomMaxEEEEE10hipError_tPvRmT0_T1_jT2_SQ_T4_T3_P12ihipStream_tbEUlT_E_NS1_11comp_targetILNS1_3genE0ELNS1_11target_archE4294967295ELNS1_3gpuE0ELNS1_3repE0EEENS1_30default_config_static_selectorELNS0_4arch9wavefront6targetE1EEEvSP_.uses_vcc, 0
	.set _ZN7rocprim17ROCPRIM_400000_NS6detail17trampoline_kernelINS0_14default_configENS1_32segmented_reduce_config_selectorIfEEZNS1_21segmented_reduce_implIS3_PKfPfPKifN6hipcub16HIPCUB_304000_NS6detail27convert_result_type_wrapperIS8_S9_N2at6native12_GLOBAL__N_19CustomMaxEEEEE10hipError_tPvRmT0_T1_jT2_SQ_T4_T3_P12ihipStream_tbEUlT_E_NS1_11comp_targetILNS1_3genE0ELNS1_11target_archE4294967295ELNS1_3gpuE0ELNS1_3repE0EEENS1_30default_config_static_selectorELNS0_4arch9wavefront6targetE1EEEvSP_.uses_flat_scratch, 0
	.set _ZN7rocprim17ROCPRIM_400000_NS6detail17trampoline_kernelINS0_14default_configENS1_32segmented_reduce_config_selectorIfEEZNS1_21segmented_reduce_implIS3_PKfPfPKifN6hipcub16HIPCUB_304000_NS6detail27convert_result_type_wrapperIS8_S9_N2at6native12_GLOBAL__N_19CustomMaxEEEEE10hipError_tPvRmT0_T1_jT2_SQ_T4_T3_P12ihipStream_tbEUlT_E_NS1_11comp_targetILNS1_3genE0ELNS1_11target_archE4294967295ELNS1_3gpuE0ELNS1_3repE0EEENS1_30default_config_static_selectorELNS0_4arch9wavefront6targetE1EEEvSP_.has_dyn_sized_stack, 0
	.set _ZN7rocprim17ROCPRIM_400000_NS6detail17trampoline_kernelINS0_14default_configENS1_32segmented_reduce_config_selectorIfEEZNS1_21segmented_reduce_implIS3_PKfPfPKifN6hipcub16HIPCUB_304000_NS6detail27convert_result_type_wrapperIS8_S9_N2at6native12_GLOBAL__N_19CustomMaxEEEEE10hipError_tPvRmT0_T1_jT2_SQ_T4_T3_P12ihipStream_tbEUlT_E_NS1_11comp_targetILNS1_3genE0ELNS1_11target_archE4294967295ELNS1_3gpuE0ELNS1_3repE0EEENS1_30default_config_static_selectorELNS0_4arch9wavefront6targetE1EEEvSP_.has_recursion, 0
	.set _ZN7rocprim17ROCPRIM_400000_NS6detail17trampoline_kernelINS0_14default_configENS1_32segmented_reduce_config_selectorIfEEZNS1_21segmented_reduce_implIS3_PKfPfPKifN6hipcub16HIPCUB_304000_NS6detail27convert_result_type_wrapperIS8_S9_N2at6native12_GLOBAL__N_19CustomMaxEEEEE10hipError_tPvRmT0_T1_jT2_SQ_T4_T3_P12ihipStream_tbEUlT_E_NS1_11comp_targetILNS1_3genE0ELNS1_11target_archE4294967295ELNS1_3gpuE0ELNS1_3repE0EEENS1_30default_config_static_selectorELNS0_4arch9wavefront6targetE1EEEvSP_.has_indirect_call, 0
	.section	.AMDGPU.csdata,"",@progbits
; Kernel info:
; codeLenInByte = 0
; TotalNumSgprs: 4
; NumVgprs: 0
; ScratchSize: 0
; MemoryBound: 0
; FloatMode: 240
; IeeeMode: 1
; LDSByteSize: 0 bytes/workgroup (compile time only)
; SGPRBlocks: 0
; VGPRBlocks: 0
; NumSGPRsForWavesPerEU: 4
; NumVGPRsForWavesPerEU: 1
; Occupancy: 10
; WaveLimiterHint : 0
; COMPUTE_PGM_RSRC2:SCRATCH_EN: 0
; COMPUTE_PGM_RSRC2:USER_SGPR: 6
; COMPUTE_PGM_RSRC2:TRAP_HANDLER: 0
; COMPUTE_PGM_RSRC2:TGID_X_EN: 1
; COMPUTE_PGM_RSRC2:TGID_Y_EN: 0
; COMPUTE_PGM_RSRC2:TGID_Z_EN: 0
; COMPUTE_PGM_RSRC2:TIDIG_COMP_CNT: 0
	.section	.text._ZN7rocprim17ROCPRIM_400000_NS6detail17trampoline_kernelINS0_14default_configENS1_32segmented_reduce_config_selectorIfEEZNS1_21segmented_reduce_implIS3_PKfPfPKifN6hipcub16HIPCUB_304000_NS6detail27convert_result_type_wrapperIS8_S9_N2at6native12_GLOBAL__N_19CustomMaxEEEEE10hipError_tPvRmT0_T1_jT2_SQ_T4_T3_P12ihipStream_tbEUlT_E_NS1_11comp_targetILNS1_3genE5ELNS1_11target_archE942ELNS1_3gpuE9ELNS1_3repE0EEENS1_30default_config_static_selectorELNS0_4arch9wavefront6targetE1EEEvSP_,"axG",@progbits,_ZN7rocprim17ROCPRIM_400000_NS6detail17trampoline_kernelINS0_14default_configENS1_32segmented_reduce_config_selectorIfEEZNS1_21segmented_reduce_implIS3_PKfPfPKifN6hipcub16HIPCUB_304000_NS6detail27convert_result_type_wrapperIS8_S9_N2at6native12_GLOBAL__N_19CustomMaxEEEEE10hipError_tPvRmT0_T1_jT2_SQ_T4_T3_P12ihipStream_tbEUlT_E_NS1_11comp_targetILNS1_3genE5ELNS1_11target_archE942ELNS1_3gpuE9ELNS1_3repE0EEENS1_30default_config_static_selectorELNS0_4arch9wavefront6targetE1EEEvSP_,comdat
	.globl	_ZN7rocprim17ROCPRIM_400000_NS6detail17trampoline_kernelINS0_14default_configENS1_32segmented_reduce_config_selectorIfEEZNS1_21segmented_reduce_implIS3_PKfPfPKifN6hipcub16HIPCUB_304000_NS6detail27convert_result_type_wrapperIS8_S9_N2at6native12_GLOBAL__N_19CustomMaxEEEEE10hipError_tPvRmT0_T1_jT2_SQ_T4_T3_P12ihipStream_tbEUlT_E_NS1_11comp_targetILNS1_3genE5ELNS1_11target_archE942ELNS1_3gpuE9ELNS1_3repE0EEENS1_30default_config_static_selectorELNS0_4arch9wavefront6targetE1EEEvSP_ ; -- Begin function _ZN7rocprim17ROCPRIM_400000_NS6detail17trampoline_kernelINS0_14default_configENS1_32segmented_reduce_config_selectorIfEEZNS1_21segmented_reduce_implIS3_PKfPfPKifN6hipcub16HIPCUB_304000_NS6detail27convert_result_type_wrapperIS8_S9_N2at6native12_GLOBAL__N_19CustomMaxEEEEE10hipError_tPvRmT0_T1_jT2_SQ_T4_T3_P12ihipStream_tbEUlT_E_NS1_11comp_targetILNS1_3genE5ELNS1_11target_archE942ELNS1_3gpuE9ELNS1_3repE0EEENS1_30default_config_static_selectorELNS0_4arch9wavefront6targetE1EEEvSP_
	.p2align	8
	.type	_ZN7rocprim17ROCPRIM_400000_NS6detail17trampoline_kernelINS0_14default_configENS1_32segmented_reduce_config_selectorIfEEZNS1_21segmented_reduce_implIS3_PKfPfPKifN6hipcub16HIPCUB_304000_NS6detail27convert_result_type_wrapperIS8_S9_N2at6native12_GLOBAL__N_19CustomMaxEEEEE10hipError_tPvRmT0_T1_jT2_SQ_T4_T3_P12ihipStream_tbEUlT_E_NS1_11comp_targetILNS1_3genE5ELNS1_11target_archE942ELNS1_3gpuE9ELNS1_3repE0EEENS1_30default_config_static_selectorELNS0_4arch9wavefront6targetE1EEEvSP_,@function
_ZN7rocprim17ROCPRIM_400000_NS6detail17trampoline_kernelINS0_14default_configENS1_32segmented_reduce_config_selectorIfEEZNS1_21segmented_reduce_implIS3_PKfPfPKifN6hipcub16HIPCUB_304000_NS6detail27convert_result_type_wrapperIS8_S9_N2at6native12_GLOBAL__N_19CustomMaxEEEEE10hipError_tPvRmT0_T1_jT2_SQ_T4_T3_P12ihipStream_tbEUlT_E_NS1_11comp_targetILNS1_3genE5ELNS1_11target_archE942ELNS1_3gpuE9ELNS1_3repE0EEENS1_30default_config_static_selectorELNS0_4arch9wavefront6targetE1EEEvSP_: ; @_ZN7rocprim17ROCPRIM_400000_NS6detail17trampoline_kernelINS0_14default_configENS1_32segmented_reduce_config_selectorIfEEZNS1_21segmented_reduce_implIS3_PKfPfPKifN6hipcub16HIPCUB_304000_NS6detail27convert_result_type_wrapperIS8_S9_N2at6native12_GLOBAL__N_19CustomMaxEEEEE10hipError_tPvRmT0_T1_jT2_SQ_T4_T3_P12ihipStream_tbEUlT_E_NS1_11comp_targetILNS1_3genE5ELNS1_11target_archE942ELNS1_3gpuE9ELNS1_3repE0EEENS1_30default_config_static_selectorELNS0_4arch9wavefront6targetE1EEEvSP_
; %bb.0:
	.section	.rodata,"a",@progbits
	.p2align	6, 0x0
	.amdhsa_kernel _ZN7rocprim17ROCPRIM_400000_NS6detail17trampoline_kernelINS0_14default_configENS1_32segmented_reduce_config_selectorIfEEZNS1_21segmented_reduce_implIS3_PKfPfPKifN6hipcub16HIPCUB_304000_NS6detail27convert_result_type_wrapperIS8_S9_N2at6native12_GLOBAL__N_19CustomMaxEEEEE10hipError_tPvRmT0_T1_jT2_SQ_T4_T3_P12ihipStream_tbEUlT_E_NS1_11comp_targetILNS1_3genE5ELNS1_11target_archE942ELNS1_3gpuE9ELNS1_3repE0EEENS1_30default_config_static_selectorELNS0_4arch9wavefront6targetE1EEEvSP_
		.amdhsa_group_segment_fixed_size 0
		.amdhsa_private_segment_fixed_size 0
		.amdhsa_kernarg_size 48
		.amdhsa_user_sgpr_count 6
		.amdhsa_user_sgpr_private_segment_buffer 1
		.amdhsa_user_sgpr_dispatch_ptr 0
		.amdhsa_user_sgpr_queue_ptr 0
		.amdhsa_user_sgpr_kernarg_segment_ptr 1
		.amdhsa_user_sgpr_dispatch_id 0
		.amdhsa_user_sgpr_flat_scratch_init 0
		.amdhsa_user_sgpr_private_segment_size 0
		.amdhsa_uses_dynamic_stack 0
		.amdhsa_system_sgpr_private_segment_wavefront_offset 0
		.amdhsa_system_sgpr_workgroup_id_x 1
		.amdhsa_system_sgpr_workgroup_id_y 0
		.amdhsa_system_sgpr_workgroup_id_z 0
		.amdhsa_system_sgpr_workgroup_info 0
		.amdhsa_system_vgpr_workitem_id 0
		.amdhsa_next_free_vgpr 1
		.amdhsa_next_free_sgpr 0
		.amdhsa_reserve_vcc 0
		.amdhsa_reserve_flat_scratch 0
		.amdhsa_float_round_mode_32 0
		.amdhsa_float_round_mode_16_64 0
		.amdhsa_float_denorm_mode_32 3
		.amdhsa_float_denorm_mode_16_64 3
		.amdhsa_dx10_clamp 1
		.amdhsa_ieee_mode 1
		.amdhsa_fp16_overflow 0
		.amdhsa_exception_fp_ieee_invalid_op 0
		.amdhsa_exception_fp_denorm_src 0
		.amdhsa_exception_fp_ieee_div_zero 0
		.amdhsa_exception_fp_ieee_overflow 0
		.amdhsa_exception_fp_ieee_underflow 0
		.amdhsa_exception_fp_ieee_inexact 0
		.amdhsa_exception_int_div_zero 0
	.end_amdhsa_kernel
	.section	.text._ZN7rocprim17ROCPRIM_400000_NS6detail17trampoline_kernelINS0_14default_configENS1_32segmented_reduce_config_selectorIfEEZNS1_21segmented_reduce_implIS3_PKfPfPKifN6hipcub16HIPCUB_304000_NS6detail27convert_result_type_wrapperIS8_S9_N2at6native12_GLOBAL__N_19CustomMaxEEEEE10hipError_tPvRmT0_T1_jT2_SQ_T4_T3_P12ihipStream_tbEUlT_E_NS1_11comp_targetILNS1_3genE5ELNS1_11target_archE942ELNS1_3gpuE9ELNS1_3repE0EEENS1_30default_config_static_selectorELNS0_4arch9wavefront6targetE1EEEvSP_,"axG",@progbits,_ZN7rocprim17ROCPRIM_400000_NS6detail17trampoline_kernelINS0_14default_configENS1_32segmented_reduce_config_selectorIfEEZNS1_21segmented_reduce_implIS3_PKfPfPKifN6hipcub16HIPCUB_304000_NS6detail27convert_result_type_wrapperIS8_S9_N2at6native12_GLOBAL__N_19CustomMaxEEEEE10hipError_tPvRmT0_T1_jT2_SQ_T4_T3_P12ihipStream_tbEUlT_E_NS1_11comp_targetILNS1_3genE5ELNS1_11target_archE942ELNS1_3gpuE9ELNS1_3repE0EEENS1_30default_config_static_selectorELNS0_4arch9wavefront6targetE1EEEvSP_,comdat
.Lfunc_end44:
	.size	_ZN7rocprim17ROCPRIM_400000_NS6detail17trampoline_kernelINS0_14default_configENS1_32segmented_reduce_config_selectorIfEEZNS1_21segmented_reduce_implIS3_PKfPfPKifN6hipcub16HIPCUB_304000_NS6detail27convert_result_type_wrapperIS8_S9_N2at6native12_GLOBAL__N_19CustomMaxEEEEE10hipError_tPvRmT0_T1_jT2_SQ_T4_T3_P12ihipStream_tbEUlT_E_NS1_11comp_targetILNS1_3genE5ELNS1_11target_archE942ELNS1_3gpuE9ELNS1_3repE0EEENS1_30default_config_static_selectorELNS0_4arch9wavefront6targetE1EEEvSP_, .Lfunc_end44-_ZN7rocprim17ROCPRIM_400000_NS6detail17trampoline_kernelINS0_14default_configENS1_32segmented_reduce_config_selectorIfEEZNS1_21segmented_reduce_implIS3_PKfPfPKifN6hipcub16HIPCUB_304000_NS6detail27convert_result_type_wrapperIS8_S9_N2at6native12_GLOBAL__N_19CustomMaxEEEEE10hipError_tPvRmT0_T1_jT2_SQ_T4_T3_P12ihipStream_tbEUlT_E_NS1_11comp_targetILNS1_3genE5ELNS1_11target_archE942ELNS1_3gpuE9ELNS1_3repE0EEENS1_30default_config_static_selectorELNS0_4arch9wavefront6targetE1EEEvSP_
                                        ; -- End function
	.set _ZN7rocprim17ROCPRIM_400000_NS6detail17trampoline_kernelINS0_14default_configENS1_32segmented_reduce_config_selectorIfEEZNS1_21segmented_reduce_implIS3_PKfPfPKifN6hipcub16HIPCUB_304000_NS6detail27convert_result_type_wrapperIS8_S9_N2at6native12_GLOBAL__N_19CustomMaxEEEEE10hipError_tPvRmT0_T1_jT2_SQ_T4_T3_P12ihipStream_tbEUlT_E_NS1_11comp_targetILNS1_3genE5ELNS1_11target_archE942ELNS1_3gpuE9ELNS1_3repE0EEENS1_30default_config_static_selectorELNS0_4arch9wavefront6targetE1EEEvSP_.num_vgpr, 0
	.set _ZN7rocprim17ROCPRIM_400000_NS6detail17trampoline_kernelINS0_14default_configENS1_32segmented_reduce_config_selectorIfEEZNS1_21segmented_reduce_implIS3_PKfPfPKifN6hipcub16HIPCUB_304000_NS6detail27convert_result_type_wrapperIS8_S9_N2at6native12_GLOBAL__N_19CustomMaxEEEEE10hipError_tPvRmT0_T1_jT2_SQ_T4_T3_P12ihipStream_tbEUlT_E_NS1_11comp_targetILNS1_3genE5ELNS1_11target_archE942ELNS1_3gpuE9ELNS1_3repE0EEENS1_30default_config_static_selectorELNS0_4arch9wavefront6targetE1EEEvSP_.num_agpr, 0
	.set _ZN7rocprim17ROCPRIM_400000_NS6detail17trampoline_kernelINS0_14default_configENS1_32segmented_reduce_config_selectorIfEEZNS1_21segmented_reduce_implIS3_PKfPfPKifN6hipcub16HIPCUB_304000_NS6detail27convert_result_type_wrapperIS8_S9_N2at6native12_GLOBAL__N_19CustomMaxEEEEE10hipError_tPvRmT0_T1_jT2_SQ_T4_T3_P12ihipStream_tbEUlT_E_NS1_11comp_targetILNS1_3genE5ELNS1_11target_archE942ELNS1_3gpuE9ELNS1_3repE0EEENS1_30default_config_static_selectorELNS0_4arch9wavefront6targetE1EEEvSP_.numbered_sgpr, 0
	.set _ZN7rocprim17ROCPRIM_400000_NS6detail17trampoline_kernelINS0_14default_configENS1_32segmented_reduce_config_selectorIfEEZNS1_21segmented_reduce_implIS3_PKfPfPKifN6hipcub16HIPCUB_304000_NS6detail27convert_result_type_wrapperIS8_S9_N2at6native12_GLOBAL__N_19CustomMaxEEEEE10hipError_tPvRmT0_T1_jT2_SQ_T4_T3_P12ihipStream_tbEUlT_E_NS1_11comp_targetILNS1_3genE5ELNS1_11target_archE942ELNS1_3gpuE9ELNS1_3repE0EEENS1_30default_config_static_selectorELNS0_4arch9wavefront6targetE1EEEvSP_.num_named_barrier, 0
	.set _ZN7rocprim17ROCPRIM_400000_NS6detail17trampoline_kernelINS0_14default_configENS1_32segmented_reduce_config_selectorIfEEZNS1_21segmented_reduce_implIS3_PKfPfPKifN6hipcub16HIPCUB_304000_NS6detail27convert_result_type_wrapperIS8_S9_N2at6native12_GLOBAL__N_19CustomMaxEEEEE10hipError_tPvRmT0_T1_jT2_SQ_T4_T3_P12ihipStream_tbEUlT_E_NS1_11comp_targetILNS1_3genE5ELNS1_11target_archE942ELNS1_3gpuE9ELNS1_3repE0EEENS1_30default_config_static_selectorELNS0_4arch9wavefront6targetE1EEEvSP_.private_seg_size, 0
	.set _ZN7rocprim17ROCPRIM_400000_NS6detail17trampoline_kernelINS0_14default_configENS1_32segmented_reduce_config_selectorIfEEZNS1_21segmented_reduce_implIS3_PKfPfPKifN6hipcub16HIPCUB_304000_NS6detail27convert_result_type_wrapperIS8_S9_N2at6native12_GLOBAL__N_19CustomMaxEEEEE10hipError_tPvRmT0_T1_jT2_SQ_T4_T3_P12ihipStream_tbEUlT_E_NS1_11comp_targetILNS1_3genE5ELNS1_11target_archE942ELNS1_3gpuE9ELNS1_3repE0EEENS1_30default_config_static_selectorELNS0_4arch9wavefront6targetE1EEEvSP_.uses_vcc, 0
	.set _ZN7rocprim17ROCPRIM_400000_NS6detail17trampoline_kernelINS0_14default_configENS1_32segmented_reduce_config_selectorIfEEZNS1_21segmented_reduce_implIS3_PKfPfPKifN6hipcub16HIPCUB_304000_NS6detail27convert_result_type_wrapperIS8_S9_N2at6native12_GLOBAL__N_19CustomMaxEEEEE10hipError_tPvRmT0_T1_jT2_SQ_T4_T3_P12ihipStream_tbEUlT_E_NS1_11comp_targetILNS1_3genE5ELNS1_11target_archE942ELNS1_3gpuE9ELNS1_3repE0EEENS1_30default_config_static_selectorELNS0_4arch9wavefront6targetE1EEEvSP_.uses_flat_scratch, 0
	.set _ZN7rocprim17ROCPRIM_400000_NS6detail17trampoline_kernelINS0_14default_configENS1_32segmented_reduce_config_selectorIfEEZNS1_21segmented_reduce_implIS3_PKfPfPKifN6hipcub16HIPCUB_304000_NS6detail27convert_result_type_wrapperIS8_S9_N2at6native12_GLOBAL__N_19CustomMaxEEEEE10hipError_tPvRmT0_T1_jT2_SQ_T4_T3_P12ihipStream_tbEUlT_E_NS1_11comp_targetILNS1_3genE5ELNS1_11target_archE942ELNS1_3gpuE9ELNS1_3repE0EEENS1_30default_config_static_selectorELNS0_4arch9wavefront6targetE1EEEvSP_.has_dyn_sized_stack, 0
	.set _ZN7rocprim17ROCPRIM_400000_NS6detail17trampoline_kernelINS0_14default_configENS1_32segmented_reduce_config_selectorIfEEZNS1_21segmented_reduce_implIS3_PKfPfPKifN6hipcub16HIPCUB_304000_NS6detail27convert_result_type_wrapperIS8_S9_N2at6native12_GLOBAL__N_19CustomMaxEEEEE10hipError_tPvRmT0_T1_jT2_SQ_T4_T3_P12ihipStream_tbEUlT_E_NS1_11comp_targetILNS1_3genE5ELNS1_11target_archE942ELNS1_3gpuE9ELNS1_3repE0EEENS1_30default_config_static_selectorELNS0_4arch9wavefront6targetE1EEEvSP_.has_recursion, 0
	.set _ZN7rocprim17ROCPRIM_400000_NS6detail17trampoline_kernelINS0_14default_configENS1_32segmented_reduce_config_selectorIfEEZNS1_21segmented_reduce_implIS3_PKfPfPKifN6hipcub16HIPCUB_304000_NS6detail27convert_result_type_wrapperIS8_S9_N2at6native12_GLOBAL__N_19CustomMaxEEEEE10hipError_tPvRmT0_T1_jT2_SQ_T4_T3_P12ihipStream_tbEUlT_E_NS1_11comp_targetILNS1_3genE5ELNS1_11target_archE942ELNS1_3gpuE9ELNS1_3repE0EEENS1_30default_config_static_selectorELNS0_4arch9wavefront6targetE1EEEvSP_.has_indirect_call, 0
	.section	.AMDGPU.csdata,"",@progbits
; Kernel info:
; codeLenInByte = 0
; TotalNumSgprs: 4
; NumVgprs: 0
; ScratchSize: 0
; MemoryBound: 0
; FloatMode: 240
; IeeeMode: 1
; LDSByteSize: 0 bytes/workgroup (compile time only)
; SGPRBlocks: 0
; VGPRBlocks: 0
; NumSGPRsForWavesPerEU: 4
; NumVGPRsForWavesPerEU: 1
; Occupancy: 10
; WaveLimiterHint : 0
; COMPUTE_PGM_RSRC2:SCRATCH_EN: 0
; COMPUTE_PGM_RSRC2:USER_SGPR: 6
; COMPUTE_PGM_RSRC2:TRAP_HANDLER: 0
; COMPUTE_PGM_RSRC2:TGID_X_EN: 1
; COMPUTE_PGM_RSRC2:TGID_Y_EN: 0
; COMPUTE_PGM_RSRC2:TGID_Z_EN: 0
; COMPUTE_PGM_RSRC2:TIDIG_COMP_CNT: 0
	.section	.text._ZN7rocprim17ROCPRIM_400000_NS6detail17trampoline_kernelINS0_14default_configENS1_32segmented_reduce_config_selectorIfEEZNS1_21segmented_reduce_implIS3_PKfPfPKifN6hipcub16HIPCUB_304000_NS6detail27convert_result_type_wrapperIS8_S9_N2at6native12_GLOBAL__N_19CustomMaxEEEEE10hipError_tPvRmT0_T1_jT2_SQ_T4_T3_P12ihipStream_tbEUlT_E_NS1_11comp_targetILNS1_3genE10ELNS1_11target_archE1201ELNS1_3gpuE5ELNS1_3repE0EEENS1_30default_config_static_selectorELNS0_4arch9wavefront6targetE1EEEvSP_,"axG",@progbits,_ZN7rocprim17ROCPRIM_400000_NS6detail17trampoline_kernelINS0_14default_configENS1_32segmented_reduce_config_selectorIfEEZNS1_21segmented_reduce_implIS3_PKfPfPKifN6hipcub16HIPCUB_304000_NS6detail27convert_result_type_wrapperIS8_S9_N2at6native12_GLOBAL__N_19CustomMaxEEEEE10hipError_tPvRmT0_T1_jT2_SQ_T4_T3_P12ihipStream_tbEUlT_E_NS1_11comp_targetILNS1_3genE10ELNS1_11target_archE1201ELNS1_3gpuE5ELNS1_3repE0EEENS1_30default_config_static_selectorELNS0_4arch9wavefront6targetE1EEEvSP_,comdat
	.globl	_ZN7rocprim17ROCPRIM_400000_NS6detail17trampoline_kernelINS0_14default_configENS1_32segmented_reduce_config_selectorIfEEZNS1_21segmented_reduce_implIS3_PKfPfPKifN6hipcub16HIPCUB_304000_NS6detail27convert_result_type_wrapperIS8_S9_N2at6native12_GLOBAL__N_19CustomMaxEEEEE10hipError_tPvRmT0_T1_jT2_SQ_T4_T3_P12ihipStream_tbEUlT_E_NS1_11comp_targetILNS1_3genE10ELNS1_11target_archE1201ELNS1_3gpuE5ELNS1_3repE0EEENS1_30default_config_static_selectorELNS0_4arch9wavefront6targetE1EEEvSP_ ; -- Begin function _ZN7rocprim17ROCPRIM_400000_NS6detail17trampoline_kernelINS0_14default_configENS1_32segmented_reduce_config_selectorIfEEZNS1_21segmented_reduce_implIS3_PKfPfPKifN6hipcub16HIPCUB_304000_NS6detail27convert_result_type_wrapperIS8_S9_N2at6native12_GLOBAL__N_19CustomMaxEEEEE10hipError_tPvRmT0_T1_jT2_SQ_T4_T3_P12ihipStream_tbEUlT_E_NS1_11comp_targetILNS1_3genE10ELNS1_11target_archE1201ELNS1_3gpuE5ELNS1_3repE0EEENS1_30default_config_static_selectorELNS0_4arch9wavefront6targetE1EEEvSP_
	.p2align	8
	.type	_ZN7rocprim17ROCPRIM_400000_NS6detail17trampoline_kernelINS0_14default_configENS1_32segmented_reduce_config_selectorIfEEZNS1_21segmented_reduce_implIS3_PKfPfPKifN6hipcub16HIPCUB_304000_NS6detail27convert_result_type_wrapperIS8_S9_N2at6native12_GLOBAL__N_19CustomMaxEEEEE10hipError_tPvRmT0_T1_jT2_SQ_T4_T3_P12ihipStream_tbEUlT_E_NS1_11comp_targetILNS1_3genE10ELNS1_11target_archE1201ELNS1_3gpuE5ELNS1_3repE0EEENS1_30default_config_static_selectorELNS0_4arch9wavefront6targetE1EEEvSP_,@function
_ZN7rocprim17ROCPRIM_400000_NS6detail17trampoline_kernelINS0_14default_configENS1_32segmented_reduce_config_selectorIfEEZNS1_21segmented_reduce_implIS3_PKfPfPKifN6hipcub16HIPCUB_304000_NS6detail27convert_result_type_wrapperIS8_S9_N2at6native12_GLOBAL__N_19CustomMaxEEEEE10hipError_tPvRmT0_T1_jT2_SQ_T4_T3_P12ihipStream_tbEUlT_E_NS1_11comp_targetILNS1_3genE10ELNS1_11target_archE1201ELNS1_3gpuE5ELNS1_3repE0EEENS1_30default_config_static_selectorELNS0_4arch9wavefront6targetE1EEEvSP_: ; @_ZN7rocprim17ROCPRIM_400000_NS6detail17trampoline_kernelINS0_14default_configENS1_32segmented_reduce_config_selectorIfEEZNS1_21segmented_reduce_implIS3_PKfPfPKifN6hipcub16HIPCUB_304000_NS6detail27convert_result_type_wrapperIS8_S9_N2at6native12_GLOBAL__N_19CustomMaxEEEEE10hipError_tPvRmT0_T1_jT2_SQ_T4_T3_P12ihipStream_tbEUlT_E_NS1_11comp_targetILNS1_3genE10ELNS1_11target_archE1201ELNS1_3gpuE5ELNS1_3repE0EEENS1_30default_config_static_selectorELNS0_4arch9wavefront6targetE1EEEvSP_
; %bb.0:
	.section	.rodata,"a",@progbits
	.p2align	6, 0x0
	.amdhsa_kernel _ZN7rocprim17ROCPRIM_400000_NS6detail17trampoline_kernelINS0_14default_configENS1_32segmented_reduce_config_selectorIfEEZNS1_21segmented_reduce_implIS3_PKfPfPKifN6hipcub16HIPCUB_304000_NS6detail27convert_result_type_wrapperIS8_S9_N2at6native12_GLOBAL__N_19CustomMaxEEEEE10hipError_tPvRmT0_T1_jT2_SQ_T4_T3_P12ihipStream_tbEUlT_E_NS1_11comp_targetILNS1_3genE10ELNS1_11target_archE1201ELNS1_3gpuE5ELNS1_3repE0EEENS1_30default_config_static_selectorELNS0_4arch9wavefront6targetE1EEEvSP_
		.amdhsa_group_segment_fixed_size 0
		.amdhsa_private_segment_fixed_size 0
		.amdhsa_kernarg_size 48
		.amdhsa_user_sgpr_count 6
		.amdhsa_user_sgpr_private_segment_buffer 1
		.amdhsa_user_sgpr_dispatch_ptr 0
		.amdhsa_user_sgpr_queue_ptr 0
		.amdhsa_user_sgpr_kernarg_segment_ptr 1
		.amdhsa_user_sgpr_dispatch_id 0
		.amdhsa_user_sgpr_flat_scratch_init 0
		.amdhsa_user_sgpr_private_segment_size 0
		.amdhsa_uses_dynamic_stack 0
		.amdhsa_system_sgpr_private_segment_wavefront_offset 0
		.amdhsa_system_sgpr_workgroup_id_x 1
		.amdhsa_system_sgpr_workgroup_id_y 0
		.amdhsa_system_sgpr_workgroup_id_z 0
		.amdhsa_system_sgpr_workgroup_info 0
		.amdhsa_system_vgpr_workitem_id 0
		.amdhsa_next_free_vgpr 1
		.amdhsa_next_free_sgpr 0
		.amdhsa_reserve_vcc 0
		.amdhsa_reserve_flat_scratch 0
		.amdhsa_float_round_mode_32 0
		.amdhsa_float_round_mode_16_64 0
		.amdhsa_float_denorm_mode_32 3
		.amdhsa_float_denorm_mode_16_64 3
		.amdhsa_dx10_clamp 1
		.amdhsa_ieee_mode 1
		.amdhsa_fp16_overflow 0
		.amdhsa_exception_fp_ieee_invalid_op 0
		.amdhsa_exception_fp_denorm_src 0
		.amdhsa_exception_fp_ieee_div_zero 0
		.amdhsa_exception_fp_ieee_overflow 0
		.amdhsa_exception_fp_ieee_underflow 0
		.amdhsa_exception_fp_ieee_inexact 0
		.amdhsa_exception_int_div_zero 0
	.end_amdhsa_kernel
	.section	.text._ZN7rocprim17ROCPRIM_400000_NS6detail17trampoline_kernelINS0_14default_configENS1_32segmented_reduce_config_selectorIfEEZNS1_21segmented_reduce_implIS3_PKfPfPKifN6hipcub16HIPCUB_304000_NS6detail27convert_result_type_wrapperIS8_S9_N2at6native12_GLOBAL__N_19CustomMaxEEEEE10hipError_tPvRmT0_T1_jT2_SQ_T4_T3_P12ihipStream_tbEUlT_E_NS1_11comp_targetILNS1_3genE10ELNS1_11target_archE1201ELNS1_3gpuE5ELNS1_3repE0EEENS1_30default_config_static_selectorELNS0_4arch9wavefront6targetE1EEEvSP_,"axG",@progbits,_ZN7rocprim17ROCPRIM_400000_NS6detail17trampoline_kernelINS0_14default_configENS1_32segmented_reduce_config_selectorIfEEZNS1_21segmented_reduce_implIS3_PKfPfPKifN6hipcub16HIPCUB_304000_NS6detail27convert_result_type_wrapperIS8_S9_N2at6native12_GLOBAL__N_19CustomMaxEEEEE10hipError_tPvRmT0_T1_jT2_SQ_T4_T3_P12ihipStream_tbEUlT_E_NS1_11comp_targetILNS1_3genE10ELNS1_11target_archE1201ELNS1_3gpuE5ELNS1_3repE0EEENS1_30default_config_static_selectorELNS0_4arch9wavefront6targetE1EEEvSP_,comdat
.Lfunc_end45:
	.size	_ZN7rocprim17ROCPRIM_400000_NS6detail17trampoline_kernelINS0_14default_configENS1_32segmented_reduce_config_selectorIfEEZNS1_21segmented_reduce_implIS3_PKfPfPKifN6hipcub16HIPCUB_304000_NS6detail27convert_result_type_wrapperIS8_S9_N2at6native12_GLOBAL__N_19CustomMaxEEEEE10hipError_tPvRmT0_T1_jT2_SQ_T4_T3_P12ihipStream_tbEUlT_E_NS1_11comp_targetILNS1_3genE10ELNS1_11target_archE1201ELNS1_3gpuE5ELNS1_3repE0EEENS1_30default_config_static_selectorELNS0_4arch9wavefront6targetE1EEEvSP_, .Lfunc_end45-_ZN7rocprim17ROCPRIM_400000_NS6detail17trampoline_kernelINS0_14default_configENS1_32segmented_reduce_config_selectorIfEEZNS1_21segmented_reduce_implIS3_PKfPfPKifN6hipcub16HIPCUB_304000_NS6detail27convert_result_type_wrapperIS8_S9_N2at6native12_GLOBAL__N_19CustomMaxEEEEE10hipError_tPvRmT0_T1_jT2_SQ_T4_T3_P12ihipStream_tbEUlT_E_NS1_11comp_targetILNS1_3genE10ELNS1_11target_archE1201ELNS1_3gpuE5ELNS1_3repE0EEENS1_30default_config_static_selectorELNS0_4arch9wavefront6targetE1EEEvSP_
                                        ; -- End function
	.set _ZN7rocprim17ROCPRIM_400000_NS6detail17trampoline_kernelINS0_14default_configENS1_32segmented_reduce_config_selectorIfEEZNS1_21segmented_reduce_implIS3_PKfPfPKifN6hipcub16HIPCUB_304000_NS6detail27convert_result_type_wrapperIS8_S9_N2at6native12_GLOBAL__N_19CustomMaxEEEEE10hipError_tPvRmT0_T1_jT2_SQ_T4_T3_P12ihipStream_tbEUlT_E_NS1_11comp_targetILNS1_3genE10ELNS1_11target_archE1201ELNS1_3gpuE5ELNS1_3repE0EEENS1_30default_config_static_selectorELNS0_4arch9wavefront6targetE1EEEvSP_.num_vgpr, 0
	.set _ZN7rocprim17ROCPRIM_400000_NS6detail17trampoline_kernelINS0_14default_configENS1_32segmented_reduce_config_selectorIfEEZNS1_21segmented_reduce_implIS3_PKfPfPKifN6hipcub16HIPCUB_304000_NS6detail27convert_result_type_wrapperIS8_S9_N2at6native12_GLOBAL__N_19CustomMaxEEEEE10hipError_tPvRmT0_T1_jT2_SQ_T4_T3_P12ihipStream_tbEUlT_E_NS1_11comp_targetILNS1_3genE10ELNS1_11target_archE1201ELNS1_3gpuE5ELNS1_3repE0EEENS1_30default_config_static_selectorELNS0_4arch9wavefront6targetE1EEEvSP_.num_agpr, 0
	.set _ZN7rocprim17ROCPRIM_400000_NS6detail17trampoline_kernelINS0_14default_configENS1_32segmented_reduce_config_selectorIfEEZNS1_21segmented_reduce_implIS3_PKfPfPKifN6hipcub16HIPCUB_304000_NS6detail27convert_result_type_wrapperIS8_S9_N2at6native12_GLOBAL__N_19CustomMaxEEEEE10hipError_tPvRmT0_T1_jT2_SQ_T4_T3_P12ihipStream_tbEUlT_E_NS1_11comp_targetILNS1_3genE10ELNS1_11target_archE1201ELNS1_3gpuE5ELNS1_3repE0EEENS1_30default_config_static_selectorELNS0_4arch9wavefront6targetE1EEEvSP_.numbered_sgpr, 0
	.set _ZN7rocprim17ROCPRIM_400000_NS6detail17trampoline_kernelINS0_14default_configENS1_32segmented_reduce_config_selectorIfEEZNS1_21segmented_reduce_implIS3_PKfPfPKifN6hipcub16HIPCUB_304000_NS6detail27convert_result_type_wrapperIS8_S9_N2at6native12_GLOBAL__N_19CustomMaxEEEEE10hipError_tPvRmT0_T1_jT2_SQ_T4_T3_P12ihipStream_tbEUlT_E_NS1_11comp_targetILNS1_3genE10ELNS1_11target_archE1201ELNS1_3gpuE5ELNS1_3repE0EEENS1_30default_config_static_selectorELNS0_4arch9wavefront6targetE1EEEvSP_.num_named_barrier, 0
	.set _ZN7rocprim17ROCPRIM_400000_NS6detail17trampoline_kernelINS0_14default_configENS1_32segmented_reduce_config_selectorIfEEZNS1_21segmented_reduce_implIS3_PKfPfPKifN6hipcub16HIPCUB_304000_NS6detail27convert_result_type_wrapperIS8_S9_N2at6native12_GLOBAL__N_19CustomMaxEEEEE10hipError_tPvRmT0_T1_jT2_SQ_T4_T3_P12ihipStream_tbEUlT_E_NS1_11comp_targetILNS1_3genE10ELNS1_11target_archE1201ELNS1_3gpuE5ELNS1_3repE0EEENS1_30default_config_static_selectorELNS0_4arch9wavefront6targetE1EEEvSP_.private_seg_size, 0
	.set _ZN7rocprim17ROCPRIM_400000_NS6detail17trampoline_kernelINS0_14default_configENS1_32segmented_reduce_config_selectorIfEEZNS1_21segmented_reduce_implIS3_PKfPfPKifN6hipcub16HIPCUB_304000_NS6detail27convert_result_type_wrapperIS8_S9_N2at6native12_GLOBAL__N_19CustomMaxEEEEE10hipError_tPvRmT0_T1_jT2_SQ_T4_T3_P12ihipStream_tbEUlT_E_NS1_11comp_targetILNS1_3genE10ELNS1_11target_archE1201ELNS1_3gpuE5ELNS1_3repE0EEENS1_30default_config_static_selectorELNS0_4arch9wavefront6targetE1EEEvSP_.uses_vcc, 0
	.set _ZN7rocprim17ROCPRIM_400000_NS6detail17trampoline_kernelINS0_14default_configENS1_32segmented_reduce_config_selectorIfEEZNS1_21segmented_reduce_implIS3_PKfPfPKifN6hipcub16HIPCUB_304000_NS6detail27convert_result_type_wrapperIS8_S9_N2at6native12_GLOBAL__N_19CustomMaxEEEEE10hipError_tPvRmT0_T1_jT2_SQ_T4_T3_P12ihipStream_tbEUlT_E_NS1_11comp_targetILNS1_3genE10ELNS1_11target_archE1201ELNS1_3gpuE5ELNS1_3repE0EEENS1_30default_config_static_selectorELNS0_4arch9wavefront6targetE1EEEvSP_.uses_flat_scratch, 0
	.set _ZN7rocprim17ROCPRIM_400000_NS6detail17trampoline_kernelINS0_14default_configENS1_32segmented_reduce_config_selectorIfEEZNS1_21segmented_reduce_implIS3_PKfPfPKifN6hipcub16HIPCUB_304000_NS6detail27convert_result_type_wrapperIS8_S9_N2at6native12_GLOBAL__N_19CustomMaxEEEEE10hipError_tPvRmT0_T1_jT2_SQ_T4_T3_P12ihipStream_tbEUlT_E_NS1_11comp_targetILNS1_3genE10ELNS1_11target_archE1201ELNS1_3gpuE5ELNS1_3repE0EEENS1_30default_config_static_selectorELNS0_4arch9wavefront6targetE1EEEvSP_.has_dyn_sized_stack, 0
	.set _ZN7rocprim17ROCPRIM_400000_NS6detail17trampoline_kernelINS0_14default_configENS1_32segmented_reduce_config_selectorIfEEZNS1_21segmented_reduce_implIS3_PKfPfPKifN6hipcub16HIPCUB_304000_NS6detail27convert_result_type_wrapperIS8_S9_N2at6native12_GLOBAL__N_19CustomMaxEEEEE10hipError_tPvRmT0_T1_jT2_SQ_T4_T3_P12ihipStream_tbEUlT_E_NS1_11comp_targetILNS1_3genE10ELNS1_11target_archE1201ELNS1_3gpuE5ELNS1_3repE0EEENS1_30default_config_static_selectorELNS0_4arch9wavefront6targetE1EEEvSP_.has_recursion, 0
	.set _ZN7rocprim17ROCPRIM_400000_NS6detail17trampoline_kernelINS0_14default_configENS1_32segmented_reduce_config_selectorIfEEZNS1_21segmented_reduce_implIS3_PKfPfPKifN6hipcub16HIPCUB_304000_NS6detail27convert_result_type_wrapperIS8_S9_N2at6native12_GLOBAL__N_19CustomMaxEEEEE10hipError_tPvRmT0_T1_jT2_SQ_T4_T3_P12ihipStream_tbEUlT_E_NS1_11comp_targetILNS1_3genE10ELNS1_11target_archE1201ELNS1_3gpuE5ELNS1_3repE0EEENS1_30default_config_static_selectorELNS0_4arch9wavefront6targetE1EEEvSP_.has_indirect_call, 0
	.section	.AMDGPU.csdata,"",@progbits
; Kernel info:
; codeLenInByte = 0
; TotalNumSgprs: 4
; NumVgprs: 0
; ScratchSize: 0
; MemoryBound: 0
; FloatMode: 240
; IeeeMode: 1
; LDSByteSize: 0 bytes/workgroup (compile time only)
; SGPRBlocks: 0
; VGPRBlocks: 0
; NumSGPRsForWavesPerEU: 4
; NumVGPRsForWavesPerEU: 1
; Occupancy: 10
; WaveLimiterHint : 0
; COMPUTE_PGM_RSRC2:SCRATCH_EN: 0
; COMPUTE_PGM_RSRC2:USER_SGPR: 6
; COMPUTE_PGM_RSRC2:TRAP_HANDLER: 0
; COMPUTE_PGM_RSRC2:TGID_X_EN: 1
; COMPUTE_PGM_RSRC2:TGID_Y_EN: 0
; COMPUTE_PGM_RSRC2:TGID_Z_EN: 0
; COMPUTE_PGM_RSRC2:TIDIG_COMP_CNT: 0
	.section	.text._ZN7rocprim17ROCPRIM_400000_NS6detail17trampoline_kernelINS0_14default_configENS1_32segmented_reduce_config_selectorIfEEZNS1_21segmented_reduce_implIS3_PKfPfPKifN6hipcub16HIPCUB_304000_NS6detail27convert_result_type_wrapperIS8_S9_N2at6native12_GLOBAL__N_19CustomMaxEEEEE10hipError_tPvRmT0_T1_jT2_SQ_T4_T3_P12ihipStream_tbEUlT_E_NS1_11comp_targetILNS1_3genE4ELNS1_11target_archE910ELNS1_3gpuE8ELNS1_3repE0EEENS1_30default_config_static_selectorELNS0_4arch9wavefront6targetE1EEEvSP_,"axG",@progbits,_ZN7rocprim17ROCPRIM_400000_NS6detail17trampoline_kernelINS0_14default_configENS1_32segmented_reduce_config_selectorIfEEZNS1_21segmented_reduce_implIS3_PKfPfPKifN6hipcub16HIPCUB_304000_NS6detail27convert_result_type_wrapperIS8_S9_N2at6native12_GLOBAL__N_19CustomMaxEEEEE10hipError_tPvRmT0_T1_jT2_SQ_T4_T3_P12ihipStream_tbEUlT_E_NS1_11comp_targetILNS1_3genE4ELNS1_11target_archE910ELNS1_3gpuE8ELNS1_3repE0EEENS1_30default_config_static_selectorELNS0_4arch9wavefront6targetE1EEEvSP_,comdat
	.globl	_ZN7rocprim17ROCPRIM_400000_NS6detail17trampoline_kernelINS0_14default_configENS1_32segmented_reduce_config_selectorIfEEZNS1_21segmented_reduce_implIS3_PKfPfPKifN6hipcub16HIPCUB_304000_NS6detail27convert_result_type_wrapperIS8_S9_N2at6native12_GLOBAL__N_19CustomMaxEEEEE10hipError_tPvRmT0_T1_jT2_SQ_T4_T3_P12ihipStream_tbEUlT_E_NS1_11comp_targetILNS1_3genE4ELNS1_11target_archE910ELNS1_3gpuE8ELNS1_3repE0EEENS1_30default_config_static_selectorELNS0_4arch9wavefront6targetE1EEEvSP_ ; -- Begin function _ZN7rocprim17ROCPRIM_400000_NS6detail17trampoline_kernelINS0_14default_configENS1_32segmented_reduce_config_selectorIfEEZNS1_21segmented_reduce_implIS3_PKfPfPKifN6hipcub16HIPCUB_304000_NS6detail27convert_result_type_wrapperIS8_S9_N2at6native12_GLOBAL__N_19CustomMaxEEEEE10hipError_tPvRmT0_T1_jT2_SQ_T4_T3_P12ihipStream_tbEUlT_E_NS1_11comp_targetILNS1_3genE4ELNS1_11target_archE910ELNS1_3gpuE8ELNS1_3repE0EEENS1_30default_config_static_selectorELNS0_4arch9wavefront6targetE1EEEvSP_
	.p2align	8
	.type	_ZN7rocprim17ROCPRIM_400000_NS6detail17trampoline_kernelINS0_14default_configENS1_32segmented_reduce_config_selectorIfEEZNS1_21segmented_reduce_implIS3_PKfPfPKifN6hipcub16HIPCUB_304000_NS6detail27convert_result_type_wrapperIS8_S9_N2at6native12_GLOBAL__N_19CustomMaxEEEEE10hipError_tPvRmT0_T1_jT2_SQ_T4_T3_P12ihipStream_tbEUlT_E_NS1_11comp_targetILNS1_3genE4ELNS1_11target_archE910ELNS1_3gpuE8ELNS1_3repE0EEENS1_30default_config_static_selectorELNS0_4arch9wavefront6targetE1EEEvSP_,@function
_ZN7rocprim17ROCPRIM_400000_NS6detail17trampoline_kernelINS0_14default_configENS1_32segmented_reduce_config_selectorIfEEZNS1_21segmented_reduce_implIS3_PKfPfPKifN6hipcub16HIPCUB_304000_NS6detail27convert_result_type_wrapperIS8_S9_N2at6native12_GLOBAL__N_19CustomMaxEEEEE10hipError_tPvRmT0_T1_jT2_SQ_T4_T3_P12ihipStream_tbEUlT_E_NS1_11comp_targetILNS1_3genE4ELNS1_11target_archE910ELNS1_3gpuE8ELNS1_3repE0EEENS1_30default_config_static_selectorELNS0_4arch9wavefront6targetE1EEEvSP_: ; @_ZN7rocprim17ROCPRIM_400000_NS6detail17trampoline_kernelINS0_14default_configENS1_32segmented_reduce_config_selectorIfEEZNS1_21segmented_reduce_implIS3_PKfPfPKifN6hipcub16HIPCUB_304000_NS6detail27convert_result_type_wrapperIS8_S9_N2at6native12_GLOBAL__N_19CustomMaxEEEEE10hipError_tPvRmT0_T1_jT2_SQ_T4_T3_P12ihipStream_tbEUlT_E_NS1_11comp_targetILNS1_3genE4ELNS1_11target_archE910ELNS1_3gpuE8ELNS1_3repE0EEENS1_30default_config_static_selectorELNS0_4arch9wavefront6targetE1EEEvSP_
; %bb.0:
	.section	.rodata,"a",@progbits
	.p2align	6, 0x0
	.amdhsa_kernel _ZN7rocprim17ROCPRIM_400000_NS6detail17trampoline_kernelINS0_14default_configENS1_32segmented_reduce_config_selectorIfEEZNS1_21segmented_reduce_implIS3_PKfPfPKifN6hipcub16HIPCUB_304000_NS6detail27convert_result_type_wrapperIS8_S9_N2at6native12_GLOBAL__N_19CustomMaxEEEEE10hipError_tPvRmT0_T1_jT2_SQ_T4_T3_P12ihipStream_tbEUlT_E_NS1_11comp_targetILNS1_3genE4ELNS1_11target_archE910ELNS1_3gpuE8ELNS1_3repE0EEENS1_30default_config_static_selectorELNS0_4arch9wavefront6targetE1EEEvSP_
		.amdhsa_group_segment_fixed_size 0
		.amdhsa_private_segment_fixed_size 0
		.amdhsa_kernarg_size 48
		.amdhsa_user_sgpr_count 6
		.amdhsa_user_sgpr_private_segment_buffer 1
		.amdhsa_user_sgpr_dispatch_ptr 0
		.amdhsa_user_sgpr_queue_ptr 0
		.amdhsa_user_sgpr_kernarg_segment_ptr 1
		.amdhsa_user_sgpr_dispatch_id 0
		.amdhsa_user_sgpr_flat_scratch_init 0
		.amdhsa_user_sgpr_private_segment_size 0
		.amdhsa_uses_dynamic_stack 0
		.amdhsa_system_sgpr_private_segment_wavefront_offset 0
		.amdhsa_system_sgpr_workgroup_id_x 1
		.amdhsa_system_sgpr_workgroup_id_y 0
		.amdhsa_system_sgpr_workgroup_id_z 0
		.amdhsa_system_sgpr_workgroup_info 0
		.amdhsa_system_vgpr_workitem_id 0
		.amdhsa_next_free_vgpr 1
		.amdhsa_next_free_sgpr 0
		.amdhsa_reserve_vcc 0
		.amdhsa_reserve_flat_scratch 0
		.amdhsa_float_round_mode_32 0
		.amdhsa_float_round_mode_16_64 0
		.amdhsa_float_denorm_mode_32 3
		.amdhsa_float_denorm_mode_16_64 3
		.amdhsa_dx10_clamp 1
		.amdhsa_ieee_mode 1
		.amdhsa_fp16_overflow 0
		.amdhsa_exception_fp_ieee_invalid_op 0
		.amdhsa_exception_fp_denorm_src 0
		.amdhsa_exception_fp_ieee_div_zero 0
		.amdhsa_exception_fp_ieee_overflow 0
		.amdhsa_exception_fp_ieee_underflow 0
		.amdhsa_exception_fp_ieee_inexact 0
		.amdhsa_exception_int_div_zero 0
	.end_amdhsa_kernel
	.section	.text._ZN7rocprim17ROCPRIM_400000_NS6detail17trampoline_kernelINS0_14default_configENS1_32segmented_reduce_config_selectorIfEEZNS1_21segmented_reduce_implIS3_PKfPfPKifN6hipcub16HIPCUB_304000_NS6detail27convert_result_type_wrapperIS8_S9_N2at6native12_GLOBAL__N_19CustomMaxEEEEE10hipError_tPvRmT0_T1_jT2_SQ_T4_T3_P12ihipStream_tbEUlT_E_NS1_11comp_targetILNS1_3genE4ELNS1_11target_archE910ELNS1_3gpuE8ELNS1_3repE0EEENS1_30default_config_static_selectorELNS0_4arch9wavefront6targetE1EEEvSP_,"axG",@progbits,_ZN7rocprim17ROCPRIM_400000_NS6detail17trampoline_kernelINS0_14default_configENS1_32segmented_reduce_config_selectorIfEEZNS1_21segmented_reduce_implIS3_PKfPfPKifN6hipcub16HIPCUB_304000_NS6detail27convert_result_type_wrapperIS8_S9_N2at6native12_GLOBAL__N_19CustomMaxEEEEE10hipError_tPvRmT0_T1_jT2_SQ_T4_T3_P12ihipStream_tbEUlT_E_NS1_11comp_targetILNS1_3genE4ELNS1_11target_archE910ELNS1_3gpuE8ELNS1_3repE0EEENS1_30default_config_static_selectorELNS0_4arch9wavefront6targetE1EEEvSP_,comdat
.Lfunc_end46:
	.size	_ZN7rocprim17ROCPRIM_400000_NS6detail17trampoline_kernelINS0_14default_configENS1_32segmented_reduce_config_selectorIfEEZNS1_21segmented_reduce_implIS3_PKfPfPKifN6hipcub16HIPCUB_304000_NS6detail27convert_result_type_wrapperIS8_S9_N2at6native12_GLOBAL__N_19CustomMaxEEEEE10hipError_tPvRmT0_T1_jT2_SQ_T4_T3_P12ihipStream_tbEUlT_E_NS1_11comp_targetILNS1_3genE4ELNS1_11target_archE910ELNS1_3gpuE8ELNS1_3repE0EEENS1_30default_config_static_selectorELNS0_4arch9wavefront6targetE1EEEvSP_, .Lfunc_end46-_ZN7rocprim17ROCPRIM_400000_NS6detail17trampoline_kernelINS0_14default_configENS1_32segmented_reduce_config_selectorIfEEZNS1_21segmented_reduce_implIS3_PKfPfPKifN6hipcub16HIPCUB_304000_NS6detail27convert_result_type_wrapperIS8_S9_N2at6native12_GLOBAL__N_19CustomMaxEEEEE10hipError_tPvRmT0_T1_jT2_SQ_T4_T3_P12ihipStream_tbEUlT_E_NS1_11comp_targetILNS1_3genE4ELNS1_11target_archE910ELNS1_3gpuE8ELNS1_3repE0EEENS1_30default_config_static_selectorELNS0_4arch9wavefront6targetE1EEEvSP_
                                        ; -- End function
	.set _ZN7rocprim17ROCPRIM_400000_NS6detail17trampoline_kernelINS0_14default_configENS1_32segmented_reduce_config_selectorIfEEZNS1_21segmented_reduce_implIS3_PKfPfPKifN6hipcub16HIPCUB_304000_NS6detail27convert_result_type_wrapperIS8_S9_N2at6native12_GLOBAL__N_19CustomMaxEEEEE10hipError_tPvRmT0_T1_jT2_SQ_T4_T3_P12ihipStream_tbEUlT_E_NS1_11comp_targetILNS1_3genE4ELNS1_11target_archE910ELNS1_3gpuE8ELNS1_3repE0EEENS1_30default_config_static_selectorELNS0_4arch9wavefront6targetE1EEEvSP_.num_vgpr, 0
	.set _ZN7rocprim17ROCPRIM_400000_NS6detail17trampoline_kernelINS0_14default_configENS1_32segmented_reduce_config_selectorIfEEZNS1_21segmented_reduce_implIS3_PKfPfPKifN6hipcub16HIPCUB_304000_NS6detail27convert_result_type_wrapperIS8_S9_N2at6native12_GLOBAL__N_19CustomMaxEEEEE10hipError_tPvRmT0_T1_jT2_SQ_T4_T3_P12ihipStream_tbEUlT_E_NS1_11comp_targetILNS1_3genE4ELNS1_11target_archE910ELNS1_3gpuE8ELNS1_3repE0EEENS1_30default_config_static_selectorELNS0_4arch9wavefront6targetE1EEEvSP_.num_agpr, 0
	.set _ZN7rocprim17ROCPRIM_400000_NS6detail17trampoline_kernelINS0_14default_configENS1_32segmented_reduce_config_selectorIfEEZNS1_21segmented_reduce_implIS3_PKfPfPKifN6hipcub16HIPCUB_304000_NS6detail27convert_result_type_wrapperIS8_S9_N2at6native12_GLOBAL__N_19CustomMaxEEEEE10hipError_tPvRmT0_T1_jT2_SQ_T4_T3_P12ihipStream_tbEUlT_E_NS1_11comp_targetILNS1_3genE4ELNS1_11target_archE910ELNS1_3gpuE8ELNS1_3repE0EEENS1_30default_config_static_selectorELNS0_4arch9wavefront6targetE1EEEvSP_.numbered_sgpr, 0
	.set _ZN7rocprim17ROCPRIM_400000_NS6detail17trampoline_kernelINS0_14default_configENS1_32segmented_reduce_config_selectorIfEEZNS1_21segmented_reduce_implIS3_PKfPfPKifN6hipcub16HIPCUB_304000_NS6detail27convert_result_type_wrapperIS8_S9_N2at6native12_GLOBAL__N_19CustomMaxEEEEE10hipError_tPvRmT0_T1_jT2_SQ_T4_T3_P12ihipStream_tbEUlT_E_NS1_11comp_targetILNS1_3genE4ELNS1_11target_archE910ELNS1_3gpuE8ELNS1_3repE0EEENS1_30default_config_static_selectorELNS0_4arch9wavefront6targetE1EEEvSP_.num_named_barrier, 0
	.set _ZN7rocprim17ROCPRIM_400000_NS6detail17trampoline_kernelINS0_14default_configENS1_32segmented_reduce_config_selectorIfEEZNS1_21segmented_reduce_implIS3_PKfPfPKifN6hipcub16HIPCUB_304000_NS6detail27convert_result_type_wrapperIS8_S9_N2at6native12_GLOBAL__N_19CustomMaxEEEEE10hipError_tPvRmT0_T1_jT2_SQ_T4_T3_P12ihipStream_tbEUlT_E_NS1_11comp_targetILNS1_3genE4ELNS1_11target_archE910ELNS1_3gpuE8ELNS1_3repE0EEENS1_30default_config_static_selectorELNS0_4arch9wavefront6targetE1EEEvSP_.private_seg_size, 0
	.set _ZN7rocprim17ROCPRIM_400000_NS6detail17trampoline_kernelINS0_14default_configENS1_32segmented_reduce_config_selectorIfEEZNS1_21segmented_reduce_implIS3_PKfPfPKifN6hipcub16HIPCUB_304000_NS6detail27convert_result_type_wrapperIS8_S9_N2at6native12_GLOBAL__N_19CustomMaxEEEEE10hipError_tPvRmT0_T1_jT2_SQ_T4_T3_P12ihipStream_tbEUlT_E_NS1_11comp_targetILNS1_3genE4ELNS1_11target_archE910ELNS1_3gpuE8ELNS1_3repE0EEENS1_30default_config_static_selectorELNS0_4arch9wavefront6targetE1EEEvSP_.uses_vcc, 0
	.set _ZN7rocprim17ROCPRIM_400000_NS6detail17trampoline_kernelINS0_14default_configENS1_32segmented_reduce_config_selectorIfEEZNS1_21segmented_reduce_implIS3_PKfPfPKifN6hipcub16HIPCUB_304000_NS6detail27convert_result_type_wrapperIS8_S9_N2at6native12_GLOBAL__N_19CustomMaxEEEEE10hipError_tPvRmT0_T1_jT2_SQ_T4_T3_P12ihipStream_tbEUlT_E_NS1_11comp_targetILNS1_3genE4ELNS1_11target_archE910ELNS1_3gpuE8ELNS1_3repE0EEENS1_30default_config_static_selectorELNS0_4arch9wavefront6targetE1EEEvSP_.uses_flat_scratch, 0
	.set _ZN7rocprim17ROCPRIM_400000_NS6detail17trampoline_kernelINS0_14default_configENS1_32segmented_reduce_config_selectorIfEEZNS1_21segmented_reduce_implIS3_PKfPfPKifN6hipcub16HIPCUB_304000_NS6detail27convert_result_type_wrapperIS8_S9_N2at6native12_GLOBAL__N_19CustomMaxEEEEE10hipError_tPvRmT0_T1_jT2_SQ_T4_T3_P12ihipStream_tbEUlT_E_NS1_11comp_targetILNS1_3genE4ELNS1_11target_archE910ELNS1_3gpuE8ELNS1_3repE0EEENS1_30default_config_static_selectorELNS0_4arch9wavefront6targetE1EEEvSP_.has_dyn_sized_stack, 0
	.set _ZN7rocprim17ROCPRIM_400000_NS6detail17trampoline_kernelINS0_14default_configENS1_32segmented_reduce_config_selectorIfEEZNS1_21segmented_reduce_implIS3_PKfPfPKifN6hipcub16HIPCUB_304000_NS6detail27convert_result_type_wrapperIS8_S9_N2at6native12_GLOBAL__N_19CustomMaxEEEEE10hipError_tPvRmT0_T1_jT2_SQ_T4_T3_P12ihipStream_tbEUlT_E_NS1_11comp_targetILNS1_3genE4ELNS1_11target_archE910ELNS1_3gpuE8ELNS1_3repE0EEENS1_30default_config_static_selectorELNS0_4arch9wavefront6targetE1EEEvSP_.has_recursion, 0
	.set _ZN7rocprim17ROCPRIM_400000_NS6detail17trampoline_kernelINS0_14default_configENS1_32segmented_reduce_config_selectorIfEEZNS1_21segmented_reduce_implIS3_PKfPfPKifN6hipcub16HIPCUB_304000_NS6detail27convert_result_type_wrapperIS8_S9_N2at6native12_GLOBAL__N_19CustomMaxEEEEE10hipError_tPvRmT0_T1_jT2_SQ_T4_T3_P12ihipStream_tbEUlT_E_NS1_11comp_targetILNS1_3genE4ELNS1_11target_archE910ELNS1_3gpuE8ELNS1_3repE0EEENS1_30default_config_static_selectorELNS0_4arch9wavefront6targetE1EEEvSP_.has_indirect_call, 0
	.section	.AMDGPU.csdata,"",@progbits
; Kernel info:
; codeLenInByte = 0
; TotalNumSgprs: 4
; NumVgprs: 0
; ScratchSize: 0
; MemoryBound: 0
; FloatMode: 240
; IeeeMode: 1
; LDSByteSize: 0 bytes/workgroup (compile time only)
; SGPRBlocks: 0
; VGPRBlocks: 0
; NumSGPRsForWavesPerEU: 4
; NumVGPRsForWavesPerEU: 1
; Occupancy: 10
; WaveLimiterHint : 0
; COMPUTE_PGM_RSRC2:SCRATCH_EN: 0
; COMPUTE_PGM_RSRC2:USER_SGPR: 6
; COMPUTE_PGM_RSRC2:TRAP_HANDLER: 0
; COMPUTE_PGM_RSRC2:TGID_X_EN: 1
; COMPUTE_PGM_RSRC2:TGID_Y_EN: 0
; COMPUTE_PGM_RSRC2:TGID_Z_EN: 0
; COMPUTE_PGM_RSRC2:TIDIG_COMP_CNT: 0
	.section	.text._ZN7rocprim17ROCPRIM_400000_NS6detail17trampoline_kernelINS0_14default_configENS1_32segmented_reduce_config_selectorIfEEZNS1_21segmented_reduce_implIS3_PKfPfPKifN6hipcub16HIPCUB_304000_NS6detail27convert_result_type_wrapperIS8_S9_N2at6native12_GLOBAL__N_19CustomMaxEEEEE10hipError_tPvRmT0_T1_jT2_SQ_T4_T3_P12ihipStream_tbEUlT_E_NS1_11comp_targetILNS1_3genE3ELNS1_11target_archE908ELNS1_3gpuE7ELNS1_3repE0EEENS1_30default_config_static_selectorELNS0_4arch9wavefront6targetE1EEEvSP_,"axG",@progbits,_ZN7rocprim17ROCPRIM_400000_NS6detail17trampoline_kernelINS0_14default_configENS1_32segmented_reduce_config_selectorIfEEZNS1_21segmented_reduce_implIS3_PKfPfPKifN6hipcub16HIPCUB_304000_NS6detail27convert_result_type_wrapperIS8_S9_N2at6native12_GLOBAL__N_19CustomMaxEEEEE10hipError_tPvRmT0_T1_jT2_SQ_T4_T3_P12ihipStream_tbEUlT_E_NS1_11comp_targetILNS1_3genE3ELNS1_11target_archE908ELNS1_3gpuE7ELNS1_3repE0EEENS1_30default_config_static_selectorELNS0_4arch9wavefront6targetE1EEEvSP_,comdat
	.globl	_ZN7rocprim17ROCPRIM_400000_NS6detail17trampoline_kernelINS0_14default_configENS1_32segmented_reduce_config_selectorIfEEZNS1_21segmented_reduce_implIS3_PKfPfPKifN6hipcub16HIPCUB_304000_NS6detail27convert_result_type_wrapperIS8_S9_N2at6native12_GLOBAL__N_19CustomMaxEEEEE10hipError_tPvRmT0_T1_jT2_SQ_T4_T3_P12ihipStream_tbEUlT_E_NS1_11comp_targetILNS1_3genE3ELNS1_11target_archE908ELNS1_3gpuE7ELNS1_3repE0EEENS1_30default_config_static_selectorELNS0_4arch9wavefront6targetE1EEEvSP_ ; -- Begin function _ZN7rocprim17ROCPRIM_400000_NS6detail17trampoline_kernelINS0_14default_configENS1_32segmented_reduce_config_selectorIfEEZNS1_21segmented_reduce_implIS3_PKfPfPKifN6hipcub16HIPCUB_304000_NS6detail27convert_result_type_wrapperIS8_S9_N2at6native12_GLOBAL__N_19CustomMaxEEEEE10hipError_tPvRmT0_T1_jT2_SQ_T4_T3_P12ihipStream_tbEUlT_E_NS1_11comp_targetILNS1_3genE3ELNS1_11target_archE908ELNS1_3gpuE7ELNS1_3repE0EEENS1_30default_config_static_selectorELNS0_4arch9wavefront6targetE1EEEvSP_
	.p2align	8
	.type	_ZN7rocprim17ROCPRIM_400000_NS6detail17trampoline_kernelINS0_14default_configENS1_32segmented_reduce_config_selectorIfEEZNS1_21segmented_reduce_implIS3_PKfPfPKifN6hipcub16HIPCUB_304000_NS6detail27convert_result_type_wrapperIS8_S9_N2at6native12_GLOBAL__N_19CustomMaxEEEEE10hipError_tPvRmT0_T1_jT2_SQ_T4_T3_P12ihipStream_tbEUlT_E_NS1_11comp_targetILNS1_3genE3ELNS1_11target_archE908ELNS1_3gpuE7ELNS1_3repE0EEENS1_30default_config_static_selectorELNS0_4arch9wavefront6targetE1EEEvSP_,@function
_ZN7rocprim17ROCPRIM_400000_NS6detail17trampoline_kernelINS0_14default_configENS1_32segmented_reduce_config_selectorIfEEZNS1_21segmented_reduce_implIS3_PKfPfPKifN6hipcub16HIPCUB_304000_NS6detail27convert_result_type_wrapperIS8_S9_N2at6native12_GLOBAL__N_19CustomMaxEEEEE10hipError_tPvRmT0_T1_jT2_SQ_T4_T3_P12ihipStream_tbEUlT_E_NS1_11comp_targetILNS1_3genE3ELNS1_11target_archE908ELNS1_3gpuE7ELNS1_3repE0EEENS1_30default_config_static_selectorELNS0_4arch9wavefront6targetE1EEEvSP_: ; @_ZN7rocprim17ROCPRIM_400000_NS6detail17trampoline_kernelINS0_14default_configENS1_32segmented_reduce_config_selectorIfEEZNS1_21segmented_reduce_implIS3_PKfPfPKifN6hipcub16HIPCUB_304000_NS6detail27convert_result_type_wrapperIS8_S9_N2at6native12_GLOBAL__N_19CustomMaxEEEEE10hipError_tPvRmT0_T1_jT2_SQ_T4_T3_P12ihipStream_tbEUlT_E_NS1_11comp_targetILNS1_3genE3ELNS1_11target_archE908ELNS1_3gpuE7ELNS1_3repE0EEENS1_30default_config_static_selectorELNS0_4arch9wavefront6targetE1EEEvSP_
; %bb.0:
	.section	.rodata,"a",@progbits
	.p2align	6, 0x0
	.amdhsa_kernel _ZN7rocprim17ROCPRIM_400000_NS6detail17trampoline_kernelINS0_14default_configENS1_32segmented_reduce_config_selectorIfEEZNS1_21segmented_reduce_implIS3_PKfPfPKifN6hipcub16HIPCUB_304000_NS6detail27convert_result_type_wrapperIS8_S9_N2at6native12_GLOBAL__N_19CustomMaxEEEEE10hipError_tPvRmT0_T1_jT2_SQ_T4_T3_P12ihipStream_tbEUlT_E_NS1_11comp_targetILNS1_3genE3ELNS1_11target_archE908ELNS1_3gpuE7ELNS1_3repE0EEENS1_30default_config_static_selectorELNS0_4arch9wavefront6targetE1EEEvSP_
		.amdhsa_group_segment_fixed_size 0
		.amdhsa_private_segment_fixed_size 0
		.amdhsa_kernarg_size 48
		.amdhsa_user_sgpr_count 6
		.amdhsa_user_sgpr_private_segment_buffer 1
		.amdhsa_user_sgpr_dispatch_ptr 0
		.amdhsa_user_sgpr_queue_ptr 0
		.amdhsa_user_sgpr_kernarg_segment_ptr 1
		.amdhsa_user_sgpr_dispatch_id 0
		.amdhsa_user_sgpr_flat_scratch_init 0
		.amdhsa_user_sgpr_private_segment_size 0
		.amdhsa_uses_dynamic_stack 0
		.amdhsa_system_sgpr_private_segment_wavefront_offset 0
		.amdhsa_system_sgpr_workgroup_id_x 1
		.amdhsa_system_sgpr_workgroup_id_y 0
		.amdhsa_system_sgpr_workgroup_id_z 0
		.amdhsa_system_sgpr_workgroup_info 0
		.amdhsa_system_vgpr_workitem_id 0
		.amdhsa_next_free_vgpr 1
		.amdhsa_next_free_sgpr 0
		.amdhsa_reserve_vcc 0
		.amdhsa_reserve_flat_scratch 0
		.amdhsa_float_round_mode_32 0
		.amdhsa_float_round_mode_16_64 0
		.amdhsa_float_denorm_mode_32 3
		.amdhsa_float_denorm_mode_16_64 3
		.amdhsa_dx10_clamp 1
		.amdhsa_ieee_mode 1
		.amdhsa_fp16_overflow 0
		.amdhsa_exception_fp_ieee_invalid_op 0
		.amdhsa_exception_fp_denorm_src 0
		.amdhsa_exception_fp_ieee_div_zero 0
		.amdhsa_exception_fp_ieee_overflow 0
		.amdhsa_exception_fp_ieee_underflow 0
		.amdhsa_exception_fp_ieee_inexact 0
		.amdhsa_exception_int_div_zero 0
	.end_amdhsa_kernel
	.section	.text._ZN7rocprim17ROCPRIM_400000_NS6detail17trampoline_kernelINS0_14default_configENS1_32segmented_reduce_config_selectorIfEEZNS1_21segmented_reduce_implIS3_PKfPfPKifN6hipcub16HIPCUB_304000_NS6detail27convert_result_type_wrapperIS8_S9_N2at6native12_GLOBAL__N_19CustomMaxEEEEE10hipError_tPvRmT0_T1_jT2_SQ_T4_T3_P12ihipStream_tbEUlT_E_NS1_11comp_targetILNS1_3genE3ELNS1_11target_archE908ELNS1_3gpuE7ELNS1_3repE0EEENS1_30default_config_static_selectorELNS0_4arch9wavefront6targetE1EEEvSP_,"axG",@progbits,_ZN7rocprim17ROCPRIM_400000_NS6detail17trampoline_kernelINS0_14default_configENS1_32segmented_reduce_config_selectorIfEEZNS1_21segmented_reduce_implIS3_PKfPfPKifN6hipcub16HIPCUB_304000_NS6detail27convert_result_type_wrapperIS8_S9_N2at6native12_GLOBAL__N_19CustomMaxEEEEE10hipError_tPvRmT0_T1_jT2_SQ_T4_T3_P12ihipStream_tbEUlT_E_NS1_11comp_targetILNS1_3genE3ELNS1_11target_archE908ELNS1_3gpuE7ELNS1_3repE0EEENS1_30default_config_static_selectorELNS0_4arch9wavefront6targetE1EEEvSP_,comdat
.Lfunc_end47:
	.size	_ZN7rocprim17ROCPRIM_400000_NS6detail17trampoline_kernelINS0_14default_configENS1_32segmented_reduce_config_selectorIfEEZNS1_21segmented_reduce_implIS3_PKfPfPKifN6hipcub16HIPCUB_304000_NS6detail27convert_result_type_wrapperIS8_S9_N2at6native12_GLOBAL__N_19CustomMaxEEEEE10hipError_tPvRmT0_T1_jT2_SQ_T4_T3_P12ihipStream_tbEUlT_E_NS1_11comp_targetILNS1_3genE3ELNS1_11target_archE908ELNS1_3gpuE7ELNS1_3repE0EEENS1_30default_config_static_selectorELNS0_4arch9wavefront6targetE1EEEvSP_, .Lfunc_end47-_ZN7rocprim17ROCPRIM_400000_NS6detail17trampoline_kernelINS0_14default_configENS1_32segmented_reduce_config_selectorIfEEZNS1_21segmented_reduce_implIS3_PKfPfPKifN6hipcub16HIPCUB_304000_NS6detail27convert_result_type_wrapperIS8_S9_N2at6native12_GLOBAL__N_19CustomMaxEEEEE10hipError_tPvRmT0_T1_jT2_SQ_T4_T3_P12ihipStream_tbEUlT_E_NS1_11comp_targetILNS1_3genE3ELNS1_11target_archE908ELNS1_3gpuE7ELNS1_3repE0EEENS1_30default_config_static_selectorELNS0_4arch9wavefront6targetE1EEEvSP_
                                        ; -- End function
	.set _ZN7rocprim17ROCPRIM_400000_NS6detail17trampoline_kernelINS0_14default_configENS1_32segmented_reduce_config_selectorIfEEZNS1_21segmented_reduce_implIS3_PKfPfPKifN6hipcub16HIPCUB_304000_NS6detail27convert_result_type_wrapperIS8_S9_N2at6native12_GLOBAL__N_19CustomMaxEEEEE10hipError_tPvRmT0_T1_jT2_SQ_T4_T3_P12ihipStream_tbEUlT_E_NS1_11comp_targetILNS1_3genE3ELNS1_11target_archE908ELNS1_3gpuE7ELNS1_3repE0EEENS1_30default_config_static_selectorELNS0_4arch9wavefront6targetE1EEEvSP_.num_vgpr, 0
	.set _ZN7rocprim17ROCPRIM_400000_NS6detail17trampoline_kernelINS0_14default_configENS1_32segmented_reduce_config_selectorIfEEZNS1_21segmented_reduce_implIS3_PKfPfPKifN6hipcub16HIPCUB_304000_NS6detail27convert_result_type_wrapperIS8_S9_N2at6native12_GLOBAL__N_19CustomMaxEEEEE10hipError_tPvRmT0_T1_jT2_SQ_T4_T3_P12ihipStream_tbEUlT_E_NS1_11comp_targetILNS1_3genE3ELNS1_11target_archE908ELNS1_3gpuE7ELNS1_3repE0EEENS1_30default_config_static_selectorELNS0_4arch9wavefront6targetE1EEEvSP_.num_agpr, 0
	.set _ZN7rocprim17ROCPRIM_400000_NS6detail17trampoline_kernelINS0_14default_configENS1_32segmented_reduce_config_selectorIfEEZNS1_21segmented_reduce_implIS3_PKfPfPKifN6hipcub16HIPCUB_304000_NS6detail27convert_result_type_wrapperIS8_S9_N2at6native12_GLOBAL__N_19CustomMaxEEEEE10hipError_tPvRmT0_T1_jT2_SQ_T4_T3_P12ihipStream_tbEUlT_E_NS1_11comp_targetILNS1_3genE3ELNS1_11target_archE908ELNS1_3gpuE7ELNS1_3repE0EEENS1_30default_config_static_selectorELNS0_4arch9wavefront6targetE1EEEvSP_.numbered_sgpr, 0
	.set _ZN7rocprim17ROCPRIM_400000_NS6detail17trampoline_kernelINS0_14default_configENS1_32segmented_reduce_config_selectorIfEEZNS1_21segmented_reduce_implIS3_PKfPfPKifN6hipcub16HIPCUB_304000_NS6detail27convert_result_type_wrapperIS8_S9_N2at6native12_GLOBAL__N_19CustomMaxEEEEE10hipError_tPvRmT0_T1_jT2_SQ_T4_T3_P12ihipStream_tbEUlT_E_NS1_11comp_targetILNS1_3genE3ELNS1_11target_archE908ELNS1_3gpuE7ELNS1_3repE0EEENS1_30default_config_static_selectorELNS0_4arch9wavefront6targetE1EEEvSP_.num_named_barrier, 0
	.set _ZN7rocprim17ROCPRIM_400000_NS6detail17trampoline_kernelINS0_14default_configENS1_32segmented_reduce_config_selectorIfEEZNS1_21segmented_reduce_implIS3_PKfPfPKifN6hipcub16HIPCUB_304000_NS6detail27convert_result_type_wrapperIS8_S9_N2at6native12_GLOBAL__N_19CustomMaxEEEEE10hipError_tPvRmT0_T1_jT2_SQ_T4_T3_P12ihipStream_tbEUlT_E_NS1_11comp_targetILNS1_3genE3ELNS1_11target_archE908ELNS1_3gpuE7ELNS1_3repE0EEENS1_30default_config_static_selectorELNS0_4arch9wavefront6targetE1EEEvSP_.private_seg_size, 0
	.set _ZN7rocprim17ROCPRIM_400000_NS6detail17trampoline_kernelINS0_14default_configENS1_32segmented_reduce_config_selectorIfEEZNS1_21segmented_reduce_implIS3_PKfPfPKifN6hipcub16HIPCUB_304000_NS6detail27convert_result_type_wrapperIS8_S9_N2at6native12_GLOBAL__N_19CustomMaxEEEEE10hipError_tPvRmT0_T1_jT2_SQ_T4_T3_P12ihipStream_tbEUlT_E_NS1_11comp_targetILNS1_3genE3ELNS1_11target_archE908ELNS1_3gpuE7ELNS1_3repE0EEENS1_30default_config_static_selectorELNS0_4arch9wavefront6targetE1EEEvSP_.uses_vcc, 0
	.set _ZN7rocprim17ROCPRIM_400000_NS6detail17trampoline_kernelINS0_14default_configENS1_32segmented_reduce_config_selectorIfEEZNS1_21segmented_reduce_implIS3_PKfPfPKifN6hipcub16HIPCUB_304000_NS6detail27convert_result_type_wrapperIS8_S9_N2at6native12_GLOBAL__N_19CustomMaxEEEEE10hipError_tPvRmT0_T1_jT2_SQ_T4_T3_P12ihipStream_tbEUlT_E_NS1_11comp_targetILNS1_3genE3ELNS1_11target_archE908ELNS1_3gpuE7ELNS1_3repE0EEENS1_30default_config_static_selectorELNS0_4arch9wavefront6targetE1EEEvSP_.uses_flat_scratch, 0
	.set _ZN7rocprim17ROCPRIM_400000_NS6detail17trampoline_kernelINS0_14default_configENS1_32segmented_reduce_config_selectorIfEEZNS1_21segmented_reduce_implIS3_PKfPfPKifN6hipcub16HIPCUB_304000_NS6detail27convert_result_type_wrapperIS8_S9_N2at6native12_GLOBAL__N_19CustomMaxEEEEE10hipError_tPvRmT0_T1_jT2_SQ_T4_T3_P12ihipStream_tbEUlT_E_NS1_11comp_targetILNS1_3genE3ELNS1_11target_archE908ELNS1_3gpuE7ELNS1_3repE0EEENS1_30default_config_static_selectorELNS0_4arch9wavefront6targetE1EEEvSP_.has_dyn_sized_stack, 0
	.set _ZN7rocprim17ROCPRIM_400000_NS6detail17trampoline_kernelINS0_14default_configENS1_32segmented_reduce_config_selectorIfEEZNS1_21segmented_reduce_implIS3_PKfPfPKifN6hipcub16HIPCUB_304000_NS6detail27convert_result_type_wrapperIS8_S9_N2at6native12_GLOBAL__N_19CustomMaxEEEEE10hipError_tPvRmT0_T1_jT2_SQ_T4_T3_P12ihipStream_tbEUlT_E_NS1_11comp_targetILNS1_3genE3ELNS1_11target_archE908ELNS1_3gpuE7ELNS1_3repE0EEENS1_30default_config_static_selectorELNS0_4arch9wavefront6targetE1EEEvSP_.has_recursion, 0
	.set _ZN7rocprim17ROCPRIM_400000_NS6detail17trampoline_kernelINS0_14default_configENS1_32segmented_reduce_config_selectorIfEEZNS1_21segmented_reduce_implIS3_PKfPfPKifN6hipcub16HIPCUB_304000_NS6detail27convert_result_type_wrapperIS8_S9_N2at6native12_GLOBAL__N_19CustomMaxEEEEE10hipError_tPvRmT0_T1_jT2_SQ_T4_T3_P12ihipStream_tbEUlT_E_NS1_11comp_targetILNS1_3genE3ELNS1_11target_archE908ELNS1_3gpuE7ELNS1_3repE0EEENS1_30default_config_static_selectorELNS0_4arch9wavefront6targetE1EEEvSP_.has_indirect_call, 0
	.section	.AMDGPU.csdata,"",@progbits
; Kernel info:
; codeLenInByte = 0
; TotalNumSgprs: 4
; NumVgprs: 0
; ScratchSize: 0
; MemoryBound: 0
; FloatMode: 240
; IeeeMode: 1
; LDSByteSize: 0 bytes/workgroup (compile time only)
; SGPRBlocks: 0
; VGPRBlocks: 0
; NumSGPRsForWavesPerEU: 4
; NumVGPRsForWavesPerEU: 1
; Occupancy: 10
; WaveLimiterHint : 0
; COMPUTE_PGM_RSRC2:SCRATCH_EN: 0
; COMPUTE_PGM_RSRC2:USER_SGPR: 6
; COMPUTE_PGM_RSRC2:TRAP_HANDLER: 0
; COMPUTE_PGM_RSRC2:TGID_X_EN: 1
; COMPUTE_PGM_RSRC2:TGID_Y_EN: 0
; COMPUTE_PGM_RSRC2:TGID_Z_EN: 0
; COMPUTE_PGM_RSRC2:TIDIG_COMP_CNT: 0
	.section	.text._ZN7rocprim17ROCPRIM_400000_NS6detail17trampoline_kernelINS0_14default_configENS1_32segmented_reduce_config_selectorIfEEZNS1_21segmented_reduce_implIS3_PKfPfPKifN6hipcub16HIPCUB_304000_NS6detail27convert_result_type_wrapperIS8_S9_N2at6native12_GLOBAL__N_19CustomMaxEEEEE10hipError_tPvRmT0_T1_jT2_SQ_T4_T3_P12ihipStream_tbEUlT_E_NS1_11comp_targetILNS1_3genE2ELNS1_11target_archE906ELNS1_3gpuE6ELNS1_3repE0EEENS1_30default_config_static_selectorELNS0_4arch9wavefront6targetE1EEEvSP_,"axG",@progbits,_ZN7rocprim17ROCPRIM_400000_NS6detail17trampoline_kernelINS0_14default_configENS1_32segmented_reduce_config_selectorIfEEZNS1_21segmented_reduce_implIS3_PKfPfPKifN6hipcub16HIPCUB_304000_NS6detail27convert_result_type_wrapperIS8_S9_N2at6native12_GLOBAL__N_19CustomMaxEEEEE10hipError_tPvRmT0_T1_jT2_SQ_T4_T3_P12ihipStream_tbEUlT_E_NS1_11comp_targetILNS1_3genE2ELNS1_11target_archE906ELNS1_3gpuE6ELNS1_3repE0EEENS1_30default_config_static_selectorELNS0_4arch9wavefront6targetE1EEEvSP_,comdat
	.globl	_ZN7rocprim17ROCPRIM_400000_NS6detail17trampoline_kernelINS0_14default_configENS1_32segmented_reduce_config_selectorIfEEZNS1_21segmented_reduce_implIS3_PKfPfPKifN6hipcub16HIPCUB_304000_NS6detail27convert_result_type_wrapperIS8_S9_N2at6native12_GLOBAL__N_19CustomMaxEEEEE10hipError_tPvRmT0_T1_jT2_SQ_T4_T3_P12ihipStream_tbEUlT_E_NS1_11comp_targetILNS1_3genE2ELNS1_11target_archE906ELNS1_3gpuE6ELNS1_3repE0EEENS1_30default_config_static_selectorELNS0_4arch9wavefront6targetE1EEEvSP_ ; -- Begin function _ZN7rocprim17ROCPRIM_400000_NS6detail17trampoline_kernelINS0_14default_configENS1_32segmented_reduce_config_selectorIfEEZNS1_21segmented_reduce_implIS3_PKfPfPKifN6hipcub16HIPCUB_304000_NS6detail27convert_result_type_wrapperIS8_S9_N2at6native12_GLOBAL__N_19CustomMaxEEEEE10hipError_tPvRmT0_T1_jT2_SQ_T4_T3_P12ihipStream_tbEUlT_E_NS1_11comp_targetILNS1_3genE2ELNS1_11target_archE906ELNS1_3gpuE6ELNS1_3repE0EEENS1_30default_config_static_selectorELNS0_4arch9wavefront6targetE1EEEvSP_
	.p2align	8
	.type	_ZN7rocprim17ROCPRIM_400000_NS6detail17trampoline_kernelINS0_14default_configENS1_32segmented_reduce_config_selectorIfEEZNS1_21segmented_reduce_implIS3_PKfPfPKifN6hipcub16HIPCUB_304000_NS6detail27convert_result_type_wrapperIS8_S9_N2at6native12_GLOBAL__N_19CustomMaxEEEEE10hipError_tPvRmT0_T1_jT2_SQ_T4_T3_P12ihipStream_tbEUlT_E_NS1_11comp_targetILNS1_3genE2ELNS1_11target_archE906ELNS1_3gpuE6ELNS1_3repE0EEENS1_30default_config_static_selectorELNS0_4arch9wavefront6targetE1EEEvSP_,@function
_ZN7rocprim17ROCPRIM_400000_NS6detail17trampoline_kernelINS0_14default_configENS1_32segmented_reduce_config_selectorIfEEZNS1_21segmented_reduce_implIS3_PKfPfPKifN6hipcub16HIPCUB_304000_NS6detail27convert_result_type_wrapperIS8_S9_N2at6native12_GLOBAL__N_19CustomMaxEEEEE10hipError_tPvRmT0_T1_jT2_SQ_T4_T3_P12ihipStream_tbEUlT_E_NS1_11comp_targetILNS1_3genE2ELNS1_11target_archE906ELNS1_3gpuE6ELNS1_3repE0EEENS1_30default_config_static_selectorELNS0_4arch9wavefront6targetE1EEEvSP_: ; @_ZN7rocprim17ROCPRIM_400000_NS6detail17trampoline_kernelINS0_14default_configENS1_32segmented_reduce_config_selectorIfEEZNS1_21segmented_reduce_implIS3_PKfPfPKifN6hipcub16HIPCUB_304000_NS6detail27convert_result_type_wrapperIS8_S9_N2at6native12_GLOBAL__N_19CustomMaxEEEEE10hipError_tPvRmT0_T1_jT2_SQ_T4_T3_P12ihipStream_tbEUlT_E_NS1_11comp_targetILNS1_3genE2ELNS1_11target_archE906ELNS1_3gpuE6ELNS1_3repE0EEENS1_30default_config_static_selectorELNS0_4arch9wavefront6targetE1EEEvSP_
; %bb.0:
	s_load_dwordx8 s[8:15], s[4:5], 0x0
	s_load_dwordx2 s[0:1], s[4:5], 0x20
	s_load_dword s20, s[4:5], 0x2c
	s_mov_b32 s7, 0
	v_cmp_eq_u32_e32 vcc, 0, v0
	s_waitcnt lgkmcnt(0)
	s_lshl_b64 s[2:3], s[12:13], 2
	s_add_u32 s12, s14, s2
	s_addc_u32 s13, s15, s3
	s_add_u32 s14, s0, s2
	s_addc_u32 s15, s1, s3
	s_lshl_b64 s[4:5], s[6:7], 2
	s_add_u32 s0, s12, s4
	s_addc_u32 s1, s13, s5
	s_load_dword s12, s[0:1], 0x0
	s_add_u32 s0, s14, s4
	s_addc_u32 s1, s15, s5
	s_load_dword s21, s[0:1], 0x0
	s_waitcnt lgkmcnt(0)
	s_cmp_gt_i32 s21, s12
	s_cbranch_scc1 .LBB48_3
; %bb.1:
	s_and_b64 s[6:7], vcc, exec
	s_cbranch_execz .LBB48_4
; %bb.2:
	v_mov_b32_e32 v1, s20
	s_and_saveexec_b64 s[0:1], s[6:7]
	s_cbranch_execnz .LBB48_373
	s_branch .LBB48_374
.LBB48_3:
	s_mov_b64 s[6:7], 0
.LBB48_4:
	s_add_i32 s0, s12, 0x1000
	s_cmp_le_i32 s0, s21
	s_movk_i32 s1, 0x1000
	s_cbranch_scc0 .LBB48_20
; %bb.5:
	s_ashr_i32 s13, s12, 31
	s_lshl_b64 s[14:15], s[12:13], 2
	s_add_u32 s14, s8, s14
	s_addc_u32 s15, s9, s15
	v_lshlrev_b32_e32 v18, 2, v0
	v_mov_b32_e32 v1, s15
	v_add_co_u32_e32 v2, vcc, s14, v18
	v_addc_co_u32_e32 v1, vcc, 0, v1, vcc
	v_add_co_u32_e32 v19, vcc, s1, v2
	v_addc_co_u32_e32 v20, vcc, 0, v1, vcc
	s_movk_i32 s1, 0x2000
	v_add_co_u32_e32 v21, vcc, s1, v2
	v_addc_co_u32_e32 v22, vcc, 0, v1, vcc
	v_add_co_u32_e32 v23, vcc, 0x3000, v2
	v_addc_co_u32_e32 v24, vcc, 0, v1, vcc
	global_load_dword v17, v18, s[14:15]
	global_load_dword v16, v18, s[14:15] offset:1024
	global_load_dword v15, v18, s[14:15] offset:2048
	;; [unrolled: 1-line block ×3, first 2 shown]
	global_load_dword v12, v[19:20], off offset:1024
	global_load_dword v11, v[19:20], off offset:2048
	;; [unrolled: 1-line block ×3, first 2 shown]
	global_load_dword v4, v[23:24], off
	global_load_dword v13, v[21:22], off offset:-4096
	global_load_dword v9, v[21:22], off
	global_load_dword v8, v[21:22], off offset:1024
	global_load_dword v6, v[21:22], off offset:2048
	global_load_dword v5, v[21:22], off offset:3072
	global_load_dword v3, v[23:24], off offset:1024
	global_load_dword v2, v[23:24], off offset:2048
                                        ; kill: killed $vgpr21 killed $vgpr22
                                        ; kill: killed $sgpr14 killed $sgpr15
                                        ; kill: killed $vgpr19 killed $vgpr20
	global_load_dword v1, v[23:24], off offset:3072
	s_waitcnt vmcnt(15)
	v_cmp_o_f32_e32 vcc, v17, v17
	v_mov_b32_e32 v7, v17
	s_and_saveexec_b64 s[14:15], vcc
	s_cbranch_execnz .LBB48_21
; %bb.6:
	s_or_b64 exec, exec, s[14:15]
	v_cmp_o_f32_e32 vcc, v7, v7
	s_and_saveexec_b64 s[14:15], vcc
	s_cbranch_execnz .LBB48_24
.LBB48_7:
	s_or_b64 exec, exec, s[14:15]
	v_cmp_o_f32_e32 vcc, v7, v7
	s_and_saveexec_b64 s[14:15], vcc
	s_cbranch_execnz .LBB48_27
.LBB48_8:
	s_or_b64 exec, exec, s[14:15]
	v_cmp_o_f32_e32 vcc, v7, v7
	s_and_saveexec_b64 s[14:15], vcc
	s_cbranch_execnz .LBB48_30
.LBB48_9:
	s_or_b64 exec, exec, s[14:15]
	v_cmp_o_f32_e32 vcc, v7, v7
	s_and_saveexec_b64 s[14:15], vcc
	s_cbranch_execnz .LBB48_33
.LBB48_10:
	s_or_b64 exec, exec, s[14:15]
	v_cmp_o_f32_e32 vcc, v7, v7
	s_and_saveexec_b64 s[14:15], vcc
	s_cbranch_execnz .LBB48_36
.LBB48_11:
	s_or_b64 exec, exec, s[14:15]
	v_cmp_o_f32_e32 vcc, v7, v7
	s_and_saveexec_b64 s[14:15], vcc
	s_cbranch_execnz .LBB48_39
.LBB48_12:
	s_or_b64 exec, exec, s[14:15]
	v_cmp_o_f32_e32 vcc, v7, v7
	s_and_saveexec_b64 s[14:15], vcc
	s_cbranch_execnz .LBB48_42
.LBB48_13:
	s_or_b64 exec, exec, s[14:15]
	v_cmp_o_f32_e32 vcc, v7, v7
	s_and_saveexec_b64 s[14:15], vcc
	s_cbranch_execnz .LBB48_45
.LBB48_14:
	s_or_b64 exec, exec, s[14:15]
	v_cmp_o_f32_e32 vcc, v7, v7
	s_and_saveexec_b64 s[14:15], vcc
	s_cbranch_execnz .LBB48_48
.LBB48_15:
	s_or_b64 exec, exec, s[14:15]
	v_cmp_o_f32_e32 vcc, v7, v7
	s_and_saveexec_b64 s[14:15], vcc
	s_cbranch_execnz .LBB48_51
.LBB48_16:
	s_or_b64 exec, exec, s[14:15]
	v_cmp_o_f32_e32 vcc, v7, v7
	s_and_saveexec_b64 s[14:15], vcc
	s_cbranch_execnz .LBB48_54
.LBB48_17:
	s_or_b64 exec, exec, s[14:15]
	v_cmp_o_f32_e32 vcc, v7, v7
	s_and_saveexec_b64 s[14:15], vcc
	s_cbranch_execnz .LBB48_57
.LBB48_18:
	s_or_b64 exec, exec, s[14:15]
	v_cmp_o_f32_e32 vcc, v7, v7
	s_and_saveexec_b64 s[14:15], vcc
	s_cbranch_execnz .LBB48_60
.LBB48_19:
	s_or_b64 exec, exec, s[14:15]
	v_cmp_o_f32_e32 vcc, v7, v7
	s_and_saveexec_b64 s[14:15], vcc
	s_cbranch_execnz .LBB48_63
	s_branch .LBB48_66
.LBB48_20:
                                        ; implicit-def: $vgpr3
	s_cbranch_execnz .LBB48_268
	s_branch .LBB48_366
.LBB48_21:
	s_waitcnt vmcnt(14)
	v_cmp_o_f32_e32 vcc, v16, v16
	v_mov_b32_e32 v7, v16
	s_and_saveexec_b64 s[16:17], vcc
; %bb.22:
	v_cmp_lt_f32_e32 vcc, v17, v16
	v_cndmask_b32_e32 v7, v17, v16, vcc
; %bb.23:
	s_or_b64 exec, exec, s[16:17]
	s_or_b64 exec, exec, s[14:15]
	v_cmp_o_f32_e32 vcc, v7, v7
	s_and_saveexec_b64 s[14:15], vcc
	s_cbranch_execz .LBB48_7
.LBB48_24:
	s_waitcnt vmcnt(13)
	v_cmp_o_f32_e32 vcc, v15, v15
	v_mov_b32_e32 v19, v15
	s_and_saveexec_b64 s[16:17], vcc
; %bb.25:
	v_cmp_lt_f32_e32 vcc, v7, v15
	v_cndmask_b32_e32 v19, v7, v15, vcc
; %bb.26:
	s_or_b64 exec, exec, s[16:17]
	v_mov_b32_e32 v7, v19
	s_or_b64 exec, exec, s[14:15]
	v_cmp_o_f32_e32 vcc, v7, v7
	s_and_saveexec_b64 s[14:15], vcc
	s_cbranch_execz .LBB48_8
.LBB48_27:
	s_waitcnt vmcnt(12)
	v_cmp_o_f32_e32 vcc, v14, v14
	v_mov_b32_e32 v19, v14
	s_and_saveexec_b64 s[16:17], vcc
; %bb.28:
	v_cmp_lt_f32_e32 vcc, v7, v14
	v_cndmask_b32_e32 v19, v7, v14, vcc
; %bb.29:
	s_or_b64 exec, exec, s[16:17]
	v_mov_b32_e32 v7, v19
	s_or_b64 exec, exec, s[14:15]
	v_cmp_o_f32_e32 vcc, v7, v7
	s_and_saveexec_b64 s[14:15], vcc
	s_cbranch_execz .LBB48_9
.LBB48_30:
	s_waitcnt vmcnt(7)
	v_cmp_o_f32_e32 vcc, v13, v13
	v_mov_b32_e32 v19, v13
	s_and_saveexec_b64 s[16:17], vcc
; %bb.31:
	v_cmp_lt_f32_e32 vcc, v7, v13
	v_cndmask_b32_e32 v19, v7, v13, vcc
; %bb.32:
	s_or_b64 exec, exec, s[16:17]
	v_mov_b32_e32 v7, v19
	s_or_b64 exec, exec, s[14:15]
	v_cmp_o_f32_e32 vcc, v7, v7
	s_and_saveexec_b64 s[14:15], vcc
	s_cbranch_execz .LBB48_10
.LBB48_33:
	s_waitcnt vmcnt(11)
	v_cmp_o_f32_e32 vcc, v12, v12
	v_mov_b32_e32 v19, v12
	s_and_saveexec_b64 s[16:17], vcc
; %bb.34:
	v_cmp_lt_f32_e32 vcc, v7, v12
	v_cndmask_b32_e32 v19, v7, v12, vcc
; %bb.35:
	s_or_b64 exec, exec, s[16:17]
	v_mov_b32_e32 v7, v19
	s_or_b64 exec, exec, s[14:15]
	v_cmp_o_f32_e32 vcc, v7, v7
	s_and_saveexec_b64 s[14:15], vcc
	s_cbranch_execz .LBB48_11
.LBB48_36:
	s_waitcnt vmcnt(10)
	v_cmp_o_f32_e32 vcc, v11, v11
	v_mov_b32_e32 v19, v11
	s_and_saveexec_b64 s[16:17], vcc
; %bb.37:
	v_cmp_lt_f32_e32 vcc, v7, v11
	v_cndmask_b32_e32 v19, v7, v11, vcc
; %bb.38:
	s_or_b64 exec, exec, s[16:17]
	v_mov_b32_e32 v7, v19
	s_or_b64 exec, exec, s[14:15]
	v_cmp_o_f32_e32 vcc, v7, v7
	s_and_saveexec_b64 s[14:15], vcc
	s_cbranch_execz .LBB48_12
.LBB48_39:
	s_waitcnt vmcnt(9)
	v_cmp_o_f32_e32 vcc, v10, v10
	v_mov_b32_e32 v19, v10
	s_and_saveexec_b64 s[16:17], vcc
; %bb.40:
	v_cmp_lt_f32_e32 vcc, v7, v10
	v_cndmask_b32_e32 v19, v7, v10, vcc
; %bb.41:
	s_or_b64 exec, exec, s[16:17]
	v_mov_b32_e32 v7, v19
	s_or_b64 exec, exec, s[14:15]
	v_cmp_o_f32_e32 vcc, v7, v7
	s_and_saveexec_b64 s[14:15], vcc
	s_cbranch_execz .LBB48_13
.LBB48_42:
	s_waitcnt vmcnt(6)
	v_cmp_o_f32_e32 vcc, v9, v9
	v_mov_b32_e32 v19, v9
	s_and_saveexec_b64 s[16:17], vcc
; %bb.43:
	v_cmp_lt_f32_e32 vcc, v7, v9
	v_cndmask_b32_e32 v19, v7, v9, vcc
; %bb.44:
	s_or_b64 exec, exec, s[16:17]
	v_mov_b32_e32 v7, v19
	s_or_b64 exec, exec, s[14:15]
	v_cmp_o_f32_e32 vcc, v7, v7
	s_and_saveexec_b64 s[14:15], vcc
	s_cbranch_execz .LBB48_14
.LBB48_45:
	s_waitcnt vmcnt(5)
	v_cmp_o_f32_e32 vcc, v8, v8
	v_mov_b32_e32 v19, v8
	s_and_saveexec_b64 s[16:17], vcc
; %bb.46:
	v_cmp_lt_f32_e32 vcc, v7, v8
	v_cndmask_b32_e32 v19, v7, v8, vcc
; %bb.47:
	s_or_b64 exec, exec, s[16:17]
	v_mov_b32_e32 v7, v19
	s_or_b64 exec, exec, s[14:15]
	v_cmp_o_f32_e32 vcc, v7, v7
	s_and_saveexec_b64 s[14:15], vcc
	s_cbranch_execz .LBB48_15
.LBB48_48:
	s_waitcnt vmcnt(4)
	v_cmp_o_f32_e32 vcc, v6, v6
	v_mov_b32_e32 v19, v6
	s_and_saveexec_b64 s[16:17], vcc
; %bb.49:
	v_cmp_lt_f32_e32 vcc, v7, v6
	v_cndmask_b32_e32 v19, v7, v6, vcc
; %bb.50:
	s_or_b64 exec, exec, s[16:17]
	v_mov_b32_e32 v7, v19
	s_or_b64 exec, exec, s[14:15]
	v_cmp_o_f32_e32 vcc, v7, v7
	s_and_saveexec_b64 s[14:15], vcc
	s_cbranch_execz .LBB48_16
.LBB48_51:
	s_waitcnt vmcnt(3)
	v_cmp_o_f32_e32 vcc, v5, v5
	v_mov_b32_e32 v19, v5
	s_and_saveexec_b64 s[16:17], vcc
; %bb.52:
	v_cmp_lt_f32_e32 vcc, v7, v5
	v_cndmask_b32_e32 v19, v7, v5, vcc
; %bb.53:
	s_or_b64 exec, exec, s[16:17]
	v_mov_b32_e32 v7, v19
	s_or_b64 exec, exec, s[14:15]
	v_cmp_o_f32_e32 vcc, v7, v7
	s_and_saveexec_b64 s[14:15], vcc
	s_cbranch_execz .LBB48_17
.LBB48_54:
	s_waitcnt vmcnt(8)
	v_cmp_o_f32_e32 vcc, v4, v4
	v_mov_b32_e32 v19, v4
	s_and_saveexec_b64 s[16:17], vcc
; %bb.55:
	v_cmp_lt_f32_e32 vcc, v7, v4
	v_cndmask_b32_e32 v19, v7, v4, vcc
; %bb.56:
	s_or_b64 exec, exec, s[16:17]
	v_mov_b32_e32 v7, v19
	s_or_b64 exec, exec, s[14:15]
	v_cmp_o_f32_e32 vcc, v7, v7
	s_and_saveexec_b64 s[14:15], vcc
	s_cbranch_execz .LBB48_18
.LBB48_57:
	s_waitcnt vmcnt(2)
	v_cmp_o_f32_e32 vcc, v3, v3
	v_mov_b32_e32 v19, v3
	s_and_saveexec_b64 s[16:17], vcc
; %bb.58:
	v_cmp_lt_f32_e32 vcc, v7, v3
	v_cndmask_b32_e32 v19, v7, v3, vcc
; %bb.59:
	s_or_b64 exec, exec, s[16:17]
	v_mov_b32_e32 v7, v19
	s_or_b64 exec, exec, s[14:15]
	v_cmp_o_f32_e32 vcc, v7, v7
	s_and_saveexec_b64 s[14:15], vcc
	s_cbranch_execz .LBB48_19
.LBB48_60:
	s_waitcnt vmcnt(1)
	v_cmp_o_f32_e32 vcc, v2, v2
	v_mov_b32_e32 v19, v2
	s_and_saveexec_b64 s[16:17], vcc
; %bb.61:
	v_cmp_lt_f32_e32 vcc, v7, v2
	v_cndmask_b32_e32 v19, v7, v2, vcc
; %bb.62:
	s_or_b64 exec, exec, s[16:17]
	v_mov_b32_e32 v7, v19
	s_or_b64 exec, exec, s[14:15]
	v_cmp_o_f32_e32 vcc, v7, v7
	s_and_saveexec_b64 s[14:15], vcc
	s_cbranch_execz .LBB48_66
.LBB48_63:
	s_waitcnt vmcnt(0)
	v_cmp_o_f32_e32 vcc, v1, v1
	v_mov_b32_e32 v19, v1
	s_and_saveexec_b64 s[16:17], vcc
; %bb.64:
	v_cmp_lt_f32_e32 vcc, v7, v1
	v_cndmask_b32_e32 v19, v7, v1, vcc
; %bb.65:
	s_or_b64 exec, exec, s[16:17]
	v_mov_b32_e32 v7, v19
.LBB48_66:
	s_or_b64 exec, exec, s[14:15]
	s_add_i32 s1, s12, 0x2000
	s_cmp_ge_i32 s1, s21
	s_movk_i32 s13, 0x2000
	s_cbranch_scc1 .LBB48_134
; %bb.67:
	s_waitcnt vmcnt(0)
	v_mov_b32_e32 v1, s9
	v_add_co_u32_e32 v19, vcc, s8, v18
	v_addc_co_u32_e32 v20, vcc, 0, v1, vcc
	s_movk_i32 s18, 0x1000
.LBB48_68:                              ; =>This Inner Loop Header: Depth=1
	s_ashr_i32 s1, s0, 31
	s_lshl_b64 s[14:15], s[0:1], 2
	s_waitcnt vmcnt(0)
	v_mov_b32_e32 v1, s15
	v_add_co_u32_e32 v21, vcc, s14, v19
	v_addc_co_u32_e32 v22, vcc, v20, v1, vcc
	v_add_co_u32_e32 v23, vcc, s18, v21
	v_addc_co_u32_e32 v24, vcc, 0, v22, vcc
	;; [unrolled: 2-line block ×4, first 2 shown]
	global_load_dword v17, v[21:22], off
	global_load_dword v16, v[21:22], off offset:1024
	global_load_dword v15, v[21:22], off offset:2048
	;; [unrolled: 1-line block ×6, first 2 shown]
	global_load_dword v4, v[27:28], off
	global_load_dword v13, v[25:26], off offset:-4096
	global_load_dword v9, v[25:26], off
	global_load_dword v8, v[25:26], off offset:1024
	global_load_dword v6, v[25:26], off offset:2048
	global_load_dword v5, v[25:26], off offset:3072
	global_load_dword v3, v[27:28], off offset:1024
	global_load_dword v2, v[27:28], off offset:2048
                                        ; kill: killed $vgpr21 killed $vgpr22
                                        ; kill: killed $vgpr25 killed $vgpr26
                                        ; kill: killed $vgpr23 killed $vgpr24
	global_load_dword v1, v[27:28], off offset:3072
	v_cmp_o_f32_e32 vcc, v7, v7
	s_and_saveexec_b64 s[14:15], vcc
	s_cbranch_execnz .LBB48_84
; %bb.69:                               ;   in Loop: Header=BB48_68 Depth=1
	s_or_b64 exec, exec, s[14:15]
	v_cmp_o_f32_e32 vcc, v7, v7
	s_and_saveexec_b64 s[14:15], vcc
	s_cbranch_execnz .LBB48_87
.LBB48_70:                              ;   in Loop: Header=BB48_68 Depth=1
	s_or_b64 exec, exec, s[14:15]
	v_cmp_o_f32_e32 vcc, v7, v7
	s_and_saveexec_b64 s[14:15], vcc
	s_cbranch_execnz .LBB48_90
.LBB48_71:                              ;   in Loop: Header=BB48_68 Depth=1
	s_or_b64 exec, exec, s[14:15]
	v_cmp_o_f32_e32 vcc, v7, v7
	s_and_saveexec_b64 s[14:15], vcc
	s_cbranch_execnz .LBB48_93
.LBB48_72:                              ;   in Loop: Header=BB48_68 Depth=1
	s_or_b64 exec, exec, s[14:15]
	v_cmp_o_f32_e32 vcc, v7, v7
	s_and_saveexec_b64 s[14:15], vcc
	s_cbranch_execnz .LBB48_96
.LBB48_73:                              ;   in Loop: Header=BB48_68 Depth=1
	s_or_b64 exec, exec, s[14:15]
	v_cmp_o_f32_e32 vcc, v7, v7
	s_and_saveexec_b64 s[14:15], vcc
	s_cbranch_execnz .LBB48_99
.LBB48_74:                              ;   in Loop: Header=BB48_68 Depth=1
	s_or_b64 exec, exec, s[14:15]
	v_cmp_o_f32_e32 vcc, v7, v7
	s_and_saveexec_b64 s[14:15], vcc
	s_cbranch_execnz .LBB48_102
.LBB48_75:                              ;   in Loop: Header=BB48_68 Depth=1
	s_or_b64 exec, exec, s[14:15]
	v_cmp_o_f32_e32 vcc, v7, v7
	s_and_saveexec_b64 s[14:15], vcc
	s_cbranch_execnz .LBB48_105
.LBB48_76:                              ;   in Loop: Header=BB48_68 Depth=1
	s_or_b64 exec, exec, s[14:15]
	v_cmp_o_f32_e32 vcc, v7, v7
	s_and_saveexec_b64 s[14:15], vcc
	s_cbranch_execnz .LBB48_108
.LBB48_77:                              ;   in Loop: Header=BB48_68 Depth=1
	s_or_b64 exec, exec, s[14:15]
	v_cmp_o_f32_e32 vcc, v7, v7
	s_and_saveexec_b64 s[14:15], vcc
	s_cbranch_execnz .LBB48_111
.LBB48_78:                              ;   in Loop: Header=BB48_68 Depth=1
	s_or_b64 exec, exec, s[14:15]
	v_cmp_o_f32_e32 vcc, v7, v7
	s_and_saveexec_b64 s[14:15], vcc
	s_cbranch_execnz .LBB48_114
.LBB48_79:                              ;   in Loop: Header=BB48_68 Depth=1
	s_or_b64 exec, exec, s[14:15]
	v_cmp_o_f32_e32 vcc, v7, v7
	s_and_saveexec_b64 s[14:15], vcc
	s_cbranch_execnz .LBB48_117
.LBB48_80:                              ;   in Loop: Header=BB48_68 Depth=1
	s_or_b64 exec, exec, s[14:15]
	v_cmp_o_f32_e32 vcc, v7, v7
	s_and_saveexec_b64 s[14:15], vcc
	s_cbranch_execnz .LBB48_120
.LBB48_81:                              ;   in Loop: Header=BB48_68 Depth=1
	s_or_b64 exec, exec, s[14:15]
	v_cmp_o_f32_e32 vcc, v7, v7
	s_and_saveexec_b64 s[14:15], vcc
	s_cbranch_execnz .LBB48_123
.LBB48_82:                              ;   in Loop: Header=BB48_68 Depth=1
	s_or_b64 exec, exec, s[14:15]
	v_cmp_o_f32_e32 vcc, v7, v7
	s_and_saveexec_b64 s[14:15], vcc
	s_cbranch_execnz .LBB48_126
.LBB48_83:                              ;   in Loop: Header=BB48_68 Depth=1
	s_or_b64 exec, exec, s[14:15]
	v_cmp_o_f32_e32 vcc, v7, v7
	s_and_saveexec_b64 s[14:15], vcc
	s_cbranch_execnz .LBB48_129
	s_branch .LBB48_132
.LBB48_84:                              ;   in Loop: Header=BB48_68 Depth=1
	s_waitcnt vmcnt(15)
	v_cmp_o_f32_e32 vcc, v17, v17
	v_mov_b32_e32 v21, v17
	s_and_saveexec_b64 s[16:17], vcc
; %bb.85:                               ;   in Loop: Header=BB48_68 Depth=1
	v_cmp_lt_f32_e32 vcc, v7, v17
	v_cndmask_b32_e32 v21, v7, v17, vcc
; %bb.86:                               ;   in Loop: Header=BB48_68 Depth=1
	s_or_b64 exec, exec, s[16:17]
	v_mov_b32_e32 v7, v21
	s_or_b64 exec, exec, s[14:15]
	v_cmp_o_f32_e32 vcc, v7, v7
	s_and_saveexec_b64 s[14:15], vcc
	s_cbranch_execz .LBB48_70
.LBB48_87:                              ;   in Loop: Header=BB48_68 Depth=1
	s_waitcnt vmcnt(14)
	v_cmp_o_f32_e32 vcc, v16, v16
	v_mov_b32_e32 v21, v16
	s_and_saveexec_b64 s[16:17], vcc
; %bb.88:                               ;   in Loop: Header=BB48_68 Depth=1
	v_cmp_lt_f32_e32 vcc, v7, v16
	v_cndmask_b32_e32 v21, v7, v16, vcc
; %bb.89:                               ;   in Loop: Header=BB48_68 Depth=1
	s_or_b64 exec, exec, s[16:17]
	v_mov_b32_e32 v7, v21
	s_or_b64 exec, exec, s[14:15]
	v_cmp_o_f32_e32 vcc, v7, v7
	s_and_saveexec_b64 s[14:15], vcc
	s_cbranch_execz .LBB48_71
.LBB48_90:                              ;   in Loop: Header=BB48_68 Depth=1
	s_waitcnt vmcnt(13)
	v_cmp_o_f32_e32 vcc, v15, v15
	v_mov_b32_e32 v21, v15
	s_and_saveexec_b64 s[16:17], vcc
; %bb.91:                               ;   in Loop: Header=BB48_68 Depth=1
	v_cmp_lt_f32_e32 vcc, v7, v15
	v_cndmask_b32_e32 v21, v7, v15, vcc
; %bb.92:                               ;   in Loop: Header=BB48_68 Depth=1
	s_or_b64 exec, exec, s[16:17]
	v_mov_b32_e32 v7, v21
	s_or_b64 exec, exec, s[14:15]
	v_cmp_o_f32_e32 vcc, v7, v7
	s_and_saveexec_b64 s[14:15], vcc
	s_cbranch_execz .LBB48_72
.LBB48_93:                              ;   in Loop: Header=BB48_68 Depth=1
	s_waitcnt vmcnt(12)
	v_cmp_o_f32_e32 vcc, v14, v14
	v_mov_b32_e32 v21, v14
	s_and_saveexec_b64 s[16:17], vcc
; %bb.94:                               ;   in Loop: Header=BB48_68 Depth=1
	v_cmp_lt_f32_e32 vcc, v7, v14
	v_cndmask_b32_e32 v21, v7, v14, vcc
; %bb.95:                               ;   in Loop: Header=BB48_68 Depth=1
	s_or_b64 exec, exec, s[16:17]
	v_mov_b32_e32 v7, v21
	s_or_b64 exec, exec, s[14:15]
	v_cmp_o_f32_e32 vcc, v7, v7
	s_and_saveexec_b64 s[14:15], vcc
	s_cbranch_execz .LBB48_73
.LBB48_96:                              ;   in Loop: Header=BB48_68 Depth=1
	s_waitcnt vmcnt(7)
	v_cmp_o_f32_e32 vcc, v13, v13
	v_mov_b32_e32 v21, v13
	s_and_saveexec_b64 s[16:17], vcc
; %bb.97:                               ;   in Loop: Header=BB48_68 Depth=1
	v_cmp_lt_f32_e32 vcc, v7, v13
	v_cndmask_b32_e32 v21, v7, v13, vcc
; %bb.98:                               ;   in Loop: Header=BB48_68 Depth=1
	s_or_b64 exec, exec, s[16:17]
	v_mov_b32_e32 v7, v21
	s_or_b64 exec, exec, s[14:15]
	v_cmp_o_f32_e32 vcc, v7, v7
	s_and_saveexec_b64 s[14:15], vcc
	s_cbranch_execz .LBB48_74
.LBB48_99:                              ;   in Loop: Header=BB48_68 Depth=1
	s_waitcnt vmcnt(11)
	v_cmp_o_f32_e32 vcc, v12, v12
	v_mov_b32_e32 v21, v12
	s_and_saveexec_b64 s[16:17], vcc
; %bb.100:                              ;   in Loop: Header=BB48_68 Depth=1
	v_cmp_lt_f32_e32 vcc, v7, v12
	v_cndmask_b32_e32 v21, v7, v12, vcc
; %bb.101:                              ;   in Loop: Header=BB48_68 Depth=1
	s_or_b64 exec, exec, s[16:17]
	v_mov_b32_e32 v7, v21
	s_or_b64 exec, exec, s[14:15]
	v_cmp_o_f32_e32 vcc, v7, v7
	s_and_saveexec_b64 s[14:15], vcc
	s_cbranch_execz .LBB48_75
.LBB48_102:                             ;   in Loop: Header=BB48_68 Depth=1
	s_waitcnt vmcnt(10)
	v_cmp_o_f32_e32 vcc, v11, v11
	v_mov_b32_e32 v21, v11
	s_and_saveexec_b64 s[16:17], vcc
; %bb.103:                              ;   in Loop: Header=BB48_68 Depth=1
	v_cmp_lt_f32_e32 vcc, v7, v11
	v_cndmask_b32_e32 v21, v7, v11, vcc
; %bb.104:                              ;   in Loop: Header=BB48_68 Depth=1
	s_or_b64 exec, exec, s[16:17]
	v_mov_b32_e32 v7, v21
	s_or_b64 exec, exec, s[14:15]
	v_cmp_o_f32_e32 vcc, v7, v7
	s_and_saveexec_b64 s[14:15], vcc
	s_cbranch_execz .LBB48_76
.LBB48_105:                             ;   in Loop: Header=BB48_68 Depth=1
	s_waitcnt vmcnt(9)
	v_cmp_o_f32_e32 vcc, v10, v10
	v_mov_b32_e32 v21, v10
	s_and_saveexec_b64 s[16:17], vcc
; %bb.106:                              ;   in Loop: Header=BB48_68 Depth=1
	v_cmp_lt_f32_e32 vcc, v7, v10
	v_cndmask_b32_e32 v21, v7, v10, vcc
; %bb.107:                              ;   in Loop: Header=BB48_68 Depth=1
	s_or_b64 exec, exec, s[16:17]
	v_mov_b32_e32 v7, v21
	s_or_b64 exec, exec, s[14:15]
	v_cmp_o_f32_e32 vcc, v7, v7
	s_and_saveexec_b64 s[14:15], vcc
	s_cbranch_execz .LBB48_77
.LBB48_108:                             ;   in Loop: Header=BB48_68 Depth=1
	s_waitcnt vmcnt(6)
	v_cmp_o_f32_e32 vcc, v9, v9
	v_mov_b32_e32 v21, v9
	s_and_saveexec_b64 s[16:17], vcc
; %bb.109:                              ;   in Loop: Header=BB48_68 Depth=1
	v_cmp_lt_f32_e32 vcc, v7, v9
	v_cndmask_b32_e32 v21, v7, v9, vcc
; %bb.110:                              ;   in Loop: Header=BB48_68 Depth=1
	s_or_b64 exec, exec, s[16:17]
	v_mov_b32_e32 v7, v21
	s_or_b64 exec, exec, s[14:15]
	v_cmp_o_f32_e32 vcc, v7, v7
	s_and_saveexec_b64 s[14:15], vcc
	s_cbranch_execz .LBB48_78
.LBB48_111:                             ;   in Loop: Header=BB48_68 Depth=1
	s_waitcnt vmcnt(5)
	v_cmp_o_f32_e32 vcc, v8, v8
	v_mov_b32_e32 v21, v8
	s_and_saveexec_b64 s[16:17], vcc
; %bb.112:                              ;   in Loop: Header=BB48_68 Depth=1
	v_cmp_lt_f32_e32 vcc, v7, v8
	v_cndmask_b32_e32 v21, v7, v8, vcc
; %bb.113:                              ;   in Loop: Header=BB48_68 Depth=1
	s_or_b64 exec, exec, s[16:17]
	v_mov_b32_e32 v7, v21
	s_or_b64 exec, exec, s[14:15]
	v_cmp_o_f32_e32 vcc, v7, v7
	s_and_saveexec_b64 s[14:15], vcc
	s_cbranch_execz .LBB48_79
.LBB48_114:                             ;   in Loop: Header=BB48_68 Depth=1
	s_waitcnt vmcnt(4)
	v_cmp_o_f32_e32 vcc, v6, v6
	v_mov_b32_e32 v21, v6
	s_and_saveexec_b64 s[16:17], vcc
; %bb.115:                              ;   in Loop: Header=BB48_68 Depth=1
	v_cmp_lt_f32_e32 vcc, v7, v6
	v_cndmask_b32_e32 v21, v7, v6, vcc
; %bb.116:                              ;   in Loop: Header=BB48_68 Depth=1
	s_or_b64 exec, exec, s[16:17]
	v_mov_b32_e32 v7, v21
	s_or_b64 exec, exec, s[14:15]
	v_cmp_o_f32_e32 vcc, v7, v7
	s_and_saveexec_b64 s[14:15], vcc
	s_cbranch_execz .LBB48_80
.LBB48_117:                             ;   in Loop: Header=BB48_68 Depth=1
	s_waitcnt vmcnt(3)
	v_cmp_o_f32_e32 vcc, v5, v5
	v_mov_b32_e32 v21, v5
	s_and_saveexec_b64 s[16:17], vcc
; %bb.118:                              ;   in Loop: Header=BB48_68 Depth=1
	v_cmp_lt_f32_e32 vcc, v7, v5
	v_cndmask_b32_e32 v21, v7, v5, vcc
; %bb.119:                              ;   in Loop: Header=BB48_68 Depth=1
	s_or_b64 exec, exec, s[16:17]
	v_mov_b32_e32 v7, v21
	s_or_b64 exec, exec, s[14:15]
	v_cmp_o_f32_e32 vcc, v7, v7
	s_and_saveexec_b64 s[14:15], vcc
	s_cbranch_execz .LBB48_81
.LBB48_120:                             ;   in Loop: Header=BB48_68 Depth=1
	s_waitcnt vmcnt(8)
	v_cmp_o_f32_e32 vcc, v4, v4
	v_mov_b32_e32 v21, v4
	s_and_saveexec_b64 s[16:17], vcc
; %bb.121:                              ;   in Loop: Header=BB48_68 Depth=1
	v_cmp_lt_f32_e32 vcc, v7, v4
	v_cndmask_b32_e32 v21, v7, v4, vcc
; %bb.122:                              ;   in Loop: Header=BB48_68 Depth=1
	s_or_b64 exec, exec, s[16:17]
	v_mov_b32_e32 v7, v21
	s_or_b64 exec, exec, s[14:15]
	v_cmp_o_f32_e32 vcc, v7, v7
	s_and_saveexec_b64 s[14:15], vcc
	s_cbranch_execz .LBB48_82
.LBB48_123:                             ;   in Loop: Header=BB48_68 Depth=1
	s_waitcnt vmcnt(2)
	v_cmp_o_f32_e32 vcc, v3, v3
	v_mov_b32_e32 v21, v3
	s_and_saveexec_b64 s[16:17], vcc
; %bb.124:                              ;   in Loop: Header=BB48_68 Depth=1
	v_cmp_lt_f32_e32 vcc, v7, v3
	v_cndmask_b32_e32 v21, v7, v3, vcc
; %bb.125:                              ;   in Loop: Header=BB48_68 Depth=1
	s_or_b64 exec, exec, s[16:17]
	v_mov_b32_e32 v7, v21
	s_or_b64 exec, exec, s[14:15]
	v_cmp_o_f32_e32 vcc, v7, v7
	s_and_saveexec_b64 s[14:15], vcc
	s_cbranch_execz .LBB48_83
.LBB48_126:                             ;   in Loop: Header=BB48_68 Depth=1
	s_waitcnt vmcnt(1)
	v_cmp_o_f32_e32 vcc, v2, v2
	v_mov_b32_e32 v21, v2
	s_and_saveexec_b64 s[16:17], vcc
; %bb.127:                              ;   in Loop: Header=BB48_68 Depth=1
	v_cmp_lt_f32_e32 vcc, v7, v2
	v_cndmask_b32_e32 v21, v7, v2, vcc
; %bb.128:                              ;   in Loop: Header=BB48_68 Depth=1
	s_or_b64 exec, exec, s[16:17]
	v_mov_b32_e32 v7, v21
	s_or_b64 exec, exec, s[14:15]
	v_cmp_o_f32_e32 vcc, v7, v7
	s_and_saveexec_b64 s[14:15], vcc
	s_cbranch_execz .LBB48_132
.LBB48_129:                             ;   in Loop: Header=BB48_68 Depth=1
	s_waitcnt vmcnt(0)
	v_cmp_o_f32_e32 vcc, v1, v1
	v_mov_b32_e32 v21, v1
	s_and_saveexec_b64 s[16:17], vcc
; %bb.130:                              ;   in Loop: Header=BB48_68 Depth=1
	v_cmp_lt_f32_e32 vcc, v7, v1
	v_cndmask_b32_e32 v21, v7, v1, vcc
; %bb.131:                              ;   in Loop: Header=BB48_68 Depth=1
	s_or_b64 exec, exec, s[16:17]
	v_mov_b32_e32 v7, v21
.LBB48_132:                             ;   in Loop: Header=BB48_68 Depth=1
	s_or_b64 exec, exec, s[14:15]
	s_add_i32 s14, s0, 0x1000
	s_addk_i32 s0, 0x2000
	s_cmp_lt_i32 s0, s21
	s_cbranch_scc0 .LBB48_135
; %bb.133:                              ;   in Loop: Header=BB48_68 Depth=1
	s_mov_b32 s0, s14
	s_branch .LBB48_68
.LBB48_134:
	s_mov_b32 s14, s0
.LBB48_135:
	s_ashr_i32 s15, s14, 31
	s_sub_i32 s13, s21, s14
	s_lshl_b64 s[0:1], s[14:15], 2
	s_add_u32 s0, s8, s0
	s_addc_u32 s1, s9, s1
	v_cmp_gt_u32_e32 vcc, s13, v0
	s_and_saveexec_b64 s[14:15], vcc
	s_cbranch_execz .LBB48_137
; %bb.136:
	global_load_dword v17, v18, s[0:1]
.LBB48_137:
	s_or_b64 exec, exec, s[14:15]
	v_or_b32_e32 v32, 0x100, v0
	v_cmp_gt_u32_e32 vcc, s13, v32
	s_and_saveexec_b64 s[14:15], vcc
	s_cbranch_execz .LBB48_139
; %bb.138:
	global_load_dword v16, v18, s[0:1] offset:1024
.LBB48_139:
	s_or_b64 exec, exec, s[14:15]
	v_or_b32_e32 v31, 0x200, v0
	v_cmp_gt_u32_e32 vcc, s13, v31
	s_and_saveexec_b64 s[14:15], vcc
	s_cbranch_execz .LBB48_141
; %bb.140:
	global_load_dword v15, v18, s[0:1] offset:2048
.LBB48_141:
	;; [unrolled: 8-line block ×3, first 2 shown]
	s_or_b64 exec, exec, s[14:15]
	v_or_b32_e32 v29, 0x400, v0
	v_cmp_gt_u32_e32 vcc, s13, v29
	s_and_saveexec_b64 s[14:15], vcc
	s_cbranch_execz .LBB48_145
; %bb.144:
	s_waitcnt vmcnt(7)
	v_lshlrev_b32_e32 v13, 2, v29
	global_load_dword v13, v13, s[0:1]
.LBB48_145:
	s_or_b64 exec, exec, s[14:15]
	v_or_b32_e32 v28, 0x500, v0
	v_cmp_gt_u32_e32 vcc, s13, v28
	s_and_saveexec_b64 s[14:15], vcc
	s_cbranch_execz .LBB48_147
; %bb.146:
	s_waitcnt vmcnt(11)
	v_lshlrev_b32_e32 v12, 2, v28
	global_load_dword v12, v12, s[0:1]
.LBB48_147:
	;; [unrolled: 10-line block ×12, first 2 shown]
	s_or_b64 exec, exec, s[14:15]
	v_cmp_gt_u32_e32 vcc, s13, v0
	v_cmp_o_f32_e64 s[0:1], v7, v7
	s_and_b64 s[14:15], vcc, s[0:1]
	s_and_saveexec_b64 s[0:1], s[14:15]
	s_cbranch_execz .LBB48_171
; %bb.168:
	s_waitcnt vmcnt(0)
	v_cmp_o_f32_e32 vcc, v17, v17
	s_and_saveexec_b64 s[14:15], vcc
; %bb.169:
	v_cmp_lt_f32_e32 vcc, v7, v17
	v_cndmask_b32_e32 v17, v7, v17, vcc
; %bb.170:
	s_or_b64 exec, exec, s[14:15]
	v_mov_b32_e32 v7, v17
.LBB48_171:
	s_or_b64 exec, exec, s[0:1]
	v_cmp_gt_u32_e32 vcc, s13, v32
	v_cmp_o_f32_e64 s[0:1], v7, v7
	s_and_b64 s[14:15], vcc, s[0:1]
	s_and_saveexec_b64 s[0:1], s[14:15]
	s_cbranch_execz .LBB48_175
; %bb.172:
	s_waitcnt vmcnt(0)
	v_cmp_o_f32_e32 vcc, v16, v16
	s_and_saveexec_b64 s[14:15], vcc
; %bb.173:
	v_cmp_lt_f32_e32 vcc, v7, v16
	v_cndmask_b32_e32 v16, v7, v16, vcc
; %bb.174:
	s_or_b64 exec, exec, s[14:15]
	v_mov_b32_e32 v7, v16
.LBB48_175:
	;; [unrolled: 17-line block ×16, first 2 shown]
	s_or_b64 exec, exec, s[0:1]
	s_waitcnt vmcnt(0)
	v_mov_b32_dpp v1, v7 quad_perm:[1,0,3,2] row_mask:0xf bank_mask:0xf bound_ctrl:1
	v_cmp_o_f32_e32 vcc, v1, v1
	s_and_saveexec_b64 s[0:1], vcc
	s_xor_b64 s[0:1], exec, s[0:1]
	s_cbranch_execz .LBB48_235
; %bb.232:
	v_cmp_o_f32_e32 vcc, v7, v7
	s_and_saveexec_b64 s[14:15], vcc
; %bb.233:
	v_cmp_gt_f32_e32 vcc, v7, v1
	v_cndmask_b32_e32 v7, v1, v7, vcc
; %bb.234:
	s_or_b64 exec, exec, s[14:15]
	v_mov_b32_e32 v1, v7
.LBB48_235:
	s_or_b64 exec, exec, s[0:1]
	s_nop 0
	v_mov_b32_dpp v2, v1 quad_perm:[2,3,0,1] row_mask:0xf bank_mask:0xf bound_ctrl:1
	v_cmp_o_f32_e32 vcc, v2, v2
	s_and_saveexec_b64 s[0:1], vcc
	s_cbranch_execz .LBB48_239
; %bb.236:
	v_cmp_o_f32_e32 vcc, v1, v1
	s_and_saveexec_b64 s[14:15], vcc
; %bb.237:
	v_cmp_gt_f32_e32 vcc, v1, v2
	v_cndmask_b32_e32 v1, v2, v1, vcc
; %bb.238:
	s_or_b64 exec, exec, s[14:15]
	v_mov_b32_e32 v2, v1
.LBB48_239:
	s_or_b64 exec, exec, s[0:1]
	s_nop 0
	v_mov_b32_dpp v1, v2 row_ror:4 row_mask:0xf bank_mask:0xf bound_ctrl:1
	v_cmp_o_f32_e32 vcc, v1, v1
	s_and_saveexec_b64 s[0:1], vcc
	s_cbranch_execz .LBB48_243
; %bb.240:
	v_cmp_o_f32_e32 vcc, v2, v2
	s_and_saveexec_b64 s[14:15], vcc
; %bb.241:
	v_cmp_gt_f32_e32 vcc, v2, v1
	v_cndmask_b32_e32 v2, v1, v2, vcc
; %bb.242:
	s_or_b64 exec, exec, s[14:15]
	v_mov_b32_e32 v1, v2
.LBB48_243:
	s_or_b64 exec, exec, s[0:1]
	s_nop 0
	v_mov_b32_dpp v2, v1 row_ror:8 row_mask:0xf bank_mask:0xf bound_ctrl:1
	v_cmp_o_f32_e32 vcc, v2, v2
	s_and_saveexec_b64 s[0:1], vcc
	s_cbranch_execz .LBB48_247
; %bb.244:
	v_cmp_o_f32_e32 vcc, v1, v1
	s_and_saveexec_b64 s[14:15], vcc
; %bb.245:
	v_cmp_gt_f32_e32 vcc, v1, v2
	v_cndmask_b32_e32 v1, v2, v1, vcc
; %bb.246:
	s_or_b64 exec, exec, s[14:15]
	v_mov_b32_e32 v2, v1
.LBB48_247:
	s_or_b64 exec, exec, s[0:1]
	s_nop 0
	v_mov_b32_dpp v1, v2 row_bcast:15 row_mask:0xf bank_mask:0xf bound_ctrl:1
	v_cmp_o_f32_e32 vcc, v1, v1
	s_and_saveexec_b64 s[0:1], vcc
	s_cbranch_execz .LBB48_251
; %bb.248:
	v_cmp_o_f32_e32 vcc, v2, v2
	s_and_saveexec_b64 s[14:15], vcc
; %bb.249:
	v_cmp_gt_f32_e32 vcc, v2, v1
	v_cndmask_b32_e32 v2, v1, v2, vcc
; %bb.250:
	s_or_b64 exec, exec, s[14:15]
	v_mov_b32_e32 v1, v2
.LBB48_251:
	s_or_b64 exec, exec, s[0:1]
	s_nop 0
	v_mov_b32_dpp v3, v1 row_bcast:31 row_mask:0xf bank_mask:0xf bound_ctrl:1
	v_cmp_o_f32_e32 vcc, v3, v3
	s_and_saveexec_b64 s[0:1], vcc
	s_cbranch_execz .LBB48_255
; %bb.252:
	v_cmp_o_f32_e32 vcc, v1, v1
	s_and_saveexec_b64 s[14:15], vcc
; %bb.253:
	v_cmp_gt_f32_e32 vcc, v1, v3
	v_cndmask_b32_e32 v1, v3, v1, vcc
; %bb.254:
	s_or_b64 exec, exec, s[14:15]
	v_mov_b32_e32 v3, v1
.LBB48_255:
	s_or_b64 exec, exec, s[0:1]
	v_mbcnt_lo_u32_b32 v1, -1, 0
	v_mbcnt_hi_u32_b32 v2, -1, v1
	v_lshlrev_b32_e32 v1, 2, v2
	v_or_b32_e32 v4, 0xfc, v1
	ds_bpermute_b32 v3, v4, v3
	v_cmp_eq_u32_e32 vcc, 0, v2
	s_and_saveexec_b64 s[0:1], vcc
	s_cbranch_execz .LBB48_257
; %bb.256:
	v_lshrrev_b32_e32 v4, 4, v0
	v_and_b32_e32 v4, 12, v4
	s_waitcnt lgkmcnt(0)
	ds_write_b32 v4, v3
.LBB48_257:
	s_or_b64 exec, exec, s[0:1]
	v_cmp_gt_u32_e32 vcc, 64, v0
	s_waitcnt lgkmcnt(0)
	s_barrier
	s_and_saveexec_b64 s[0:1], vcc
	s_cbranch_execz .LBB48_267
; %bb.258:
	v_and_b32_e32 v4, 3, v2
	v_lshlrev_b32_e32 v3, 2, v4
	ds_read_b32 v3, v3
	v_cmp_ne_u32_e32 vcc, 3, v4
	v_addc_co_u32_e32 v2, vcc, 0, v2, vcc
	v_lshlrev_b32_e32 v2, 2, v2
	s_waitcnt lgkmcnt(0)
	ds_bpermute_b32 v2, v2, v3
	v_cmp_o_f32_e32 vcc, v3, v3
	s_and_saveexec_b64 s[14:15], vcc
	s_cbranch_execz .LBB48_262
; %bb.259:
	s_waitcnt lgkmcnt(0)
	v_cmp_o_f32_e32 vcc, v2, v2
	s_and_saveexec_b64 s[16:17], vcc
; %bb.260:
	v_cmp_lt_f32_e32 vcc, v3, v2
	v_cndmask_b32_e32 v2, v3, v2, vcc
; %bb.261:
	s_or_b64 exec, exec, s[16:17]
	v_mov_b32_e32 v3, v2
.LBB48_262:
	s_or_b64 exec, exec, s[14:15]
	v_or_b32_e32 v1, 8, v1
	ds_bpermute_b32 v1, v1, v3
	v_cmp_o_f32_e32 vcc, v3, v3
	s_and_saveexec_b64 s[14:15], vcc
	s_cbranch_execz .LBB48_266
; %bb.263:
	s_waitcnt lgkmcnt(0)
	v_cmp_o_f32_e32 vcc, v1, v1
	s_and_saveexec_b64 s[16:17], vcc
; %bb.264:
	v_cmp_lt_f32_e32 vcc, v3, v1
	v_cndmask_b32_e32 v1, v3, v1, vcc
; %bb.265:
	s_or_b64 exec, exec, s[16:17]
	v_mov_b32_e32 v3, v1
.LBB48_266:
	s_or_b64 exec, exec, s[14:15]
.LBB48_267:
	s_or_b64 exec, exec, s[0:1]
	s_branch .LBB48_366
.LBB48_268:
	s_sub_i32 s22, s21, s12
	v_cmp_gt_u32_e32 vcc, s22, v0
                                        ; implicit-def: $vgpr4
	s_and_saveexec_b64 s[0:1], vcc
	s_cbranch_execz .LBB48_278
; %bb.269:
	s_waitcnt lgkmcnt(0)
	v_add_u32_e32 v1, s12, v0
	v_ashrrev_i32_e32 v2, 31, v1
	v_lshlrev_b64 v[2:3], 2, v[1:2]
	v_mov_b32_e32 v4, s9
	v_add_co_u32_e32 v2, vcc, s8, v2
	v_addc_co_u32_e32 v3, vcc, v4, v3, vcc
	global_load_dword v4, v[2:3], off
	v_add_u32_e32 v1, 0x100, v1
	v_cmp_gt_i32_e32 vcc, s21, v1
	s_and_saveexec_b64 s[12:13], vcc
	s_cbranch_execz .LBB48_277
; %bb.270:
	s_mov_b64 s[14:15], 0
	s_branch .LBB48_273
.LBB48_271:                             ;   in Loop: Header=BB48_273 Depth=1
	s_or_b64 exec, exec, s[18:19]
	v_mov_b32_e32 v4, v2
.LBB48_272:                             ;   in Loop: Header=BB48_273 Depth=1
	s_or_b64 exec, exec, s[16:17]
	v_add_u32_e32 v1, 0x100, v1
	v_cmp_le_i32_e32 vcc, s21, v1
	s_or_b64 s[14:15], vcc, s[14:15]
	s_andn2_b64 exec, exec, s[14:15]
	s_cbranch_execz .LBB48_276
.LBB48_273:                             ; =>This Inner Loop Header: Depth=1
	s_waitcnt vmcnt(0)
	v_cmp_o_f32_e32 vcc, v4, v4
	s_and_saveexec_b64 s[16:17], vcc
	s_cbranch_execz .LBB48_272
; %bb.274:                              ;   in Loop: Header=BB48_273 Depth=1
	v_ashrrev_i32_e32 v2, 31, v1
	v_lshlrev_b64 v[2:3], 2, v[1:2]
	v_mov_b32_e32 v5, s9
	v_add_co_u32_e32 v2, vcc, s8, v2
	v_addc_co_u32_e32 v3, vcc, v5, v3, vcc
	global_load_dword v2, v[2:3], off
	s_waitcnt vmcnt(0)
	v_cmp_o_f32_e32 vcc, v2, v2
	s_and_saveexec_b64 s[18:19], vcc
	s_cbranch_execz .LBB48_271
; %bb.275:                              ;   in Loop: Header=BB48_273 Depth=1
	v_cmp_lt_f32_e32 vcc, v4, v2
	v_cndmask_b32_e32 v2, v4, v2, vcc
	s_branch .LBB48_271
.LBB48_276:
	s_or_b64 exec, exec, s[14:15]
.LBB48_277:
	s_or_b64 exec, exec, s[12:13]
.LBB48_278:
	s_or_b64 exec, exec, s[0:1]
	s_waitcnt lgkmcnt(0)
	v_mbcnt_lo_u32_b32 v1, -1, 0
	s_cmpk_lt_u32 s22, 0x100
	v_lshrrev_b32_e32 v2, 6, v0
	v_mbcnt_hi_u32_b32 v1, -1, v1
	s_cbranch_scc0 .LBB48_328
; %bb.279:
	v_and_b32_e32 v5, 63, v1
	v_cmp_ne_u32_e32 vcc, 63, v5
	v_addc_co_u32_e32 v6, vcc, 0, v1, vcc
	v_lshlrev_b32_e32 v6, 2, v6
	s_waitcnt vmcnt(0)
	ds_bpermute_b32 v7, v6, v4
	v_and_b32_e32 v3, 0xc0, v0
	v_sub_u32_e64 v6, s22, v3 clamp
	v_add_u32_e32 v3, 1, v5
	v_cmp_lt_u32_e32 vcc, v3, v6
	v_mov_b32_e32 v3, v4
	s_and_saveexec_b64 s[0:1], vcc
	s_cbranch_execz .LBB48_285
; %bb.280:
	v_cmp_o_f32_e32 vcc, v4, v4
	v_mov_b32_e32 v3, v4
	s_and_saveexec_b64 s[8:9], vcc
	s_cbranch_execz .LBB48_284
; %bb.281:
	s_waitcnt lgkmcnt(0)
	v_cmp_o_f32_e32 vcc, v7, v7
	s_and_saveexec_b64 s[12:13], vcc
; %bb.282:
	v_cmp_lt_f32_e32 vcc, v4, v7
	v_cndmask_b32_e32 v7, v4, v7, vcc
; %bb.283:
	s_or_b64 exec, exec, s[12:13]
	v_mov_b32_e32 v3, v7
.LBB48_284:
	s_or_b64 exec, exec, s[8:9]
.LBB48_285:
	s_or_b64 exec, exec, s[0:1]
	v_cmp_gt_u32_e32 vcc, 62, v5
	s_waitcnt lgkmcnt(0)
	v_cndmask_b32_e64 v7, 0, 2, vcc
	v_add_lshl_u32 v7, v7, v1, 2
	ds_bpermute_b32 v7, v7, v3
	v_add_u32_e32 v8, 2, v5
	v_cmp_lt_u32_e32 vcc, v8, v6
	s_and_saveexec_b64 s[0:1], vcc
	s_cbranch_execz .LBB48_291
; %bb.286:
	v_cmp_o_f32_e32 vcc, v3, v3
	s_and_saveexec_b64 s[8:9], vcc
	s_cbranch_execz .LBB48_290
; %bb.287:
	s_waitcnt lgkmcnt(0)
	v_cmp_o_f32_e32 vcc, v7, v7
	s_and_saveexec_b64 s[12:13], vcc
; %bb.288:
	v_cmp_lt_f32_e32 vcc, v3, v7
	v_cndmask_b32_e32 v7, v3, v7, vcc
; %bb.289:
	s_or_b64 exec, exec, s[12:13]
	v_mov_b32_e32 v3, v7
.LBB48_290:
	s_or_b64 exec, exec, s[8:9]
.LBB48_291:
	s_or_b64 exec, exec, s[0:1]
	v_cmp_gt_u32_e32 vcc, 60, v5
	s_waitcnt lgkmcnt(0)
	v_cndmask_b32_e64 v7, 0, 4, vcc
	v_add_lshl_u32 v7, v7, v1, 2
	ds_bpermute_b32 v7, v7, v3
	v_add_u32_e32 v8, 4, v5
	v_cmp_lt_u32_e32 vcc, v8, v6
	s_and_saveexec_b64 s[0:1], vcc
	s_cbranch_execz .LBB48_297
; %bb.292:
	v_cmp_o_f32_e32 vcc, v3, v3
	s_and_saveexec_b64 s[8:9], vcc
	s_cbranch_execz .LBB48_296
; %bb.293:
	s_waitcnt lgkmcnt(0)
	v_cmp_o_f32_e32 vcc, v7, v7
	s_and_saveexec_b64 s[12:13], vcc
; %bb.294:
	v_cmp_lt_f32_e32 vcc, v3, v7
	v_cndmask_b32_e32 v7, v3, v7, vcc
; %bb.295:
	s_or_b64 exec, exec, s[12:13]
	v_mov_b32_e32 v3, v7
.LBB48_296:
	s_or_b64 exec, exec, s[8:9]
.LBB48_297:
	;; [unrolled: 27-line block ×4, first 2 shown]
	s_or_b64 exec, exec, s[0:1]
	s_waitcnt lgkmcnt(0)
	v_lshlrev_b32_e32 v7, 2, v1
	v_or_b32_e32 v8, 0x80, v7
	ds_bpermute_b32 v8, v8, v3
	v_add_u32_e32 v5, 32, v5
	v_cmp_lt_u32_e32 vcc, v5, v6
	v_cmp_o_f32_e64 s[0:1], v3, v3
	s_and_b64 s[8:9], vcc, s[0:1]
	s_and_saveexec_b64 s[0:1], s[8:9]
	s_cbranch_execz .LBB48_313
; %bb.310:
	s_waitcnt lgkmcnt(0)
	v_cmp_o_f32_e32 vcc, v8, v8
	s_and_saveexec_b64 s[8:9], vcc
; %bb.311:
	v_cmp_lt_f32_e32 vcc, v3, v8
	v_cndmask_b32_e32 v8, v3, v8, vcc
; %bb.312:
	s_or_b64 exec, exec, s[8:9]
	v_mov_b32_e32 v3, v8
.LBB48_313:
	s_or_b64 exec, exec, s[0:1]
	v_cmp_eq_u32_e32 vcc, 0, v1
	s_and_saveexec_b64 s[0:1], vcc
; %bb.314:
	v_lshlrev_b32_e32 v5, 2, v2
	ds_write_b32 v5, v3
; %bb.315:
	s_or_b64 exec, exec, s[0:1]
	v_cmp_gt_u32_e32 vcc, 4, v0
	s_waitcnt lgkmcnt(0)
	s_barrier
	s_and_saveexec_b64 s[8:9], vcc
	s_cbranch_execz .LBB48_327
; %bb.316:
	ds_read_b32 v3, v7
	v_and_b32_e32 v5, 3, v1
	v_cmp_ne_u32_e32 vcc, 3, v5
	v_addc_co_u32_e32 v6, vcc, 0, v1, vcc
	v_lshlrev_b32_e32 v6, 2, v6
	s_waitcnt lgkmcnt(0)
	ds_bpermute_b32 v6, v6, v3
	s_add_i32 s22, s22, 63
	s_lshr_b32 s16, s22, 6
	v_add_u32_e32 v8, 1, v5
	v_cmp_gt_u32_e32 vcc, s16, v8
	s_and_saveexec_b64 s[0:1], vcc
	s_cbranch_execz .LBB48_322
; %bb.317:
	v_cmp_o_f32_e32 vcc, v3, v3
	s_and_saveexec_b64 s[12:13], vcc
	s_cbranch_execz .LBB48_321
; %bb.318:
	s_waitcnt lgkmcnt(0)
	v_cmp_o_f32_e32 vcc, v6, v6
	s_and_saveexec_b64 s[14:15], vcc
; %bb.319:
	v_cmp_lt_f32_e32 vcc, v3, v6
	v_cndmask_b32_e32 v6, v3, v6, vcc
; %bb.320:
	s_or_b64 exec, exec, s[14:15]
	v_mov_b32_e32 v3, v6
.LBB48_321:
	s_or_b64 exec, exec, s[12:13]
.LBB48_322:
	s_or_b64 exec, exec, s[0:1]
	s_waitcnt lgkmcnt(0)
	v_or_b32_e32 v6, 8, v7
	ds_bpermute_b32 v6, v6, v3
	v_add_u32_e32 v5, 2, v5
	v_cmp_gt_u32_e32 vcc, s16, v5
	v_cmp_o_f32_e64 s[0:1], v3, v3
	s_and_b64 s[12:13], vcc, s[0:1]
	s_and_saveexec_b64 s[0:1], s[12:13]
	s_cbranch_execz .LBB48_326
; %bb.323:
	s_waitcnt lgkmcnt(0)
	v_cmp_o_f32_e32 vcc, v6, v6
	s_and_saveexec_b64 s[12:13], vcc
; %bb.324:
	v_cmp_lt_f32_e32 vcc, v3, v6
	v_cndmask_b32_e32 v6, v3, v6, vcc
; %bb.325:
	s_or_b64 exec, exec, s[12:13]
	v_mov_b32_e32 v3, v6
.LBB48_326:
	s_or_b64 exec, exec, s[0:1]
.LBB48_327:
	s_or_b64 exec, exec, s[8:9]
	s_branch .LBB48_366
.LBB48_328:
                                        ; implicit-def: $vgpr3
	s_cbranch_execz .LBB48_366
; %bb.329:
	s_waitcnt vmcnt(0)
	v_mov_b32_dpp v3, v4 quad_perm:[1,0,3,2] row_mask:0xf bank_mask:0xf bound_ctrl:1
	v_cmp_o_f32_e32 vcc, v3, v3
	s_and_saveexec_b64 s[0:1], vcc
	s_cbranch_execz .LBB48_333
; %bb.330:
	v_cmp_o_f32_e32 vcc, v4, v4
	s_and_saveexec_b64 s[8:9], vcc
; %bb.331:
	v_cmp_gt_f32_e32 vcc, v4, v3
	v_cndmask_b32_e32 v4, v3, v4, vcc
; %bb.332:
	s_or_b64 exec, exec, s[8:9]
	v_mov_b32_e32 v3, v4
.LBB48_333:
	s_or_b64 exec, exec, s[0:1]
	s_nop 0
	v_mov_b32_dpp v4, v3 quad_perm:[2,3,0,1] row_mask:0xf bank_mask:0xf bound_ctrl:1
	v_cmp_o_f32_e32 vcc, v4, v4
	s_and_saveexec_b64 s[0:1], vcc
	s_cbranch_execz .LBB48_337
; %bb.334:
	v_cmp_o_f32_e32 vcc, v3, v3
	s_and_saveexec_b64 s[8:9], vcc
; %bb.335:
	v_cmp_gt_f32_e32 vcc, v3, v4
	v_cndmask_b32_e32 v3, v4, v3, vcc
; %bb.336:
	s_or_b64 exec, exec, s[8:9]
	v_mov_b32_e32 v4, v3
.LBB48_337:
	s_or_b64 exec, exec, s[0:1]
	s_nop 0
	v_mov_b32_dpp v3, v4 row_ror:4 row_mask:0xf bank_mask:0xf bound_ctrl:1
	v_cmp_o_f32_e32 vcc, v3, v3
	s_and_saveexec_b64 s[0:1], vcc
	s_cbranch_execz .LBB48_341
; %bb.338:
	v_cmp_o_f32_e32 vcc, v4, v4
	s_and_saveexec_b64 s[8:9], vcc
; %bb.339:
	v_cmp_gt_f32_e32 vcc, v4, v3
	v_cndmask_b32_e32 v4, v3, v4, vcc
; %bb.340:
	s_or_b64 exec, exec, s[8:9]
	v_mov_b32_e32 v3, v4
.LBB48_341:
	s_or_b64 exec, exec, s[0:1]
	s_nop 0
	v_mov_b32_dpp v4, v3 row_ror:8 row_mask:0xf bank_mask:0xf bound_ctrl:1
	v_cmp_o_f32_e32 vcc, v4, v4
	s_and_saveexec_b64 s[0:1], vcc
	s_cbranch_execz .LBB48_345
; %bb.342:
	v_cmp_o_f32_e32 vcc, v3, v3
	s_and_saveexec_b64 s[8:9], vcc
; %bb.343:
	v_cmp_gt_f32_e32 vcc, v3, v4
	v_cndmask_b32_e32 v3, v4, v3, vcc
; %bb.344:
	s_or_b64 exec, exec, s[8:9]
	v_mov_b32_e32 v4, v3
.LBB48_345:
	s_or_b64 exec, exec, s[0:1]
	s_nop 0
	v_mov_b32_dpp v3, v4 row_bcast:15 row_mask:0xf bank_mask:0xf bound_ctrl:1
	v_cmp_o_f32_e32 vcc, v3, v3
	s_and_saveexec_b64 s[0:1], vcc
	s_cbranch_execz .LBB48_349
; %bb.346:
	v_cmp_o_f32_e32 vcc, v4, v4
	s_and_saveexec_b64 s[8:9], vcc
; %bb.347:
	v_cmp_gt_f32_e32 vcc, v4, v3
	v_cndmask_b32_e32 v4, v3, v4, vcc
; %bb.348:
	s_or_b64 exec, exec, s[8:9]
	v_mov_b32_e32 v3, v4
.LBB48_349:
	s_or_b64 exec, exec, s[0:1]
	s_nop 0
	v_mov_b32_dpp v5, v3 row_bcast:31 row_mask:0xf bank_mask:0xf bound_ctrl:1
	v_cmp_o_f32_e32 vcc, v5, v5
	s_and_saveexec_b64 s[0:1], vcc
	s_cbranch_execz .LBB48_353
; %bb.350:
	v_cmp_o_f32_e32 vcc, v3, v3
	s_and_saveexec_b64 s[8:9], vcc
; %bb.351:
	v_cmp_gt_f32_e32 vcc, v3, v5
	v_cndmask_b32_e32 v3, v5, v3, vcc
; %bb.352:
	s_or_b64 exec, exec, s[8:9]
	v_mov_b32_e32 v5, v3
.LBB48_353:
	s_or_b64 exec, exec, s[0:1]
	v_lshlrev_b32_e32 v4, 2, v1
	v_or_b32_e32 v3, 0xfc, v4
	ds_bpermute_b32 v3, v3, v5
	v_cmp_eq_u32_e32 vcc, 0, v1
	s_and_saveexec_b64 s[0:1], vcc
	s_cbranch_execz .LBB48_355
; %bb.354:
	v_lshlrev_b32_e32 v2, 2, v2
	s_waitcnt lgkmcnt(0)
	ds_write_b32 v2, v3
.LBB48_355:
	s_or_b64 exec, exec, s[0:1]
	v_cmp_gt_u32_e32 vcc, 64, v0
	s_waitcnt lgkmcnt(0)
	s_barrier
	s_and_saveexec_b64 s[0:1], vcc
	s_cbranch_execz .LBB48_365
; %bb.356:
	v_and_b32_e32 v2, 3, v1
	v_lshlrev_b32_e32 v3, 2, v2
	ds_read_b32 v3, v3
	v_cmp_ne_u32_e32 vcc, 3, v2
	v_addc_co_u32_e32 v1, vcc, 0, v1, vcc
	v_lshlrev_b32_e32 v1, 2, v1
	s_waitcnt lgkmcnt(0)
	ds_bpermute_b32 v1, v1, v3
	v_cmp_o_f32_e32 vcc, v3, v3
	s_and_saveexec_b64 s[8:9], vcc
	s_cbranch_execz .LBB48_360
; %bb.357:
	s_waitcnt lgkmcnt(0)
	v_cmp_o_f32_e32 vcc, v1, v1
	s_and_saveexec_b64 s[12:13], vcc
; %bb.358:
	v_cmp_lt_f32_e32 vcc, v3, v1
	v_cndmask_b32_e32 v1, v3, v1, vcc
; %bb.359:
	s_or_b64 exec, exec, s[12:13]
	v_mov_b32_e32 v3, v1
.LBB48_360:
	s_or_b64 exec, exec, s[8:9]
	s_waitcnt lgkmcnt(0)
	v_or_b32_e32 v1, 8, v4
	ds_bpermute_b32 v1, v1, v3
	v_cmp_o_f32_e32 vcc, v3, v3
	s_and_saveexec_b64 s[8:9], vcc
	s_cbranch_execz .LBB48_364
; %bb.361:
	s_waitcnt lgkmcnt(0)
	v_cmp_o_f32_e32 vcc, v1, v1
	s_and_saveexec_b64 s[12:13], vcc
; %bb.362:
	v_cmp_lt_f32_e32 vcc, v3, v1
	v_cndmask_b32_e32 v1, v3, v1, vcc
; %bb.363:
	s_or_b64 exec, exec, s[12:13]
	v_mov_b32_e32 v3, v1
.LBB48_364:
	s_or_b64 exec, exec, s[8:9]
.LBB48_365:
	s_or_b64 exec, exec, s[0:1]
.LBB48_366:
	v_cmp_eq_u32_e32 vcc, 0, v0
                                        ; implicit-def: $vgpr1
	s_and_saveexec_b64 s[0:1], vcc
	s_cbranch_execz .LBB48_372
; %bb.367:
	v_cmp_u_f32_e64 s[8:9], s20, s20
	s_and_b64 vcc, exec, s[8:9]
	s_waitcnt lgkmcnt(0)
	v_mov_b32_e32 v1, s20
	s_cbranch_vccnz .LBB48_371
; %bb.368:
	v_cmp_o_f32_e32 vcc, v3, v3
	s_and_saveexec_b64 s[8:9], vcc
; %bb.369:
	v_mov_b32_e32 v0, s20
	v_cmp_lt_f32_e32 vcc, s20, v3
	v_cndmask_b32_e32 v3, v0, v3, vcc
; %bb.370:
	s_or_b64 exec, exec, s[8:9]
	v_mov_b32_e32 v1, v3
.LBB48_371:
	s_or_b64 s[6:7], s[6:7], exec
.LBB48_372:
	s_or_b64 exec, exec, s[0:1]
	s_and_saveexec_b64 s[0:1], s[6:7]
	s_cbranch_execz .LBB48_374
.LBB48_373:
	s_add_u32 s0, s10, s2
	s_addc_u32 s1, s11, s3
	s_add_u32 s0, s0, s4
	s_addc_u32 s1, s1, s5
	v_mov_b32_e32 v0, 0
	s_waitcnt lgkmcnt(0)
	global_store_dword v0, v1, s[0:1]
.LBB48_374:
	s_endpgm
	.section	.rodata,"a",@progbits
	.p2align	6, 0x0
	.amdhsa_kernel _ZN7rocprim17ROCPRIM_400000_NS6detail17trampoline_kernelINS0_14default_configENS1_32segmented_reduce_config_selectorIfEEZNS1_21segmented_reduce_implIS3_PKfPfPKifN6hipcub16HIPCUB_304000_NS6detail27convert_result_type_wrapperIS8_S9_N2at6native12_GLOBAL__N_19CustomMaxEEEEE10hipError_tPvRmT0_T1_jT2_SQ_T4_T3_P12ihipStream_tbEUlT_E_NS1_11comp_targetILNS1_3genE2ELNS1_11target_archE906ELNS1_3gpuE6ELNS1_3repE0EEENS1_30default_config_static_selectorELNS0_4arch9wavefront6targetE1EEEvSP_
		.amdhsa_group_segment_fixed_size 16
		.amdhsa_private_segment_fixed_size 0
		.amdhsa_kernarg_size 48
		.amdhsa_user_sgpr_count 6
		.amdhsa_user_sgpr_private_segment_buffer 1
		.amdhsa_user_sgpr_dispatch_ptr 0
		.amdhsa_user_sgpr_queue_ptr 0
		.amdhsa_user_sgpr_kernarg_segment_ptr 1
		.amdhsa_user_sgpr_dispatch_id 0
		.amdhsa_user_sgpr_flat_scratch_init 0
		.amdhsa_user_sgpr_private_segment_size 0
		.amdhsa_uses_dynamic_stack 0
		.amdhsa_system_sgpr_private_segment_wavefront_offset 0
		.amdhsa_system_sgpr_workgroup_id_x 1
		.amdhsa_system_sgpr_workgroup_id_y 0
		.amdhsa_system_sgpr_workgroup_id_z 0
		.amdhsa_system_sgpr_workgroup_info 0
		.amdhsa_system_vgpr_workitem_id 0
		.amdhsa_next_free_vgpr 33
		.amdhsa_next_free_sgpr 23
		.amdhsa_reserve_vcc 1
		.amdhsa_reserve_flat_scratch 0
		.amdhsa_float_round_mode_32 0
		.amdhsa_float_round_mode_16_64 0
		.amdhsa_float_denorm_mode_32 3
		.amdhsa_float_denorm_mode_16_64 3
		.amdhsa_dx10_clamp 1
		.amdhsa_ieee_mode 1
		.amdhsa_fp16_overflow 0
		.amdhsa_exception_fp_ieee_invalid_op 0
		.amdhsa_exception_fp_denorm_src 0
		.amdhsa_exception_fp_ieee_div_zero 0
		.amdhsa_exception_fp_ieee_overflow 0
		.amdhsa_exception_fp_ieee_underflow 0
		.amdhsa_exception_fp_ieee_inexact 0
		.amdhsa_exception_int_div_zero 0
	.end_amdhsa_kernel
	.section	.text._ZN7rocprim17ROCPRIM_400000_NS6detail17trampoline_kernelINS0_14default_configENS1_32segmented_reduce_config_selectorIfEEZNS1_21segmented_reduce_implIS3_PKfPfPKifN6hipcub16HIPCUB_304000_NS6detail27convert_result_type_wrapperIS8_S9_N2at6native12_GLOBAL__N_19CustomMaxEEEEE10hipError_tPvRmT0_T1_jT2_SQ_T4_T3_P12ihipStream_tbEUlT_E_NS1_11comp_targetILNS1_3genE2ELNS1_11target_archE906ELNS1_3gpuE6ELNS1_3repE0EEENS1_30default_config_static_selectorELNS0_4arch9wavefront6targetE1EEEvSP_,"axG",@progbits,_ZN7rocprim17ROCPRIM_400000_NS6detail17trampoline_kernelINS0_14default_configENS1_32segmented_reduce_config_selectorIfEEZNS1_21segmented_reduce_implIS3_PKfPfPKifN6hipcub16HIPCUB_304000_NS6detail27convert_result_type_wrapperIS8_S9_N2at6native12_GLOBAL__N_19CustomMaxEEEEE10hipError_tPvRmT0_T1_jT2_SQ_T4_T3_P12ihipStream_tbEUlT_E_NS1_11comp_targetILNS1_3genE2ELNS1_11target_archE906ELNS1_3gpuE6ELNS1_3repE0EEENS1_30default_config_static_selectorELNS0_4arch9wavefront6targetE1EEEvSP_,comdat
.Lfunc_end48:
	.size	_ZN7rocprim17ROCPRIM_400000_NS6detail17trampoline_kernelINS0_14default_configENS1_32segmented_reduce_config_selectorIfEEZNS1_21segmented_reduce_implIS3_PKfPfPKifN6hipcub16HIPCUB_304000_NS6detail27convert_result_type_wrapperIS8_S9_N2at6native12_GLOBAL__N_19CustomMaxEEEEE10hipError_tPvRmT0_T1_jT2_SQ_T4_T3_P12ihipStream_tbEUlT_E_NS1_11comp_targetILNS1_3genE2ELNS1_11target_archE906ELNS1_3gpuE6ELNS1_3repE0EEENS1_30default_config_static_selectorELNS0_4arch9wavefront6targetE1EEEvSP_, .Lfunc_end48-_ZN7rocprim17ROCPRIM_400000_NS6detail17trampoline_kernelINS0_14default_configENS1_32segmented_reduce_config_selectorIfEEZNS1_21segmented_reduce_implIS3_PKfPfPKifN6hipcub16HIPCUB_304000_NS6detail27convert_result_type_wrapperIS8_S9_N2at6native12_GLOBAL__N_19CustomMaxEEEEE10hipError_tPvRmT0_T1_jT2_SQ_T4_T3_P12ihipStream_tbEUlT_E_NS1_11comp_targetILNS1_3genE2ELNS1_11target_archE906ELNS1_3gpuE6ELNS1_3repE0EEENS1_30default_config_static_selectorELNS0_4arch9wavefront6targetE1EEEvSP_
                                        ; -- End function
	.set _ZN7rocprim17ROCPRIM_400000_NS6detail17trampoline_kernelINS0_14default_configENS1_32segmented_reduce_config_selectorIfEEZNS1_21segmented_reduce_implIS3_PKfPfPKifN6hipcub16HIPCUB_304000_NS6detail27convert_result_type_wrapperIS8_S9_N2at6native12_GLOBAL__N_19CustomMaxEEEEE10hipError_tPvRmT0_T1_jT2_SQ_T4_T3_P12ihipStream_tbEUlT_E_NS1_11comp_targetILNS1_3genE2ELNS1_11target_archE906ELNS1_3gpuE6ELNS1_3repE0EEENS1_30default_config_static_selectorELNS0_4arch9wavefront6targetE1EEEvSP_.num_vgpr, 33
	.set _ZN7rocprim17ROCPRIM_400000_NS6detail17trampoline_kernelINS0_14default_configENS1_32segmented_reduce_config_selectorIfEEZNS1_21segmented_reduce_implIS3_PKfPfPKifN6hipcub16HIPCUB_304000_NS6detail27convert_result_type_wrapperIS8_S9_N2at6native12_GLOBAL__N_19CustomMaxEEEEE10hipError_tPvRmT0_T1_jT2_SQ_T4_T3_P12ihipStream_tbEUlT_E_NS1_11comp_targetILNS1_3genE2ELNS1_11target_archE906ELNS1_3gpuE6ELNS1_3repE0EEENS1_30default_config_static_selectorELNS0_4arch9wavefront6targetE1EEEvSP_.num_agpr, 0
	.set _ZN7rocprim17ROCPRIM_400000_NS6detail17trampoline_kernelINS0_14default_configENS1_32segmented_reduce_config_selectorIfEEZNS1_21segmented_reduce_implIS3_PKfPfPKifN6hipcub16HIPCUB_304000_NS6detail27convert_result_type_wrapperIS8_S9_N2at6native12_GLOBAL__N_19CustomMaxEEEEE10hipError_tPvRmT0_T1_jT2_SQ_T4_T3_P12ihipStream_tbEUlT_E_NS1_11comp_targetILNS1_3genE2ELNS1_11target_archE906ELNS1_3gpuE6ELNS1_3repE0EEENS1_30default_config_static_selectorELNS0_4arch9wavefront6targetE1EEEvSP_.numbered_sgpr, 23
	.set _ZN7rocprim17ROCPRIM_400000_NS6detail17trampoline_kernelINS0_14default_configENS1_32segmented_reduce_config_selectorIfEEZNS1_21segmented_reduce_implIS3_PKfPfPKifN6hipcub16HIPCUB_304000_NS6detail27convert_result_type_wrapperIS8_S9_N2at6native12_GLOBAL__N_19CustomMaxEEEEE10hipError_tPvRmT0_T1_jT2_SQ_T4_T3_P12ihipStream_tbEUlT_E_NS1_11comp_targetILNS1_3genE2ELNS1_11target_archE906ELNS1_3gpuE6ELNS1_3repE0EEENS1_30default_config_static_selectorELNS0_4arch9wavefront6targetE1EEEvSP_.num_named_barrier, 0
	.set _ZN7rocprim17ROCPRIM_400000_NS6detail17trampoline_kernelINS0_14default_configENS1_32segmented_reduce_config_selectorIfEEZNS1_21segmented_reduce_implIS3_PKfPfPKifN6hipcub16HIPCUB_304000_NS6detail27convert_result_type_wrapperIS8_S9_N2at6native12_GLOBAL__N_19CustomMaxEEEEE10hipError_tPvRmT0_T1_jT2_SQ_T4_T3_P12ihipStream_tbEUlT_E_NS1_11comp_targetILNS1_3genE2ELNS1_11target_archE906ELNS1_3gpuE6ELNS1_3repE0EEENS1_30default_config_static_selectorELNS0_4arch9wavefront6targetE1EEEvSP_.private_seg_size, 0
	.set _ZN7rocprim17ROCPRIM_400000_NS6detail17trampoline_kernelINS0_14default_configENS1_32segmented_reduce_config_selectorIfEEZNS1_21segmented_reduce_implIS3_PKfPfPKifN6hipcub16HIPCUB_304000_NS6detail27convert_result_type_wrapperIS8_S9_N2at6native12_GLOBAL__N_19CustomMaxEEEEE10hipError_tPvRmT0_T1_jT2_SQ_T4_T3_P12ihipStream_tbEUlT_E_NS1_11comp_targetILNS1_3genE2ELNS1_11target_archE906ELNS1_3gpuE6ELNS1_3repE0EEENS1_30default_config_static_selectorELNS0_4arch9wavefront6targetE1EEEvSP_.uses_vcc, 1
	.set _ZN7rocprim17ROCPRIM_400000_NS6detail17trampoline_kernelINS0_14default_configENS1_32segmented_reduce_config_selectorIfEEZNS1_21segmented_reduce_implIS3_PKfPfPKifN6hipcub16HIPCUB_304000_NS6detail27convert_result_type_wrapperIS8_S9_N2at6native12_GLOBAL__N_19CustomMaxEEEEE10hipError_tPvRmT0_T1_jT2_SQ_T4_T3_P12ihipStream_tbEUlT_E_NS1_11comp_targetILNS1_3genE2ELNS1_11target_archE906ELNS1_3gpuE6ELNS1_3repE0EEENS1_30default_config_static_selectorELNS0_4arch9wavefront6targetE1EEEvSP_.uses_flat_scratch, 0
	.set _ZN7rocprim17ROCPRIM_400000_NS6detail17trampoline_kernelINS0_14default_configENS1_32segmented_reduce_config_selectorIfEEZNS1_21segmented_reduce_implIS3_PKfPfPKifN6hipcub16HIPCUB_304000_NS6detail27convert_result_type_wrapperIS8_S9_N2at6native12_GLOBAL__N_19CustomMaxEEEEE10hipError_tPvRmT0_T1_jT2_SQ_T4_T3_P12ihipStream_tbEUlT_E_NS1_11comp_targetILNS1_3genE2ELNS1_11target_archE906ELNS1_3gpuE6ELNS1_3repE0EEENS1_30default_config_static_selectorELNS0_4arch9wavefront6targetE1EEEvSP_.has_dyn_sized_stack, 0
	.set _ZN7rocprim17ROCPRIM_400000_NS6detail17trampoline_kernelINS0_14default_configENS1_32segmented_reduce_config_selectorIfEEZNS1_21segmented_reduce_implIS3_PKfPfPKifN6hipcub16HIPCUB_304000_NS6detail27convert_result_type_wrapperIS8_S9_N2at6native12_GLOBAL__N_19CustomMaxEEEEE10hipError_tPvRmT0_T1_jT2_SQ_T4_T3_P12ihipStream_tbEUlT_E_NS1_11comp_targetILNS1_3genE2ELNS1_11target_archE906ELNS1_3gpuE6ELNS1_3repE0EEENS1_30default_config_static_selectorELNS0_4arch9wavefront6targetE1EEEvSP_.has_recursion, 0
	.set _ZN7rocprim17ROCPRIM_400000_NS6detail17trampoline_kernelINS0_14default_configENS1_32segmented_reduce_config_selectorIfEEZNS1_21segmented_reduce_implIS3_PKfPfPKifN6hipcub16HIPCUB_304000_NS6detail27convert_result_type_wrapperIS8_S9_N2at6native12_GLOBAL__N_19CustomMaxEEEEE10hipError_tPvRmT0_T1_jT2_SQ_T4_T3_P12ihipStream_tbEUlT_E_NS1_11comp_targetILNS1_3genE2ELNS1_11target_archE906ELNS1_3gpuE6ELNS1_3repE0EEENS1_30default_config_static_selectorELNS0_4arch9wavefront6targetE1EEEvSP_.has_indirect_call, 0
	.section	.AMDGPU.csdata,"",@progbits
; Kernel info:
; codeLenInByte = 6352
; TotalNumSgprs: 27
; NumVgprs: 33
; ScratchSize: 0
; MemoryBound: 0
; FloatMode: 240
; IeeeMode: 1
; LDSByteSize: 16 bytes/workgroup (compile time only)
; SGPRBlocks: 3
; VGPRBlocks: 8
; NumSGPRsForWavesPerEU: 27
; NumVGPRsForWavesPerEU: 33
; Occupancy: 7
; WaveLimiterHint : 1
; COMPUTE_PGM_RSRC2:SCRATCH_EN: 0
; COMPUTE_PGM_RSRC2:USER_SGPR: 6
; COMPUTE_PGM_RSRC2:TRAP_HANDLER: 0
; COMPUTE_PGM_RSRC2:TGID_X_EN: 1
; COMPUTE_PGM_RSRC2:TGID_Y_EN: 0
; COMPUTE_PGM_RSRC2:TGID_Z_EN: 0
; COMPUTE_PGM_RSRC2:TIDIG_COMP_CNT: 0
	.section	.text._ZN7rocprim17ROCPRIM_400000_NS6detail17trampoline_kernelINS0_14default_configENS1_32segmented_reduce_config_selectorIfEEZNS1_21segmented_reduce_implIS3_PKfPfPKifN6hipcub16HIPCUB_304000_NS6detail27convert_result_type_wrapperIS8_S9_N2at6native12_GLOBAL__N_19CustomMaxEEEEE10hipError_tPvRmT0_T1_jT2_SQ_T4_T3_P12ihipStream_tbEUlT_E_NS1_11comp_targetILNS1_3genE9ELNS1_11target_archE1100ELNS1_3gpuE3ELNS1_3repE0EEENS1_30default_config_static_selectorELNS0_4arch9wavefront6targetE1EEEvSP_,"axG",@progbits,_ZN7rocprim17ROCPRIM_400000_NS6detail17trampoline_kernelINS0_14default_configENS1_32segmented_reduce_config_selectorIfEEZNS1_21segmented_reduce_implIS3_PKfPfPKifN6hipcub16HIPCUB_304000_NS6detail27convert_result_type_wrapperIS8_S9_N2at6native12_GLOBAL__N_19CustomMaxEEEEE10hipError_tPvRmT0_T1_jT2_SQ_T4_T3_P12ihipStream_tbEUlT_E_NS1_11comp_targetILNS1_3genE9ELNS1_11target_archE1100ELNS1_3gpuE3ELNS1_3repE0EEENS1_30default_config_static_selectorELNS0_4arch9wavefront6targetE1EEEvSP_,comdat
	.globl	_ZN7rocprim17ROCPRIM_400000_NS6detail17trampoline_kernelINS0_14default_configENS1_32segmented_reduce_config_selectorIfEEZNS1_21segmented_reduce_implIS3_PKfPfPKifN6hipcub16HIPCUB_304000_NS6detail27convert_result_type_wrapperIS8_S9_N2at6native12_GLOBAL__N_19CustomMaxEEEEE10hipError_tPvRmT0_T1_jT2_SQ_T4_T3_P12ihipStream_tbEUlT_E_NS1_11comp_targetILNS1_3genE9ELNS1_11target_archE1100ELNS1_3gpuE3ELNS1_3repE0EEENS1_30default_config_static_selectorELNS0_4arch9wavefront6targetE1EEEvSP_ ; -- Begin function _ZN7rocprim17ROCPRIM_400000_NS6detail17trampoline_kernelINS0_14default_configENS1_32segmented_reduce_config_selectorIfEEZNS1_21segmented_reduce_implIS3_PKfPfPKifN6hipcub16HIPCUB_304000_NS6detail27convert_result_type_wrapperIS8_S9_N2at6native12_GLOBAL__N_19CustomMaxEEEEE10hipError_tPvRmT0_T1_jT2_SQ_T4_T3_P12ihipStream_tbEUlT_E_NS1_11comp_targetILNS1_3genE9ELNS1_11target_archE1100ELNS1_3gpuE3ELNS1_3repE0EEENS1_30default_config_static_selectorELNS0_4arch9wavefront6targetE1EEEvSP_
	.p2align	8
	.type	_ZN7rocprim17ROCPRIM_400000_NS6detail17trampoline_kernelINS0_14default_configENS1_32segmented_reduce_config_selectorIfEEZNS1_21segmented_reduce_implIS3_PKfPfPKifN6hipcub16HIPCUB_304000_NS6detail27convert_result_type_wrapperIS8_S9_N2at6native12_GLOBAL__N_19CustomMaxEEEEE10hipError_tPvRmT0_T1_jT2_SQ_T4_T3_P12ihipStream_tbEUlT_E_NS1_11comp_targetILNS1_3genE9ELNS1_11target_archE1100ELNS1_3gpuE3ELNS1_3repE0EEENS1_30default_config_static_selectorELNS0_4arch9wavefront6targetE1EEEvSP_,@function
_ZN7rocprim17ROCPRIM_400000_NS6detail17trampoline_kernelINS0_14default_configENS1_32segmented_reduce_config_selectorIfEEZNS1_21segmented_reduce_implIS3_PKfPfPKifN6hipcub16HIPCUB_304000_NS6detail27convert_result_type_wrapperIS8_S9_N2at6native12_GLOBAL__N_19CustomMaxEEEEE10hipError_tPvRmT0_T1_jT2_SQ_T4_T3_P12ihipStream_tbEUlT_E_NS1_11comp_targetILNS1_3genE9ELNS1_11target_archE1100ELNS1_3gpuE3ELNS1_3repE0EEENS1_30default_config_static_selectorELNS0_4arch9wavefront6targetE1EEEvSP_: ; @_ZN7rocprim17ROCPRIM_400000_NS6detail17trampoline_kernelINS0_14default_configENS1_32segmented_reduce_config_selectorIfEEZNS1_21segmented_reduce_implIS3_PKfPfPKifN6hipcub16HIPCUB_304000_NS6detail27convert_result_type_wrapperIS8_S9_N2at6native12_GLOBAL__N_19CustomMaxEEEEE10hipError_tPvRmT0_T1_jT2_SQ_T4_T3_P12ihipStream_tbEUlT_E_NS1_11comp_targetILNS1_3genE9ELNS1_11target_archE1100ELNS1_3gpuE3ELNS1_3repE0EEENS1_30default_config_static_selectorELNS0_4arch9wavefront6targetE1EEEvSP_
; %bb.0:
	.section	.rodata,"a",@progbits
	.p2align	6, 0x0
	.amdhsa_kernel _ZN7rocprim17ROCPRIM_400000_NS6detail17trampoline_kernelINS0_14default_configENS1_32segmented_reduce_config_selectorIfEEZNS1_21segmented_reduce_implIS3_PKfPfPKifN6hipcub16HIPCUB_304000_NS6detail27convert_result_type_wrapperIS8_S9_N2at6native12_GLOBAL__N_19CustomMaxEEEEE10hipError_tPvRmT0_T1_jT2_SQ_T4_T3_P12ihipStream_tbEUlT_E_NS1_11comp_targetILNS1_3genE9ELNS1_11target_archE1100ELNS1_3gpuE3ELNS1_3repE0EEENS1_30default_config_static_selectorELNS0_4arch9wavefront6targetE1EEEvSP_
		.amdhsa_group_segment_fixed_size 0
		.amdhsa_private_segment_fixed_size 0
		.amdhsa_kernarg_size 48
		.amdhsa_user_sgpr_count 6
		.amdhsa_user_sgpr_private_segment_buffer 1
		.amdhsa_user_sgpr_dispatch_ptr 0
		.amdhsa_user_sgpr_queue_ptr 0
		.amdhsa_user_sgpr_kernarg_segment_ptr 1
		.amdhsa_user_sgpr_dispatch_id 0
		.amdhsa_user_sgpr_flat_scratch_init 0
		.amdhsa_user_sgpr_private_segment_size 0
		.amdhsa_uses_dynamic_stack 0
		.amdhsa_system_sgpr_private_segment_wavefront_offset 0
		.amdhsa_system_sgpr_workgroup_id_x 1
		.amdhsa_system_sgpr_workgroup_id_y 0
		.amdhsa_system_sgpr_workgroup_id_z 0
		.amdhsa_system_sgpr_workgroup_info 0
		.amdhsa_system_vgpr_workitem_id 0
		.amdhsa_next_free_vgpr 1
		.amdhsa_next_free_sgpr 0
		.amdhsa_reserve_vcc 0
		.amdhsa_reserve_flat_scratch 0
		.amdhsa_float_round_mode_32 0
		.amdhsa_float_round_mode_16_64 0
		.amdhsa_float_denorm_mode_32 3
		.amdhsa_float_denorm_mode_16_64 3
		.amdhsa_dx10_clamp 1
		.amdhsa_ieee_mode 1
		.amdhsa_fp16_overflow 0
		.amdhsa_exception_fp_ieee_invalid_op 0
		.amdhsa_exception_fp_denorm_src 0
		.amdhsa_exception_fp_ieee_div_zero 0
		.amdhsa_exception_fp_ieee_overflow 0
		.amdhsa_exception_fp_ieee_underflow 0
		.amdhsa_exception_fp_ieee_inexact 0
		.amdhsa_exception_int_div_zero 0
	.end_amdhsa_kernel
	.section	.text._ZN7rocprim17ROCPRIM_400000_NS6detail17trampoline_kernelINS0_14default_configENS1_32segmented_reduce_config_selectorIfEEZNS1_21segmented_reduce_implIS3_PKfPfPKifN6hipcub16HIPCUB_304000_NS6detail27convert_result_type_wrapperIS8_S9_N2at6native12_GLOBAL__N_19CustomMaxEEEEE10hipError_tPvRmT0_T1_jT2_SQ_T4_T3_P12ihipStream_tbEUlT_E_NS1_11comp_targetILNS1_3genE9ELNS1_11target_archE1100ELNS1_3gpuE3ELNS1_3repE0EEENS1_30default_config_static_selectorELNS0_4arch9wavefront6targetE1EEEvSP_,"axG",@progbits,_ZN7rocprim17ROCPRIM_400000_NS6detail17trampoline_kernelINS0_14default_configENS1_32segmented_reduce_config_selectorIfEEZNS1_21segmented_reduce_implIS3_PKfPfPKifN6hipcub16HIPCUB_304000_NS6detail27convert_result_type_wrapperIS8_S9_N2at6native12_GLOBAL__N_19CustomMaxEEEEE10hipError_tPvRmT0_T1_jT2_SQ_T4_T3_P12ihipStream_tbEUlT_E_NS1_11comp_targetILNS1_3genE9ELNS1_11target_archE1100ELNS1_3gpuE3ELNS1_3repE0EEENS1_30default_config_static_selectorELNS0_4arch9wavefront6targetE1EEEvSP_,comdat
.Lfunc_end49:
	.size	_ZN7rocprim17ROCPRIM_400000_NS6detail17trampoline_kernelINS0_14default_configENS1_32segmented_reduce_config_selectorIfEEZNS1_21segmented_reduce_implIS3_PKfPfPKifN6hipcub16HIPCUB_304000_NS6detail27convert_result_type_wrapperIS8_S9_N2at6native12_GLOBAL__N_19CustomMaxEEEEE10hipError_tPvRmT0_T1_jT2_SQ_T4_T3_P12ihipStream_tbEUlT_E_NS1_11comp_targetILNS1_3genE9ELNS1_11target_archE1100ELNS1_3gpuE3ELNS1_3repE0EEENS1_30default_config_static_selectorELNS0_4arch9wavefront6targetE1EEEvSP_, .Lfunc_end49-_ZN7rocprim17ROCPRIM_400000_NS6detail17trampoline_kernelINS0_14default_configENS1_32segmented_reduce_config_selectorIfEEZNS1_21segmented_reduce_implIS3_PKfPfPKifN6hipcub16HIPCUB_304000_NS6detail27convert_result_type_wrapperIS8_S9_N2at6native12_GLOBAL__N_19CustomMaxEEEEE10hipError_tPvRmT0_T1_jT2_SQ_T4_T3_P12ihipStream_tbEUlT_E_NS1_11comp_targetILNS1_3genE9ELNS1_11target_archE1100ELNS1_3gpuE3ELNS1_3repE0EEENS1_30default_config_static_selectorELNS0_4arch9wavefront6targetE1EEEvSP_
                                        ; -- End function
	.set _ZN7rocprim17ROCPRIM_400000_NS6detail17trampoline_kernelINS0_14default_configENS1_32segmented_reduce_config_selectorIfEEZNS1_21segmented_reduce_implIS3_PKfPfPKifN6hipcub16HIPCUB_304000_NS6detail27convert_result_type_wrapperIS8_S9_N2at6native12_GLOBAL__N_19CustomMaxEEEEE10hipError_tPvRmT0_T1_jT2_SQ_T4_T3_P12ihipStream_tbEUlT_E_NS1_11comp_targetILNS1_3genE9ELNS1_11target_archE1100ELNS1_3gpuE3ELNS1_3repE0EEENS1_30default_config_static_selectorELNS0_4arch9wavefront6targetE1EEEvSP_.num_vgpr, 0
	.set _ZN7rocprim17ROCPRIM_400000_NS6detail17trampoline_kernelINS0_14default_configENS1_32segmented_reduce_config_selectorIfEEZNS1_21segmented_reduce_implIS3_PKfPfPKifN6hipcub16HIPCUB_304000_NS6detail27convert_result_type_wrapperIS8_S9_N2at6native12_GLOBAL__N_19CustomMaxEEEEE10hipError_tPvRmT0_T1_jT2_SQ_T4_T3_P12ihipStream_tbEUlT_E_NS1_11comp_targetILNS1_3genE9ELNS1_11target_archE1100ELNS1_3gpuE3ELNS1_3repE0EEENS1_30default_config_static_selectorELNS0_4arch9wavefront6targetE1EEEvSP_.num_agpr, 0
	.set _ZN7rocprim17ROCPRIM_400000_NS6detail17trampoline_kernelINS0_14default_configENS1_32segmented_reduce_config_selectorIfEEZNS1_21segmented_reduce_implIS3_PKfPfPKifN6hipcub16HIPCUB_304000_NS6detail27convert_result_type_wrapperIS8_S9_N2at6native12_GLOBAL__N_19CustomMaxEEEEE10hipError_tPvRmT0_T1_jT2_SQ_T4_T3_P12ihipStream_tbEUlT_E_NS1_11comp_targetILNS1_3genE9ELNS1_11target_archE1100ELNS1_3gpuE3ELNS1_3repE0EEENS1_30default_config_static_selectorELNS0_4arch9wavefront6targetE1EEEvSP_.numbered_sgpr, 0
	.set _ZN7rocprim17ROCPRIM_400000_NS6detail17trampoline_kernelINS0_14default_configENS1_32segmented_reduce_config_selectorIfEEZNS1_21segmented_reduce_implIS3_PKfPfPKifN6hipcub16HIPCUB_304000_NS6detail27convert_result_type_wrapperIS8_S9_N2at6native12_GLOBAL__N_19CustomMaxEEEEE10hipError_tPvRmT0_T1_jT2_SQ_T4_T3_P12ihipStream_tbEUlT_E_NS1_11comp_targetILNS1_3genE9ELNS1_11target_archE1100ELNS1_3gpuE3ELNS1_3repE0EEENS1_30default_config_static_selectorELNS0_4arch9wavefront6targetE1EEEvSP_.num_named_barrier, 0
	.set _ZN7rocprim17ROCPRIM_400000_NS6detail17trampoline_kernelINS0_14default_configENS1_32segmented_reduce_config_selectorIfEEZNS1_21segmented_reduce_implIS3_PKfPfPKifN6hipcub16HIPCUB_304000_NS6detail27convert_result_type_wrapperIS8_S9_N2at6native12_GLOBAL__N_19CustomMaxEEEEE10hipError_tPvRmT0_T1_jT2_SQ_T4_T3_P12ihipStream_tbEUlT_E_NS1_11comp_targetILNS1_3genE9ELNS1_11target_archE1100ELNS1_3gpuE3ELNS1_3repE0EEENS1_30default_config_static_selectorELNS0_4arch9wavefront6targetE1EEEvSP_.private_seg_size, 0
	.set _ZN7rocprim17ROCPRIM_400000_NS6detail17trampoline_kernelINS0_14default_configENS1_32segmented_reduce_config_selectorIfEEZNS1_21segmented_reduce_implIS3_PKfPfPKifN6hipcub16HIPCUB_304000_NS6detail27convert_result_type_wrapperIS8_S9_N2at6native12_GLOBAL__N_19CustomMaxEEEEE10hipError_tPvRmT0_T1_jT2_SQ_T4_T3_P12ihipStream_tbEUlT_E_NS1_11comp_targetILNS1_3genE9ELNS1_11target_archE1100ELNS1_3gpuE3ELNS1_3repE0EEENS1_30default_config_static_selectorELNS0_4arch9wavefront6targetE1EEEvSP_.uses_vcc, 0
	.set _ZN7rocprim17ROCPRIM_400000_NS6detail17trampoline_kernelINS0_14default_configENS1_32segmented_reduce_config_selectorIfEEZNS1_21segmented_reduce_implIS3_PKfPfPKifN6hipcub16HIPCUB_304000_NS6detail27convert_result_type_wrapperIS8_S9_N2at6native12_GLOBAL__N_19CustomMaxEEEEE10hipError_tPvRmT0_T1_jT2_SQ_T4_T3_P12ihipStream_tbEUlT_E_NS1_11comp_targetILNS1_3genE9ELNS1_11target_archE1100ELNS1_3gpuE3ELNS1_3repE0EEENS1_30default_config_static_selectorELNS0_4arch9wavefront6targetE1EEEvSP_.uses_flat_scratch, 0
	.set _ZN7rocprim17ROCPRIM_400000_NS6detail17trampoline_kernelINS0_14default_configENS1_32segmented_reduce_config_selectorIfEEZNS1_21segmented_reduce_implIS3_PKfPfPKifN6hipcub16HIPCUB_304000_NS6detail27convert_result_type_wrapperIS8_S9_N2at6native12_GLOBAL__N_19CustomMaxEEEEE10hipError_tPvRmT0_T1_jT2_SQ_T4_T3_P12ihipStream_tbEUlT_E_NS1_11comp_targetILNS1_3genE9ELNS1_11target_archE1100ELNS1_3gpuE3ELNS1_3repE0EEENS1_30default_config_static_selectorELNS0_4arch9wavefront6targetE1EEEvSP_.has_dyn_sized_stack, 0
	.set _ZN7rocprim17ROCPRIM_400000_NS6detail17trampoline_kernelINS0_14default_configENS1_32segmented_reduce_config_selectorIfEEZNS1_21segmented_reduce_implIS3_PKfPfPKifN6hipcub16HIPCUB_304000_NS6detail27convert_result_type_wrapperIS8_S9_N2at6native12_GLOBAL__N_19CustomMaxEEEEE10hipError_tPvRmT0_T1_jT2_SQ_T4_T3_P12ihipStream_tbEUlT_E_NS1_11comp_targetILNS1_3genE9ELNS1_11target_archE1100ELNS1_3gpuE3ELNS1_3repE0EEENS1_30default_config_static_selectorELNS0_4arch9wavefront6targetE1EEEvSP_.has_recursion, 0
	.set _ZN7rocprim17ROCPRIM_400000_NS6detail17trampoline_kernelINS0_14default_configENS1_32segmented_reduce_config_selectorIfEEZNS1_21segmented_reduce_implIS3_PKfPfPKifN6hipcub16HIPCUB_304000_NS6detail27convert_result_type_wrapperIS8_S9_N2at6native12_GLOBAL__N_19CustomMaxEEEEE10hipError_tPvRmT0_T1_jT2_SQ_T4_T3_P12ihipStream_tbEUlT_E_NS1_11comp_targetILNS1_3genE9ELNS1_11target_archE1100ELNS1_3gpuE3ELNS1_3repE0EEENS1_30default_config_static_selectorELNS0_4arch9wavefront6targetE1EEEvSP_.has_indirect_call, 0
	.section	.AMDGPU.csdata,"",@progbits
; Kernel info:
; codeLenInByte = 0
; TotalNumSgprs: 4
; NumVgprs: 0
; ScratchSize: 0
; MemoryBound: 0
; FloatMode: 240
; IeeeMode: 1
; LDSByteSize: 0 bytes/workgroup (compile time only)
; SGPRBlocks: 0
; VGPRBlocks: 0
; NumSGPRsForWavesPerEU: 4
; NumVGPRsForWavesPerEU: 1
; Occupancy: 10
; WaveLimiterHint : 0
; COMPUTE_PGM_RSRC2:SCRATCH_EN: 0
; COMPUTE_PGM_RSRC2:USER_SGPR: 6
; COMPUTE_PGM_RSRC2:TRAP_HANDLER: 0
; COMPUTE_PGM_RSRC2:TGID_X_EN: 1
; COMPUTE_PGM_RSRC2:TGID_Y_EN: 0
; COMPUTE_PGM_RSRC2:TGID_Z_EN: 0
; COMPUTE_PGM_RSRC2:TIDIG_COMP_CNT: 0
	.section	.text._ZN7rocprim17ROCPRIM_400000_NS6detail17trampoline_kernelINS0_14default_configENS1_32segmented_reduce_config_selectorIfEEZNS1_21segmented_reduce_implIS3_PKfPfPKifN6hipcub16HIPCUB_304000_NS6detail27convert_result_type_wrapperIS8_S9_N2at6native12_GLOBAL__N_19CustomMaxEEEEE10hipError_tPvRmT0_T1_jT2_SQ_T4_T3_P12ihipStream_tbEUlT_E_NS1_11comp_targetILNS1_3genE8ELNS1_11target_archE1030ELNS1_3gpuE2ELNS1_3repE0EEENS1_30default_config_static_selectorELNS0_4arch9wavefront6targetE1EEEvSP_,"axG",@progbits,_ZN7rocprim17ROCPRIM_400000_NS6detail17trampoline_kernelINS0_14default_configENS1_32segmented_reduce_config_selectorIfEEZNS1_21segmented_reduce_implIS3_PKfPfPKifN6hipcub16HIPCUB_304000_NS6detail27convert_result_type_wrapperIS8_S9_N2at6native12_GLOBAL__N_19CustomMaxEEEEE10hipError_tPvRmT0_T1_jT2_SQ_T4_T3_P12ihipStream_tbEUlT_E_NS1_11comp_targetILNS1_3genE8ELNS1_11target_archE1030ELNS1_3gpuE2ELNS1_3repE0EEENS1_30default_config_static_selectorELNS0_4arch9wavefront6targetE1EEEvSP_,comdat
	.globl	_ZN7rocprim17ROCPRIM_400000_NS6detail17trampoline_kernelINS0_14default_configENS1_32segmented_reduce_config_selectorIfEEZNS1_21segmented_reduce_implIS3_PKfPfPKifN6hipcub16HIPCUB_304000_NS6detail27convert_result_type_wrapperIS8_S9_N2at6native12_GLOBAL__N_19CustomMaxEEEEE10hipError_tPvRmT0_T1_jT2_SQ_T4_T3_P12ihipStream_tbEUlT_E_NS1_11comp_targetILNS1_3genE8ELNS1_11target_archE1030ELNS1_3gpuE2ELNS1_3repE0EEENS1_30default_config_static_selectorELNS0_4arch9wavefront6targetE1EEEvSP_ ; -- Begin function _ZN7rocprim17ROCPRIM_400000_NS6detail17trampoline_kernelINS0_14default_configENS1_32segmented_reduce_config_selectorIfEEZNS1_21segmented_reduce_implIS3_PKfPfPKifN6hipcub16HIPCUB_304000_NS6detail27convert_result_type_wrapperIS8_S9_N2at6native12_GLOBAL__N_19CustomMaxEEEEE10hipError_tPvRmT0_T1_jT2_SQ_T4_T3_P12ihipStream_tbEUlT_E_NS1_11comp_targetILNS1_3genE8ELNS1_11target_archE1030ELNS1_3gpuE2ELNS1_3repE0EEENS1_30default_config_static_selectorELNS0_4arch9wavefront6targetE1EEEvSP_
	.p2align	8
	.type	_ZN7rocprim17ROCPRIM_400000_NS6detail17trampoline_kernelINS0_14default_configENS1_32segmented_reduce_config_selectorIfEEZNS1_21segmented_reduce_implIS3_PKfPfPKifN6hipcub16HIPCUB_304000_NS6detail27convert_result_type_wrapperIS8_S9_N2at6native12_GLOBAL__N_19CustomMaxEEEEE10hipError_tPvRmT0_T1_jT2_SQ_T4_T3_P12ihipStream_tbEUlT_E_NS1_11comp_targetILNS1_3genE8ELNS1_11target_archE1030ELNS1_3gpuE2ELNS1_3repE0EEENS1_30default_config_static_selectorELNS0_4arch9wavefront6targetE1EEEvSP_,@function
_ZN7rocprim17ROCPRIM_400000_NS6detail17trampoline_kernelINS0_14default_configENS1_32segmented_reduce_config_selectorIfEEZNS1_21segmented_reduce_implIS3_PKfPfPKifN6hipcub16HIPCUB_304000_NS6detail27convert_result_type_wrapperIS8_S9_N2at6native12_GLOBAL__N_19CustomMaxEEEEE10hipError_tPvRmT0_T1_jT2_SQ_T4_T3_P12ihipStream_tbEUlT_E_NS1_11comp_targetILNS1_3genE8ELNS1_11target_archE1030ELNS1_3gpuE2ELNS1_3repE0EEENS1_30default_config_static_selectorELNS0_4arch9wavefront6targetE1EEEvSP_: ; @_ZN7rocprim17ROCPRIM_400000_NS6detail17trampoline_kernelINS0_14default_configENS1_32segmented_reduce_config_selectorIfEEZNS1_21segmented_reduce_implIS3_PKfPfPKifN6hipcub16HIPCUB_304000_NS6detail27convert_result_type_wrapperIS8_S9_N2at6native12_GLOBAL__N_19CustomMaxEEEEE10hipError_tPvRmT0_T1_jT2_SQ_T4_T3_P12ihipStream_tbEUlT_E_NS1_11comp_targetILNS1_3genE8ELNS1_11target_archE1030ELNS1_3gpuE2ELNS1_3repE0EEENS1_30default_config_static_selectorELNS0_4arch9wavefront6targetE1EEEvSP_
; %bb.0:
	.section	.rodata,"a",@progbits
	.p2align	6, 0x0
	.amdhsa_kernel _ZN7rocprim17ROCPRIM_400000_NS6detail17trampoline_kernelINS0_14default_configENS1_32segmented_reduce_config_selectorIfEEZNS1_21segmented_reduce_implIS3_PKfPfPKifN6hipcub16HIPCUB_304000_NS6detail27convert_result_type_wrapperIS8_S9_N2at6native12_GLOBAL__N_19CustomMaxEEEEE10hipError_tPvRmT0_T1_jT2_SQ_T4_T3_P12ihipStream_tbEUlT_E_NS1_11comp_targetILNS1_3genE8ELNS1_11target_archE1030ELNS1_3gpuE2ELNS1_3repE0EEENS1_30default_config_static_selectorELNS0_4arch9wavefront6targetE1EEEvSP_
		.amdhsa_group_segment_fixed_size 0
		.amdhsa_private_segment_fixed_size 0
		.amdhsa_kernarg_size 48
		.amdhsa_user_sgpr_count 6
		.amdhsa_user_sgpr_private_segment_buffer 1
		.amdhsa_user_sgpr_dispatch_ptr 0
		.amdhsa_user_sgpr_queue_ptr 0
		.amdhsa_user_sgpr_kernarg_segment_ptr 1
		.amdhsa_user_sgpr_dispatch_id 0
		.amdhsa_user_sgpr_flat_scratch_init 0
		.amdhsa_user_sgpr_private_segment_size 0
		.amdhsa_uses_dynamic_stack 0
		.amdhsa_system_sgpr_private_segment_wavefront_offset 0
		.amdhsa_system_sgpr_workgroup_id_x 1
		.amdhsa_system_sgpr_workgroup_id_y 0
		.amdhsa_system_sgpr_workgroup_id_z 0
		.amdhsa_system_sgpr_workgroup_info 0
		.amdhsa_system_vgpr_workitem_id 0
		.amdhsa_next_free_vgpr 1
		.amdhsa_next_free_sgpr 0
		.amdhsa_reserve_vcc 0
		.amdhsa_reserve_flat_scratch 0
		.amdhsa_float_round_mode_32 0
		.amdhsa_float_round_mode_16_64 0
		.amdhsa_float_denorm_mode_32 3
		.amdhsa_float_denorm_mode_16_64 3
		.amdhsa_dx10_clamp 1
		.amdhsa_ieee_mode 1
		.amdhsa_fp16_overflow 0
		.amdhsa_exception_fp_ieee_invalid_op 0
		.amdhsa_exception_fp_denorm_src 0
		.amdhsa_exception_fp_ieee_div_zero 0
		.amdhsa_exception_fp_ieee_overflow 0
		.amdhsa_exception_fp_ieee_underflow 0
		.amdhsa_exception_fp_ieee_inexact 0
		.amdhsa_exception_int_div_zero 0
	.end_amdhsa_kernel
	.section	.text._ZN7rocprim17ROCPRIM_400000_NS6detail17trampoline_kernelINS0_14default_configENS1_32segmented_reduce_config_selectorIfEEZNS1_21segmented_reduce_implIS3_PKfPfPKifN6hipcub16HIPCUB_304000_NS6detail27convert_result_type_wrapperIS8_S9_N2at6native12_GLOBAL__N_19CustomMaxEEEEE10hipError_tPvRmT0_T1_jT2_SQ_T4_T3_P12ihipStream_tbEUlT_E_NS1_11comp_targetILNS1_3genE8ELNS1_11target_archE1030ELNS1_3gpuE2ELNS1_3repE0EEENS1_30default_config_static_selectorELNS0_4arch9wavefront6targetE1EEEvSP_,"axG",@progbits,_ZN7rocprim17ROCPRIM_400000_NS6detail17trampoline_kernelINS0_14default_configENS1_32segmented_reduce_config_selectorIfEEZNS1_21segmented_reduce_implIS3_PKfPfPKifN6hipcub16HIPCUB_304000_NS6detail27convert_result_type_wrapperIS8_S9_N2at6native12_GLOBAL__N_19CustomMaxEEEEE10hipError_tPvRmT0_T1_jT2_SQ_T4_T3_P12ihipStream_tbEUlT_E_NS1_11comp_targetILNS1_3genE8ELNS1_11target_archE1030ELNS1_3gpuE2ELNS1_3repE0EEENS1_30default_config_static_selectorELNS0_4arch9wavefront6targetE1EEEvSP_,comdat
.Lfunc_end50:
	.size	_ZN7rocprim17ROCPRIM_400000_NS6detail17trampoline_kernelINS0_14default_configENS1_32segmented_reduce_config_selectorIfEEZNS1_21segmented_reduce_implIS3_PKfPfPKifN6hipcub16HIPCUB_304000_NS6detail27convert_result_type_wrapperIS8_S9_N2at6native12_GLOBAL__N_19CustomMaxEEEEE10hipError_tPvRmT0_T1_jT2_SQ_T4_T3_P12ihipStream_tbEUlT_E_NS1_11comp_targetILNS1_3genE8ELNS1_11target_archE1030ELNS1_3gpuE2ELNS1_3repE0EEENS1_30default_config_static_selectorELNS0_4arch9wavefront6targetE1EEEvSP_, .Lfunc_end50-_ZN7rocprim17ROCPRIM_400000_NS6detail17trampoline_kernelINS0_14default_configENS1_32segmented_reduce_config_selectorIfEEZNS1_21segmented_reduce_implIS3_PKfPfPKifN6hipcub16HIPCUB_304000_NS6detail27convert_result_type_wrapperIS8_S9_N2at6native12_GLOBAL__N_19CustomMaxEEEEE10hipError_tPvRmT0_T1_jT2_SQ_T4_T3_P12ihipStream_tbEUlT_E_NS1_11comp_targetILNS1_3genE8ELNS1_11target_archE1030ELNS1_3gpuE2ELNS1_3repE0EEENS1_30default_config_static_selectorELNS0_4arch9wavefront6targetE1EEEvSP_
                                        ; -- End function
	.set _ZN7rocprim17ROCPRIM_400000_NS6detail17trampoline_kernelINS0_14default_configENS1_32segmented_reduce_config_selectorIfEEZNS1_21segmented_reduce_implIS3_PKfPfPKifN6hipcub16HIPCUB_304000_NS6detail27convert_result_type_wrapperIS8_S9_N2at6native12_GLOBAL__N_19CustomMaxEEEEE10hipError_tPvRmT0_T1_jT2_SQ_T4_T3_P12ihipStream_tbEUlT_E_NS1_11comp_targetILNS1_3genE8ELNS1_11target_archE1030ELNS1_3gpuE2ELNS1_3repE0EEENS1_30default_config_static_selectorELNS0_4arch9wavefront6targetE1EEEvSP_.num_vgpr, 0
	.set _ZN7rocprim17ROCPRIM_400000_NS6detail17trampoline_kernelINS0_14default_configENS1_32segmented_reduce_config_selectorIfEEZNS1_21segmented_reduce_implIS3_PKfPfPKifN6hipcub16HIPCUB_304000_NS6detail27convert_result_type_wrapperIS8_S9_N2at6native12_GLOBAL__N_19CustomMaxEEEEE10hipError_tPvRmT0_T1_jT2_SQ_T4_T3_P12ihipStream_tbEUlT_E_NS1_11comp_targetILNS1_3genE8ELNS1_11target_archE1030ELNS1_3gpuE2ELNS1_3repE0EEENS1_30default_config_static_selectorELNS0_4arch9wavefront6targetE1EEEvSP_.num_agpr, 0
	.set _ZN7rocprim17ROCPRIM_400000_NS6detail17trampoline_kernelINS0_14default_configENS1_32segmented_reduce_config_selectorIfEEZNS1_21segmented_reduce_implIS3_PKfPfPKifN6hipcub16HIPCUB_304000_NS6detail27convert_result_type_wrapperIS8_S9_N2at6native12_GLOBAL__N_19CustomMaxEEEEE10hipError_tPvRmT0_T1_jT2_SQ_T4_T3_P12ihipStream_tbEUlT_E_NS1_11comp_targetILNS1_3genE8ELNS1_11target_archE1030ELNS1_3gpuE2ELNS1_3repE0EEENS1_30default_config_static_selectorELNS0_4arch9wavefront6targetE1EEEvSP_.numbered_sgpr, 0
	.set _ZN7rocprim17ROCPRIM_400000_NS6detail17trampoline_kernelINS0_14default_configENS1_32segmented_reduce_config_selectorIfEEZNS1_21segmented_reduce_implIS3_PKfPfPKifN6hipcub16HIPCUB_304000_NS6detail27convert_result_type_wrapperIS8_S9_N2at6native12_GLOBAL__N_19CustomMaxEEEEE10hipError_tPvRmT0_T1_jT2_SQ_T4_T3_P12ihipStream_tbEUlT_E_NS1_11comp_targetILNS1_3genE8ELNS1_11target_archE1030ELNS1_3gpuE2ELNS1_3repE0EEENS1_30default_config_static_selectorELNS0_4arch9wavefront6targetE1EEEvSP_.num_named_barrier, 0
	.set _ZN7rocprim17ROCPRIM_400000_NS6detail17trampoline_kernelINS0_14default_configENS1_32segmented_reduce_config_selectorIfEEZNS1_21segmented_reduce_implIS3_PKfPfPKifN6hipcub16HIPCUB_304000_NS6detail27convert_result_type_wrapperIS8_S9_N2at6native12_GLOBAL__N_19CustomMaxEEEEE10hipError_tPvRmT0_T1_jT2_SQ_T4_T3_P12ihipStream_tbEUlT_E_NS1_11comp_targetILNS1_3genE8ELNS1_11target_archE1030ELNS1_3gpuE2ELNS1_3repE0EEENS1_30default_config_static_selectorELNS0_4arch9wavefront6targetE1EEEvSP_.private_seg_size, 0
	.set _ZN7rocprim17ROCPRIM_400000_NS6detail17trampoline_kernelINS0_14default_configENS1_32segmented_reduce_config_selectorIfEEZNS1_21segmented_reduce_implIS3_PKfPfPKifN6hipcub16HIPCUB_304000_NS6detail27convert_result_type_wrapperIS8_S9_N2at6native12_GLOBAL__N_19CustomMaxEEEEE10hipError_tPvRmT0_T1_jT2_SQ_T4_T3_P12ihipStream_tbEUlT_E_NS1_11comp_targetILNS1_3genE8ELNS1_11target_archE1030ELNS1_3gpuE2ELNS1_3repE0EEENS1_30default_config_static_selectorELNS0_4arch9wavefront6targetE1EEEvSP_.uses_vcc, 0
	.set _ZN7rocprim17ROCPRIM_400000_NS6detail17trampoline_kernelINS0_14default_configENS1_32segmented_reduce_config_selectorIfEEZNS1_21segmented_reduce_implIS3_PKfPfPKifN6hipcub16HIPCUB_304000_NS6detail27convert_result_type_wrapperIS8_S9_N2at6native12_GLOBAL__N_19CustomMaxEEEEE10hipError_tPvRmT0_T1_jT2_SQ_T4_T3_P12ihipStream_tbEUlT_E_NS1_11comp_targetILNS1_3genE8ELNS1_11target_archE1030ELNS1_3gpuE2ELNS1_3repE0EEENS1_30default_config_static_selectorELNS0_4arch9wavefront6targetE1EEEvSP_.uses_flat_scratch, 0
	.set _ZN7rocprim17ROCPRIM_400000_NS6detail17trampoline_kernelINS0_14default_configENS1_32segmented_reduce_config_selectorIfEEZNS1_21segmented_reduce_implIS3_PKfPfPKifN6hipcub16HIPCUB_304000_NS6detail27convert_result_type_wrapperIS8_S9_N2at6native12_GLOBAL__N_19CustomMaxEEEEE10hipError_tPvRmT0_T1_jT2_SQ_T4_T3_P12ihipStream_tbEUlT_E_NS1_11comp_targetILNS1_3genE8ELNS1_11target_archE1030ELNS1_3gpuE2ELNS1_3repE0EEENS1_30default_config_static_selectorELNS0_4arch9wavefront6targetE1EEEvSP_.has_dyn_sized_stack, 0
	.set _ZN7rocprim17ROCPRIM_400000_NS6detail17trampoline_kernelINS0_14default_configENS1_32segmented_reduce_config_selectorIfEEZNS1_21segmented_reduce_implIS3_PKfPfPKifN6hipcub16HIPCUB_304000_NS6detail27convert_result_type_wrapperIS8_S9_N2at6native12_GLOBAL__N_19CustomMaxEEEEE10hipError_tPvRmT0_T1_jT2_SQ_T4_T3_P12ihipStream_tbEUlT_E_NS1_11comp_targetILNS1_3genE8ELNS1_11target_archE1030ELNS1_3gpuE2ELNS1_3repE0EEENS1_30default_config_static_selectorELNS0_4arch9wavefront6targetE1EEEvSP_.has_recursion, 0
	.set _ZN7rocprim17ROCPRIM_400000_NS6detail17trampoline_kernelINS0_14default_configENS1_32segmented_reduce_config_selectorIfEEZNS1_21segmented_reduce_implIS3_PKfPfPKifN6hipcub16HIPCUB_304000_NS6detail27convert_result_type_wrapperIS8_S9_N2at6native12_GLOBAL__N_19CustomMaxEEEEE10hipError_tPvRmT0_T1_jT2_SQ_T4_T3_P12ihipStream_tbEUlT_E_NS1_11comp_targetILNS1_3genE8ELNS1_11target_archE1030ELNS1_3gpuE2ELNS1_3repE0EEENS1_30default_config_static_selectorELNS0_4arch9wavefront6targetE1EEEvSP_.has_indirect_call, 0
	.section	.AMDGPU.csdata,"",@progbits
; Kernel info:
; codeLenInByte = 0
; TotalNumSgprs: 4
; NumVgprs: 0
; ScratchSize: 0
; MemoryBound: 0
; FloatMode: 240
; IeeeMode: 1
; LDSByteSize: 0 bytes/workgroup (compile time only)
; SGPRBlocks: 0
; VGPRBlocks: 0
; NumSGPRsForWavesPerEU: 4
; NumVGPRsForWavesPerEU: 1
; Occupancy: 10
; WaveLimiterHint : 0
; COMPUTE_PGM_RSRC2:SCRATCH_EN: 0
; COMPUTE_PGM_RSRC2:USER_SGPR: 6
; COMPUTE_PGM_RSRC2:TRAP_HANDLER: 0
; COMPUTE_PGM_RSRC2:TGID_X_EN: 1
; COMPUTE_PGM_RSRC2:TGID_Y_EN: 0
; COMPUTE_PGM_RSRC2:TGID_Z_EN: 0
; COMPUTE_PGM_RSRC2:TIDIG_COMP_CNT: 0
	.section	.text._ZN7rocprim17ROCPRIM_400000_NS6detail17trampoline_kernelINS0_14default_configENS1_32segmented_reduce_config_selectorIfEEZNS1_21segmented_reduce_implIS3_PKfPfPKifN6hipcub16HIPCUB_304000_NS6detail27convert_result_type_wrapperIS8_S9_N2at6native12_GLOBAL__N_19CustomSumEEEEE10hipError_tPvRmT0_T1_jT2_SQ_T4_T3_P12ihipStream_tbEUlT_E_NS1_11comp_targetILNS1_3genE0ELNS1_11target_archE4294967295ELNS1_3gpuE0ELNS1_3repE0EEENS1_30default_config_static_selectorELNS0_4arch9wavefront6targetE1EEEvSP_,"axG",@progbits,_ZN7rocprim17ROCPRIM_400000_NS6detail17trampoline_kernelINS0_14default_configENS1_32segmented_reduce_config_selectorIfEEZNS1_21segmented_reduce_implIS3_PKfPfPKifN6hipcub16HIPCUB_304000_NS6detail27convert_result_type_wrapperIS8_S9_N2at6native12_GLOBAL__N_19CustomSumEEEEE10hipError_tPvRmT0_T1_jT2_SQ_T4_T3_P12ihipStream_tbEUlT_E_NS1_11comp_targetILNS1_3genE0ELNS1_11target_archE4294967295ELNS1_3gpuE0ELNS1_3repE0EEENS1_30default_config_static_selectorELNS0_4arch9wavefront6targetE1EEEvSP_,comdat
	.globl	_ZN7rocprim17ROCPRIM_400000_NS6detail17trampoline_kernelINS0_14default_configENS1_32segmented_reduce_config_selectorIfEEZNS1_21segmented_reduce_implIS3_PKfPfPKifN6hipcub16HIPCUB_304000_NS6detail27convert_result_type_wrapperIS8_S9_N2at6native12_GLOBAL__N_19CustomSumEEEEE10hipError_tPvRmT0_T1_jT2_SQ_T4_T3_P12ihipStream_tbEUlT_E_NS1_11comp_targetILNS1_3genE0ELNS1_11target_archE4294967295ELNS1_3gpuE0ELNS1_3repE0EEENS1_30default_config_static_selectorELNS0_4arch9wavefront6targetE1EEEvSP_ ; -- Begin function _ZN7rocprim17ROCPRIM_400000_NS6detail17trampoline_kernelINS0_14default_configENS1_32segmented_reduce_config_selectorIfEEZNS1_21segmented_reduce_implIS3_PKfPfPKifN6hipcub16HIPCUB_304000_NS6detail27convert_result_type_wrapperIS8_S9_N2at6native12_GLOBAL__N_19CustomSumEEEEE10hipError_tPvRmT0_T1_jT2_SQ_T4_T3_P12ihipStream_tbEUlT_E_NS1_11comp_targetILNS1_3genE0ELNS1_11target_archE4294967295ELNS1_3gpuE0ELNS1_3repE0EEENS1_30default_config_static_selectorELNS0_4arch9wavefront6targetE1EEEvSP_
	.p2align	8
	.type	_ZN7rocprim17ROCPRIM_400000_NS6detail17trampoline_kernelINS0_14default_configENS1_32segmented_reduce_config_selectorIfEEZNS1_21segmented_reduce_implIS3_PKfPfPKifN6hipcub16HIPCUB_304000_NS6detail27convert_result_type_wrapperIS8_S9_N2at6native12_GLOBAL__N_19CustomSumEEEEE10hipError_tPvRmT0_T1_jT2_SQ_T4_T3_P12ihipStream_tbEUlT_E_NS1_11comp_targetILNS1_3genE0ELNS1_11target_archE4294967295ELNS1_3gpuE0ELNS1_3repE0EEENS1_30default_config_static_selectorELNS0_4arch9wavefront6targetE1EEEvSP_,@function
_ZN7rocprim17ROCPRIM_400000_NS6detail17trampoline_kernelINS0_14default_configENS1_32segmented_reduce_config_selectorIfEEZNS1_21segmented_reduce_implIS3_PKfPfPKifN6hipcub16HIPCUB_304000_NS6detail27convert_result_type_wrapperIS8_S9_N2at6native12_GLOBAL__N_19CustomSumEEEEE10hipError_tPvRmT0_T1_jT2_SQ_T4_T3_P12ihipStream_tbEUlT_E_NS1_11comp_targetILNS1_3genE0ELNS1_11target_archE4294967295ELNS1_3gpuE0ELNS1_3repE0EEENS1_30default_config_static_selectorELNS0_4arch9wavefront6targetE1EEEvSP_: ; @_ZN7rocprim17ROCPRIM_400000_NS6detail17trampoline_kernelINS0_14default_configENS1_32segmented_reduce_config_selectorIfEEZNS1_21segmented_reduce_implIS3_PKfPfPKifN6hipcub16HIPCUB_304000_NS6detail27convert_result_type_wrapperIS8_S9_N2at6native12_GLOBAL__N_19CustomSumEEEEE10hipError_tPvRmT0_T1_jT2_SQ_T4_T3_P12ihipStream_tbEUlT_E_NS1_11comp_targetILNS1_3genE0ELNS1_11target_archE4294967295ELNS1_3gpuE0ELNS1_3repE0EEENS1_30default_config_static_selectorELNS0_4arch9wavefront6targetE1EEEvSP_
; %bb.0:
	.section	.rodata,"a",@progbits
	.p2align	6, 0x0
	.amdhsa_kernel _ZN7rocprim17ROCPRIM_400000_NS6detail17trampoline_kernelINS0_14default_configENS1_32segmented_reduce_config_selectorIfEEZNS1_21segmented_reduce_implIS3_PKfPfPKifN6hipcub16HIPCUB_304000_NS6detail27convert_result_type_wrapperIS8_S9_N2at6native12_GLOBAL__N_19CustomSumEEEEE10hipError_tPvRmT0_T1_jT2_SQ_T4_T3_P12ihipStream_tbEUlT_E_NS1_11comp_targetILNS1_3genE0ELNS1_11target_archE4294967295ELNS1_3gpuE0ELNS1_3repE0EEENS1_30default_config_static_selectorELNS0_4arch9wavefront6targetE1EEEvSP_
		.amdhsa_group_segment_fixed_size 0
		.amdhsa_private_segment_fixed_size 0
		.amdhsa_kernarg_size 48
		.amdhsa_user_sgpr_count 6
		.amdhsa_user_sgpr_private_segment_buffer 1
		.amdhsa_user_sgpr_dispatch_ptr 0
		.amdhsa_user_sgpr_queue_ptr 0
		.amdhsa_user_sgpr_kernarg_segment_ptr 1
		.amdhsa_user_sgpr_dispatch_id 0
		.amdhsa_user_sgpr_flat_scratch_init 0
		.amdhsa_user_sgpr_private_segment_size 0
		.amdhsa_uses_dynamic_stack 0
		.amdhsa_system_sgpr_private_segment_wavefront_offset 0
		.amdhsa_system_sgpr_workgroup_id_x 1
		.amdhsa_system_sgpr_workgroup_id_y 0
		.amdhsa_system_sgpr_workgroup_id_z 0
		.amdhsa_system_sgpr_workgroup_info 0
		.amdhsa_system_vgpr_workitem_id 0
		.amdhsa_next_free_vgpr 1
		.amdhsa_next_free_sgpr 0
		.amdhsa_reserve_vcc 0
		.amdhsa_reserve_flat_scratch 0
		.amdhsa_float_round_mode_32 0
		.amdhsa_float_round_mode_16_64 0
		.amdhsa_float_denorm_mode_32 3
		.amdhsa_float_denorm_mode_16_64 3
		.amdhsa_dx10_clamp 1
		.amdhsa_ieee_mode 1
		.amdhsa_fp16_overflow 0
		.amdhsa_exception_fp_ieee_invalid_op 0
		.amdhsa_exception_fp_denorm_src 0
		.amdhsa_exception_fp_ieee_div_zero 0
		.amdhsa_exception_fp_ieee_overflow 0
		.amdhsa_exception_fp_ieee_underflow 0
		.amdhsa_exception_fp_ieee_inexact 0
		.amdhsa_exception_int_div_zero 0
	.end_amdhsa_kernel
	.section	.text._ZN7rocprim17ROCPRIM_400000_NS6detail17trampoline_kernelINS0_14default_configENS1_32segmented_reduce_config_selectorIfEEZNS1_21segmented_reduce_implIS3_PKfPfPKifN6hipcub16HIPCUB_304000_NS6detail27convert_result_type_wrapperIS8_S9_N2at6native12_GLOBAL__N_19CustomSumEEEEE10hipError_tPvRmT0_T1_jT2_SQ_T4_T3_P12ihipStream_tbEUlT_E_NS1_11comp_targetILNS1_3genE0ELNS1_11target_archE4294967295ELNS1_3gpuE0ELNS1_3repE0EEENS1_30default_config_static_selectorELNS0_4arch9wavefront6targetE1EEEvSP_,"axG",@progbits,_ZN7rocprim17ROCPRIM_400000_NS6detail17trampoline_kernelINS0_14default_configENS1_32segmented_reduce_config_selectorIfEEZNS1_21segmented_reduce_implIS3_PKfPfPKifN6hipcub16HIPCUB_304000_NS6detail27convert_result_type_wrapperIS8_S9_N2at6native12_GLOBAL__N_19CustomSumEEEEE10hipError_tPvRmT0_T1_jT2_SQ_T4_T3_P12ihipStream_tbEUlT_E_NS1_11comp_targetILNS1_3genE0ELNS1_11target_archE4294967295ELNS1_3gpuE0ELNS1_3repE0EEENS1_30default_config_static_selectorELNS0_4arch9wavefront6targetE1EEEvSP_,comdat
.Lfunc_end51:
	.size	_ZN7rocprim17ROCPRIM_400000_NS6detail17trampoline_kernelINS0_14default_configENS1_32segmented_reduce_config_selectorIfEEZNS1_21segmented_reduce_implIS3_PKfPfPKifN6hipcub16HIPCUB_304000_NS6detail27convert_result_type_wrapperIS8_S9_N2at6native12_GLOBAL__N_19CustomSumEEEEE10hipError_tPvRmT0_T1_jT2_SQ_T4_T3_P12ihipStream_tbEUlT_E_NS1_11comp_targetILNS1_3genE0ELNS1_11target_archE4294967295ELNS1_3gpuE0ELNS1_3repE0EEENS1_30default_config_static_selectorELNS0_4arch9wavefront6targetE1EEEvSP_, .Lfunc_end51-_ZN7rocprim17ROCPRIM_400000_NS6detail17trampoline_kernelINS0_14default_configENS1_32segmented_reduce_config_selectorIfEEZNS1_21segmented_reduce_implIS3_PKfPfPKifN6hipcub16HIPCUB_304000_NS6detail27convert_result_type_wrapperIS8_S9_N2at6native12_GLOBAL__N_19CustomSumEEEEE10hipError_tPvRmT0_T1_jT2_SQ_T4_T3_P12ihipStream_tbEUlT_E_NS1_11comp_targetILNS1_3genE0ELNS1_11target_archE4294967295ELNS1_3gpuE0ELNS1_3repE0EEENS1_30default_config_static_selectorELNS0_4arch9wavefront6targetE1EEEvSP_
                                        ; -- End function
	.set _ZN7rocprim17ROCPRIM_400000_NS6detail17trampoline_kernelINS0_14default_configENS1_32segmented_reduce_config_selectorIfEEZNS1_21segmented_reduce_implIS3_PKfPfPKifN6hipcub16HIPCUB_304000_NS6detail27convert_result_type_wrapperIS8_S9_N2at6native12_GLOBAL__N_19CustomSumEEEEE10hipError_tPvRmT0_T1_jT2_SQ_T4_T3_P12ihipStream_tbEUlT_E_NS1_11comp_targetILNS1_3genE0ELNS1_11target_archE4294967295ELNS1_3gpuE0ELNS1_3repE0EEENS1_30default_config_static_selectorELNS0_4arch9wavefront6targetE1EEEvSP_.num_vgpr, 0
	.set _ZN7rocprim17ROCPRIM_400000_NS6detail17trampoline_kernelINS0_14default_configENS1_32segmented_reduce_config_selectorIfEEZNS1_21segmented_reduce_implIS3_PKfPfPKifN6hipcub16HIPCUB_304000_NS6detail27convert_result_type_wrapperIS8_S9_N2at6native12_GLOBAL__N_19CustomSumEEEEE10hipError_tPvRmT0_T1_jT2_SQ_T4_T3_P12ihipStream_tbEUlT_E_NS1_11comp_targetILNS1_3genE0ELNS1_11target_archE4294967295ELNS1_3gpuE0ELNS1_3repE0EEENS1_30default_config_static_selectorELNS0_4arch9wavefront6targetE1EEEvSP_.num_agpr, 0
	.set _ZN7rocprim17ROCPRIM_400000_NS6detail17trampoline_kernelINS0_14default_configENS1_32segmented_reduce_config_selectorIfEEZNS1_21segmented_reduce_implIS3_PKfPfPKifN6hipcub16HIPCUB_304000_NS6detail27convert_result_type_wrapperIS8_S9_N2at6native12_GLOBAL__N_19CustomSumEEEEE10hipError_tPvRmT0_T1_jT2_SQ_T4_T3_P12ihipStream_tbEUlT_E_NS1_11comp_targetILNS1_3genE0ELNS1_11target_archE4294967295ELNS1_3gpuE0ELNS1_3repE0EEENS1_30default_config_static_selectorELNS0_4arch9wavefront6targetE1EEEvSP_.numbered_sgpr, 0
	.set _ZN7rocprim17ROCPRIM_400000_NS6detail17trampoline_kernelINS0_14default_configENS1_32segmented_reduce_config_selectorIfEEZNS1_21segmented_reduce_implIS3_PKfPfPKifN6hipcub16HIPCUB_304000_NS6detail27convert_result_type_wrapperIS8_S9_N2at6native12_GLOBAL__N_19CustomSumEEEEE10hipError_tPvRmT0_T1_jT2_SQ_T4_T3_P12ihipStream_tbEUlT_E_NS1_11comp_targetILNS1_3genE0ELNS1_11target_archE4294967295ELNS1_3gpuE0ELNS1_3repE0EEENS1_30default_config_static_selectorELNS0_4arch9wavefront6targetE1EEEvSP_.num_named_barrier, 0
	.set _ZN7rocprim17ROCPRIM_400000_NS6detail17trampoline_kernelINS0_14default_configENS1_32segmented_reduce_config_selectorIfEEZNS1_21segmented_reduce_implIS3_PKfPfPKifN6hipcub16HIPCUB_304000_NS6detail27convert_result_type_wrapperIS8_S9_N2at6native12_GLOBAL__N_19CustomSumEEEEE10hipError_tPvRmT0_T1_jT2_SQ_T4_T3_P12ihipStream_tbEUlT_E_NS1_11comp_targetILNS1_3genE0ELNS1_11target_archE4294967295ELNS1_3gpuE0ELNS1_3repE0EEENS1_30default_config_static_selectorELNS0_4arch9wavefront6targetE1EEEvSP_.private_seg_size, 0
	.set _ZN7rocprim17ROCPRIM_400000_NS6detail17trampoline_kernelINS0_14default_configENS1_32segmented_reduce_config_selectorIfEEZNS1_21segmented_reduce_implIS3_PKfPfPKifN6hipcub16HIPCUB_304000_NS6detail27convert_result_type_wrapperIS8_S9_N2at6native12_GLOBAL__N_19CustomSumEEEEE10hipError_tPvRmT0_T1_jT2_SQ_T4_T3_P12ihipStream_tbEUlT_E_NS1_11comp_targetILNS1_3genE0ELNS1_11target_archE4294967295ELNS1_3gpuE0ELNS1_3repE0EEENS1_30default_config_static_selectorELNS0_4arch9wavefront6targetE1EEEvSP_.uses_vcc, 0
	.set _ZN7rocprim17ROCPRIM_400000_NS6detail17trampoline_kernelINS0_14default_configENS1_32segmented_reduce_config_selectorIfEEZNS1_21segmented_reduce_implIS3_PKfPfPKifN6hipcub16HIPCUB_304000_NS6detail27convert_result_type_wrapperIS8_S9_N2at6native12_GLOBAL__N_19CustomSumEEEEE10hipError_tPvRmT0_T1_jT2_SQ_T4_T3_P12ihipStream_tbEUlT_E_NS1_11comp_targetILNS1_3genE0ELNS1_11target_archE4294967295ELNS1_3gpuE0ELNS1_3repE0EEENS1_30default_config_static_selectorELNS0_4arch9wavefront6targetE1EEEvSP_.uses_flat_scratch, 0
	.set _ZN7rocprim17ROCPRIM_400000_NS6detail17trampoline_kernelINS0_14default_configENS1_32segmented_reduce_config_selectorIfEEZNS1_21segmented_reduce_implIS3_PKfPfPKifN6hipcub16HIPCUB_304000_NS6detail27convert_result_type_wrapperIS8_S9_N2at6native12_GLOBAL__N_19CustomSumEEEEE10hipError_tPvRmT0_T1_jT2_SQ_T4_T3_P12ihipStream_tbEUlT_E_NS1_11comp_targetILNS1_3genE0ELNS1_11target_archE4294967295ELNS1_3gpuE0ELNS1_3repE0EEENS1_30default_config_static_selectorELNS0_4arch9wavefront6targetE1EEEvSP_.has_dyn_sized_stack, 0
	.set _ZN7rocprim17ROCPRIM_400000_NS6detail17trampoline_kernelINS0_14default_configENS1_32segmented_reduce_config_selectorIfEEZNS1_21segmented_reduce_implIS3_PKfPfPKifN6hipcub16HIPCUB_304000_NS6detail27convert_result_type_wrapperIS8_S9_N2at6native12_GLOBAL__N_19CustomSumEEEEE10hipError_tPvRmT0_T1_jT2_SQ_T4_T3_P12ihipStream_tbEUlT_E_NS1_11comp_targetILNS1_3genE0ELNS1_11target_archE4294967295ELNS1_3gpuE0ELNS1_3repE0EEENS1_30default_config_static_selectorELNS0_4arch9wavefront6targetE1EEEvSP_.has_recursion, 0
	.set _ZN7rocprim17ROCPRIM_400000_NS6detail17trampoline_kernelINS0_14default_configENS1_32segmented_reduce_config_selectorIfEEZNS1_21segmented_reduce_implIS3_PKfPfPKifN6hipcub16HIPCUB_304000_NS6detail27convert_result_type_wrapperIS8_S9_N2at6native12_GLOBAL__N_19CustomSumEEEEE10hipError_tPvRmT0_T1_jT2_SQ_T4_T3_P12ihipStream_tbEUlT_E_NS1_11comp_targetILNS1_3genE0ELNS1_11target_archE4294967295ELNS1_3gpuE0ELNS1_3repE0EEENS1_30default_config_static_selectorELNS0_4arch9wavefront6targetE1EEEvSP_.has_indirect_call, 0
	.section	.AMDGPU.csdata,"",@progbits
; Kernel info:
; codeLenInByte = 0
; TotalNumSgprs: 4
; NumVgprs: 0
; ScratchSize: 0
; MemoryBound: 0
; FloatMode: 240
; IeeeMode: 1
; LDSByteSize: 0 bytes/workgroup (compile time only)
; SGPRBlocks: 0
; VGPRBlocks: 0
; NumSGPRsForWavesPerEU: 4
; NumVGPRsForWavesPerEU: 1
; Occupancy: 10
; WaveLimiterHint : 0
; COMPUTE_PGM_RSRC2:SCRATCH_EN: 0
; COMPUTE_PGM_RSRC2:USER_SGPR: 6
; COMPUTE_PGM_RSRC2:TRAP_HANDLER: 0
; COMPUTE_PGM_RSRC2:TGID_X_EN: 1
; COMPUTE_PGM_RSRC2:TGID_Y_EN: 0
; COMPUTE_PGM_RSRC2:TGID_Z_EN: 0
; COMPUTE_PGM_RSRC2:TIDIG_COMP_CNT: 0
	.section	.text._ZN7rocprim17ROCPRIM_400000_NS6detail17trampoline_kernelINS0_14default_configENS1_32segmented_reduce_config_selectorIfEEZNS1_21segmented_reduce_implIS3_PKfPfPKifN6hipcub16HIPCUB_304000_NS6detail27convert_result_type_wrapperIS8_S9_N2at6native12_GLOBAL__N_19CustomSumEEEEE10hipError_tPvRmT0_T1_jT2_SQ_T4_T3_P12ihipStream_tbEUlT_E_NS1_11comp_targetILNS1_3genE5ELNS1_11target_archE942ELNS1_3gpuE9ELNS1_3repE0EEENS1_30default_config_static_selectorELNS0_4arch9wavefront6targetE1EEEvSP_,"axG",@progbits,_ZN7rocprim17ROCPRIM_400000_NS6detail17trampoline_kernelINS0_14default_configENS1_32segmented_reduce_config_selectorIfEEZNS1_21segmented_reduce_implIS3_PKfPfPKifN6hipcub16HIPCUB_304000_NS6detail27convert_result_type_wrapperIS8_S9_N2at6native12_GLOBAL__N_19CustomSumEEEEE10hipError_tPvRmT0_T1_jT2_SQ_T4_T3_P12ihipStream_tbEUlT_E_NS1_11comp_targetILNS1_3genE5ELNS1_11target_archE942ELNS1_3gpuE9ELNS1_3repE0EEENS1_30default_config_static_selectorELNS0_4arch9wavefront6targetE1EEEvSP_,comdat
	.globl	_ZN7rocprim17ROCPRIM_400000_NS6detail17trampoline_kernelINS0_14default_configENS1_32segmented_reduce_config_selectorIfEEZNS1_21segmented_reduce_implIS3_PKfPfPKifN6hipcub16HIPCUB_304000_NS6detail27convert_result_type_wrapperIS8_S9_N2at6native12_GLOBAL__N_19CustomSumEEEEE10hipError_tPvRmT0_T1_jT2_SQ_T4_T3_P12ihipStream_tbEUlT_E_NS1_11comp_targetILNS1_3genE5ELNS1_11target_archE942ELNS1_3gpuE9ELNS1_3repE0EEENS1_30default_config_static_selectorELNS0_4arch9wavefront6targetE1EEEvSP_ ; -- Begin function _ZN7rocprim17ROCPRIM_400000_NS6detail17trampoline_kernelINS0_14default_configENS1_32segmented_reduce_config_selectorIfEEZNS1_21segmented_reduce_implIS3_PKfPfPKifN6hipcub16HIPCUB_304000_NS6detail27convert_result_type_wrapperIS8_S9_N2at6native12_GLOBAL__N_19CustomSumEEEEE10hipError_tPvRmT0_T1_jT2_SQ_T4_T3_P12ihipStream_tbEUlT_E_NS1_11comp_targetILNS1_3genE5ELNS1_11target_archE942ELNS1_3gpuE9ELNS1_3repE0EEENS1_30default_config_static_selectorELNS0_4arch9wavefront6targetE1EEEvSP_
	.p2align	8
	.type	_ZN7rocprim17ROCPRIM_400000_NS6detail17trampoline_kernelINS0_14default_configENS1_32segmented_reduce_config_selectorIfEEZNS1_21segmented_reduce_implIS3_PKfPfPKifN6hipcub16HIPCUB_304000_NS6detail27convert_result_type_wrapperIS8_S9_N2at6native12_GLOBAL__N_19CustomSumEEEEE10hipError_tPvRmT0_T1_jT2_SQ_T4_T3_P12ihipStream_tbEUlT_E_NS1_11comp_targetILNS1_3genE5ELNS1_11target_archE942ELNS1_3gpuE9ELNS1_3repE0EEENS1_30default_config_static_selectorELNS0_4arch9wavefront6targetE1EEEvSP_,@function
_ZN7rocprim17ROCPRIM_400000_NS6detail17trampoline_kernelINS0_14default_configENS1_32segmented_reduce_config_selectorIfEEZNS1_21segmented_reduce_implIS3_PKfPfPKifN6hipcub16HIPCUB_304000_NS6detail27convert_result_type_wrapperIS8_S9_N2at6native12_GLOBAL__N_19CustomSumEEEEE10hipError_tPvRmT0_T1_jT2_SQ_T4_T3_P12ihipStream_tbEUlT_E_NS1_11comp_targetILNS1_3genE5ELNS1_11target_archE942ELNS1_3gpuE9ELNS1_3repE0EEENS1_30default_config_static_selectorELNS0_4arch9wavefront6targetE1EEEvSP_: ; @_ZN7rocprim17ROCPRIM_400000_NS6detail17trampoline_kernelINS0_14default_configENS1_32segmented_reduce_config_selectorIfEEZNS1_21segmented_reduce_implIS3_PKfPfPKifN6hipcub16HIPCUB_304000_NS6detail27convert_result_type_wrapperIS8_S9_N2at6native12_GLOBAL__N_19CustomSumEEEEE10hipError_tPvRmT0_T1_jT2_SQ_T4_T3_P12ihipStream_tbEUlT_E_NS1_11comp_targetILNS1_3genE5ELNS1_11target_archE942ELNS1_3gpuE9ELNS1_3repE0EEENS1_30default_config_static_selectorELNS0_4arch9wavefront6targetE1EEEvSP_
; %bb.0:
	.section	.rodata,"a",@progbits
	.p2align	6, 0x0
	.amdhsa_kernel _ZN7rocprim17ROCPRIM_400000_NS6detail17trampoline_kernelINS0_14default_configENS1_32segmented_reduce_config_selectorIfEEZNS1_21segmented_reduce_implIS3_PKfPfPKifN6hipcub16HIPCUB_304000_NS6detail27convert_result_type_wrapperIS8_S9_N2at6native12_GLOBAL__N_19CustomSumEEEEE10hipError_tPvRmT0_T1_jT2_SQ_T4_T3_P12ihipStream_tbEUlT_E_NS1_11comp_targetILNS1_3genE5ELNS1_11target_archE942ELNS1_3gpuE9ELNS1_3repE0EEENS1_30default_config_static_selectorELNS0_4arch9wavefront6targetE1EEEvSP_
		.amdhsa_group_segment_fixed_size 0
		.amdhsa_private_segment_fixed_size 0
		.amdhsa_kernarg_size 48
		.amdhsa_user_sgpr_count 6
		.amdhsa_user_sgpr_private_segment_buffer 1
		.amdhsa_user_sgpr_dispatch_ptr 0
		.amdhsa_user_sgpr_queue_ptr 0
		.amdhsa_user_sgpr_kernarg_segment_ptr 1
		.amdhsa_user_sgpr_dispatch_id 0
		.amdhsa_user_sgpr_flat_scratch_init 0
		.amdhsa_user_sgpr_private_segment_size 0
		.amdhsa_uses_dynamic_stack 0
		.amdhsa_system_sgpr_private_segment_wavefront_offset 0
		.amdhsa_system_sgpr_workgroup_id_x 1
		.amdhsa_system_sgpr_workgroup_id_y 0
		.amdhsa_system_sgpr_workgroup_id_z 0
		.amdhsa_system_sgpr_workgroup_info 0
		.amdhsa_system_vgpr_workitem_id 0
		.amdhsa_next_free_vgpr 1
		.amdhsa_next_free_sgpr 0
		.amdhsa_reserve_vcc 0
		.amdhsa_reserve_flat_scratch 0
		.amdhsa_float_round_mode_32 0
		.amdhsa_float_round_mode_16_64 0
		.amdhsa_float_denorm_mode_32 3
		.amdhsa_float_denorm_mode_16_64 3
		.amdhsa_dx10_clamp 1
		.amdhsa_ieee_mode 1
		.amdhsa_fp16_overflow 0
		.amdhsa_exception_fp_ieee_invalid_op 0
		.amdhsa_exception_fp_denorm_src 0
		.amdhsa_exception_fp_ieee_div_zero 0
		.amdhsa_exception_fp_ieee_overflow 0
		.amdhsa_exception_fp_ieee_underflow 0
		.amdhsa_exception_fp_ieee_inexact 0
		.amdhsa_exception_int_div_zero 0
	.end_amdhsa_kernel
	.section	.text._ZN7rocprim17ROCPRIM_400000_NS6detail17trampoline_kernelINS0_14default_configENS1_32segmented_reduce_config_selectorIfEEZNS1_21segmented_reduce_implIS3_PKfPfPKifN6hipcub16HIPCUB_304000_NS6detail27convert_result_type_wrapperIS8_S9_N2at6native12_GLOBAL__N_19CustomSumEEEEE10hipError_tPvRmT0_T1_jT2_SQ_T4_T3_P12ihipStream_tbEUlT_E_NS1_11comp_targetILNS1_3genE5ELNS1_11target_archE942ELNS1_3gpuE9ELNS1_3repE0EEENS1_30default_config_static_selectorELNS0_4arch9wavefront6targetE1EEEvSP_,"axG",@progbits,_ZN7rocprim17ROCPRIM_400000_NS6detail17trampoline_kernelINS0_14default_configENS1_32segmented_reduce_config_selectorIfEEZNS1_21segmented_reduce_implIS3_PKfPfPKifN6hipcub16HIPCUB_304000_NS6detail27convert_result_type_wrapperIS8_S9_N2at6native12_GLOBAL__N_19CustomSumEEEEE10hipError_tPvRmT0_T1_jT2_SQ_T4_T3_P12ihipStream_tbEUlT_E_NS1_11comp_targetILNS1_3genE5ELNS1_11target_archE942ELNS1_3gpuE9ELNS1_3repE0EEENS1_30default_config_static_selectorELNS0_4arch9wavefront6targetE1EEEvSP_,comdat
.Lfunc_end52:
	.size	_ZN7rocprim17ROCPRIM_400000_NS6detail17trampoline_kernelINS0_14default_configENS1_32segmented_reduce_config_selectorIfEEZNS1_21segmented_reduce_implIS3_PKfPfPKifN6hipcub16HIPCUB_304000_NS6detail27convert_result_type_wrapperIS8_S9_N2at6native12_GLOBAL__N_19CustomSumEEEEE10hipError_tPvRmT0_T1_jT2_SQ_T4_T3_P12ihipStream_tbEUlT_E_NS1_11comp_targetILNS1_3genE5ELNS1_11target_archE942ELNS1_3gpuE9ELNS1_3repE0EEENS1_30default_config_static_selectorELNS0_4arch9wavefront6targetE1EEEvSP_, .Lfunc_end52-_ZN7rocprim17ROCPRIM_400000_NS6detail17trampoline_kernelINS0_14default_configENS1_32segmented_reduce_config_selectorIfEEZNS1_21segmented_reduce_implIS3_PKfPfPKifN6hipcub16HIPCUB_304000_NS6detail27convert_result_type_wrapperIS8_S9_N2at6native12_GLOBAL__N_19CustomSumEEEEE10hipError_tPvRmT0_T1_jT2_SQ_T4_T3_P12ihipStream_tbEUlT_E_NS1_11comp_targetILNS1_3genE5ELNS1_11target_archE942ELNS1_3gpuE9ELNS1_3repE0EEENS1_30default_config_static_selectorELNS0_4arch9wavefront6targetE1EEEvSP_
                                        ; -- End function
	.set _ZN7rocprim17ROCPRIM_400000_NS6detail17trampoline_kernelINS0_14default_configENS1_32segmented_reduce_config_selectorIfEEZNS1_21segmented_reduce_implIS3_PKfPfPKifN6hipcub16HIPCUB_304000_NS6detail27convert_result_type_wrapperIS8_S9_N2at6native12_GLOBAL__N_19CustomSumEEEEE10hipError_tPvRmT0_T1_jT2_SQ_T4_T3_P12ihipStream_tbEUlT_E_NS1_11comp_targetILNS1_3genE5ELNS1_11target_archE942ELNS1_3gpuE9ELNS1_3repE0EEENS1_30default_config_static_selectorELNS0_4arch9wavefront6targetE1EEEvSP_.num_vgpr, 0
	.set _ZN7rocprim17ROCPRIM_400000_NS6detail17trampoline_kernelINS0_14default_configENS1_32segmented_reduce_config_selectorIfEEZNS1_21segmented_reduce_implIS3_PKfPfPKifN6hipcub16HIPCUB_304000_NS6detail27convert_result_type_wrapperIS8_S9_N2at6native12_GLOBAL__N_19CustomSumEEEEE10hipError_tPvRmT0_T1_jT2_SQ_T4_T3_P12ihipStream_tbEUlT_E_NS1_11comp_targetILNS1_3genE5ELNS1_11target_archE942ELNS1_3gpuE9ELNS1_3repE0EEENS1_30default_config_static_selectorELNS0_4arch9wavefront6targetE1EEEvSP_.num_agpr, 0
	.set _ZN7rocprim17ROCPRIM_400000_NS6detail17trampoline_kernelINS0_14default_configENS1_32segmented_reduce_config_selectorIfEEZNS1_21segmented_reduce_implIS3_PKfPfPKifN6hipcub16HIPCUB_304000_NS6detail27convert_result_type_wrapperIS8_S9_N2at6native12_GLOBAL__N_19CustomSumEEEEE10hipError_tPvRmT0_T1_jT2_SQ_T4_T3_P12ihipStream_tbEUlT_E_NS1_11comp_targetILNS1_3genE5ELNS1_11target_archE942ELNS1_3gpuE9ELNS1_3repE0EEENS1_30default_config_static_selectorELNS0_4arch9wavefront6targetE1EEEvSP_.numbered_sgpr, 0
	.set _ZN7rocprim17ROCPRIM_400000_NS6detail17trampoline_kernelINS0_14default_configENS1_32segmented_reduce_config_selectorIfEEZNS1_21segmented_reduce_implIS3_PKfPfPKifN6hipcub16HIPCUB_304000_NS6detail27convert_result_type_wrapperIS8_S9_N2at6native12_GLOBAL__N_19CustomSumEEEEE10hipError_tPvRmT0_T1_jT2_SQ_T4_T3_P12ihipStream_tbEUlT_E_NS1_11comp_targetILNS1_3genE5ELNS1_11target_archE942ELNS1_3gpuE9ELNS1_3repE0EEENS1_30default_config_static_selectorELNS0_4arch9wavefront6targetE1EEEvSP_.num_named_barrier, 0
	.set _ZN7rocprim17ROCPRIM_400000_NS6detail17trampoline_kernelINS0_14default_configENS1_32segmented_reduce_config_selectorIfEEZNS1_21segmented_reduce_implIS3_PKfPfPKifN6hipcub16HIPCUB_304000_NS6detail27convert_result_type_wrapperIS8_S9_N2at6native12_GLOBAL__N_19CustomSumEEEEE10hipError_tPvRmT0_T1_jT2_SQ_T4_T3_P12ihipStream_tbEUlT_E_NS1_11comp_targetILNS1_3genE5ELNS1_11target_archE942ELNS1_3gpuE9ELNS1_3repE0EEENS1_30default_config_static_selectorELNS0_4arch9wavefront6targetE1EEEvSP_.private_seg_size, 0
	.set _ZN7rocprim17ROCPRIM_400000_NS6detail17trampoline_kernelINS0_14default_configENS1_32segmented_reduce_config_selectorIfEEZNS1_21segmented_reduce_implIS3_PKfPfPKifN6hipcub16HIPCUB_304000_NS6detail27convert_result_type_wrapperIS8_S9_N2at6native12_GLOBAL__N_19CustomSumEEEEE10hipError_tPvRmT0_T1_jT2_SQ_T4_T3_P12ihipStream_tbEUlT_E_NS1_11comp_targetILNS1_3genE5ELNS1_11target_archE942ELNS1_3gpuE9ELNS1_3repE0EEENS1_30default_config_static_selectorELNS0_4arch9wavefront6targetE1EEEvSP_.uses_vcc, 0
	.set _ZN7rocprim17ROCPRIM_400000_NS6detail17trampoline_kernelINS0_14default_configENS1_32segmented_reduce_config_selectorIfEEZNS1_21segmented_reduce_implIS3_PKfPfPKifN6hipcub16HIPCUB_304000_NS6detail27convert_result_type_wrapperIS8_S9_N2at6native12_GLOBAL__N_19CustomSumEEEEE10hipError_tPvRmT0_T1_jT2_SQ_T4_T3_P12ihipStream_tbEUlT_E_NS1_11comp_targetILNS1_3genE5ELNS1_11target_archE942ELNS1_3gpuE9ELNS1_3repE0EEENS1_30default_config_static_selectorELNS0_4arch9wavefront6targetE1EEEvSP_.uses_flat_scratch, 0
	.set _ZN7rocprim17ROCPRIM_400000_NS6detail17trampoline_kernelINS0_14default_configENS1_32segmented_reduce_config_selectorIfEEZNS1_21segmented_reduce_implIS3_PKfPfPKifN6hipcub16HIPCUB_304000_NS6detail27convert_result_type_wrapperIS8_S9_N2at6native12_GLOBAL__N_19CustomSumEEEEE10hipError_tPvRmT0_T1_jT2_SQ_T4_T3_P12ihipStream_tbEUlT_E_NS1_11comp_targetILNS1_3genE5ELNS1_11target_archE942ELNS1_3gpuE9ELNS1_3repE0EEENS1_30default_config_static_selectorELNS0_4arch9wavefront6targetE1EEEvSP_.has_dyn_sized_stack, 0
	.set _ZN7rocprim17ROCPRIM_400000_NS6detail17trampoline_kernelINS0_14default_configENS1_32segmented_reduce_config_selectorIfEEZNS1_21segmented_reduce_implIS3_PKfPfPKifN6hipcub16HIPCUB_304000_NS6detail27convert_result_type_wrapperIS8_S9_N2at6native12_GLOBAL__N_19CustomSumEEEEE10hipError_tPvRmT0_T1_jT2_SQ_T4_T3_P12ihipStream_tbEUlT_E_NS1_11comp_targetILNS1_3genE5ELNS1_11target_archE942ELNS1_3gpuE9ELNS1_3repE0EEENS1_30default_config_static_selectorELNS0_4arch9wavefront6targetE1EEEvSP_.has_recursion, 0
	.set _ZN7rocprim17ROCPRIM_400000_NS6detail17trampoline_kernelINS0_14default_configENS1_32segmented_reduce_config_selectorIfEEZNS1_21segmented_reduce_implIS3_PKfPfPKifN6hipcub16HIPCUB_304000_NS6detail27convert_result_type_wrapperIS8_S9_N2at6native12_GLOBAL__N_19CustomSumEEEEE10hipError_tPvRmT0_T1_jT2_SQ_T4_T3_P12ihipStream_tbEUlT_E_NS1_11comp_targetILNS1_3genE5ELNS1_11target_archE942ELNS1_3gpuE9ELNS1_3repE0EEENS1_30default_config_static_selectorELNS0_4arch9wavefront6targetE1EEEvSP_.has_indirect_call, 0
	.section	.AMDGPU.csdata,"",@progbits
; Kernel info:
; codeLenInByte = 0
; TotalNumSgprs: 4
; NumVgprs: 0
; ScratchSize: 0
; MemoryBound: 0
; FloatMode: 240
; IeeeMode: 1
; LDSByteSize: 0 bytes/workgroup (compile time only)
; SGPRBlocks: 0
; VGPRBlocks: 0
; NumSGPRsForWavesPerEU: 4
; NumVGPRsForWavesPerEU: 1
; Occupancy: 10
; WaveLimiterHint : 0
; COMPUTE_PGM_RSRC2:SCRATCH_EN: 0
; COMPUTE_PGM_RSRC2:USER_SGPR: 6
; COMPUTE_PGM_RSRC2:TRAP_HANDLER: 0
; COMPUTE_PGM_RSRC2:TGID_X_EN: 1
; COMPUTE_PGM_RSRC2:TGID_Y_EN: 0
; COMPUTE_PGM_RSRC2:TGID_Z_EN: 0
; COMPUTE_PGM_RSRC2:TIDIG_COMP_CNT: 0
	.section	.text._ZN7rocprim17ROCPRIM_400000_NS6detail17trampoline_kernelINS0_14default_configENS1_32segmented_reduce_config_selectorIfEEZNS1_21segmented_reduce_implIS3_PKfPfPKifN6hipcub16HIPCUB_304000_NS6detail27convert_result_type_wrapperIS8_S9_N2at6native12_GLOBAL__N_19CustomSumEEEEE10hipError_tPvRmT0_T1_jT2_SQ_T4_T3_P12ihipStream_tbEUlT_E_NS1_11comp_targetILNS1_3genE10ELNS1_11target_archE1201ELNS1_3gpuE5ELNS1_3repE0EEENS1_30default_config_static_selectorELNS0_4arch9wavefront6targetE1EEEvSP_,"axG",@progbits,_ZN7rocprim17ROCPRIM_400000_NS6detail17trampoline_kernelINS0_14default_configENS1_32segmented_reduce_config_selectorIfEEZNS1_21segmented_reduce_implIS3_PKfPfPKifN6hipcub16HIPCUB_304000_NS6detail27convert_result_type_wrapperIS8_S9_N2at6native12_GLOBAL__N_19CustomSumEEEEE10hipError_tPvRmT0_T1_jT2_SQ_T4_T3_P12ihipStream_tbEUlT_E_NS1_11comp_targetILNS1_3genE10ELNS1_11target_archE1201ELNS1_3gpuE5ELNS1_3repE0EEENS1_30default_config_static_selectorELNS0_4arch9wavefront6targetE1EEEvSP_,comdat
	.globl	_ZN7rocprim17ROCPRIM_400000_NS6detail17trampoline_kernelINS0_14default_configENS1_32segmented_reduce_config_selectorIfEEZNS1_21segmented_reduce_implIS3_PKfPfPKifN6hipcub16HIPCUB_304000_NS6detail27convert_result_type_wrapperIS8_S9_N2at6native12_GLOBAL__N_19CustomSumEEEEE10hipError_tPvRmT0_T1_jT2_SQ_T4_T3_P12ihipStream_tbEUlT_E_NS1_11comp_targetILNS1_3genE10ELNS1_11target_archE1201ELNS1_3gpuE5ELNS1_3repE0EEENS1_30default_config_static_selectorELNS0_4arch9wavefront6targetE1EEEvSP_ ; -- Begin function _ZN7rocprim17ROCPRIM_400000_NS6detail17trampoline_kernelINS0_14default_configENS1_32segmented_reduce_config_selectorIfEEZNS1_21segmented_reduce_implIS3_PKfPfPKifN6hipcub16HIPCUB_304000_NS6detail27convert_result_type_wrapperIS8_S9_N2at6native12_GLOBAL__N_19CustomSumEEEEE10hipError_tPvRmT0_T1_jT2_SQ_T4_T3_P12ihipStream_tbEUlT_E_NS1_11comp_targetILNS1_3genE10ELNS1_11target_archE1201ELNS1_3gpuE5ELNS1_3repE0EEENS1_30default_config_static_selectorELNS0_4arch9wavefront6targetE1EEEvSP_
	.p2align	8
	.type	_ZN7rocprim17ROCPRIM_400000_NS6detail17trampoline_kernelINS0_14default_configENS1_32segmented_reduce_config_selectorIfEEZNS1_21segmented_reduce_implIS3_PKfPfPKifN6hipcub16HIPCUB_304000_NS6detail27convert_result_type_wrapperIS8_S9_N2at6native12_GLOBAL__N_19CustomSumEEEEE10hipError_tPvRmT0_T1_jT2_SQ_T4_T3_P12ihipStream_tbEUlT_E_NS1_11comp_targetILNS1_3genE10ELNS1_11target_archE1201ELNS1_3gpuE5ELNS1_3repE0EEENS1_30default_config_static_selectorELNS0_4arch9wavefront6targetE1EEEvSP_,@function
_ZN7rocprim17ROCPRIM_400000_NS6detail17trampoline_kernelINS0_14default_configENS1_32segmented_reduce_config_selectorIfEEZNS1_21segmented_reduce_implIS3_PKfPfPKifN6hipcub16HIPCUB_304000_NS6detail27convert_result_type_wrapperIS8_S9_N2at6native12_GLOBAL__N_19CustomSumEEEEE10hipError_tPvRmT0_T1_jT2_SQ_T4_T3_P12ihipStream_tbEUlT_E_NS1_11comp_targetILNS1_3genE10ELNS1_11target_archE1201ELNS1_3gpuE5ELNS1_3repE0EEENS1_30default_config_static_selectorELNS0_4arch9wavefront6targetE1EEEvSP_: ; @_ZN7rocprim17ROCPRIM_400000_NS6detail17trampoline_kernelINS0_14default_configENS1_32segmented_reduce_config_selectorIfEEZNS1_21segmented_reduce_implIS3_PKfPfPKifN6hipcub16HIPCUB_304000_NS6detail27convert_result_type_wrapperIS8_S9_N2at6native12_GLOBAL__N_19CustomSumEEEEE10hipError_tPvRmT0_T1_jT2_SQ_T4_T3_P12ihipStream_tbEUlT_E_NS1_11comp_targetILNS1_3genE10ELNS1_11target_archE1201ELNS1_3gpuE5ELNS1_3repE0EEENS1_30default_config_static_selectorELNS0_4arch9wavefront6targetE1EEEvSP_
; %bb.0:
	.section	.rodata,"a",@progbits
	.p2align	6, 0x0
	.amdhsa_kernel _ZN7rocprim17ROCPRIM_400000_NS6detail17trampoline_kernelINS0_14default_configENS1_32segmented_reduce_config_selectorIfEEZNS1_21segmented_reduce_implIS3_PKfPfPKifN6hipcub16HIPCUB_304000_NS6detail27convert_result_type_wrapperIS8_S9_N2at6native12_GLOBAL__N_19CustomSumEEEEE10hipError_tPvRmT0_T1_jT2_SQ_T4_T3_P12ihipStream_tbEUlT_E_NS1_11comp_targetILNS1_3genE10ELNS1_11target_archE1201ELNS1_3gpuE5ELNS1_3repE0EEENS1_30default_config_static_selectorELNS0_4arch9wavefront6targetE1EEEvSP_
		.amdhsa_group_segment_fixed_size 0
		.amdhsa_private_segment_fixed_size 0
		.amdhsa_kernarg_size 48
		.amdhsa_user_sgpr_count 6
		.amdhsa_user_sgpr_private_segment_buffer 1
		.amdhsa_user_sgpr_dispatch_ptr 0
		.amdhsa_user_sgpr_queue_ptr 0
		.amdhsa_user_sgpr_kernarg_segment_ptr 1
		.amdhsa_user_sgpr_dispatch_id 0
		.amdhsa_user_sgpr_flat_scratch_init 0
		.amdhsa_user_sgpr_private_segment_size 0
		.amdhsa_uses_dynamic_stack 0
		.amdhsa_system_sgpr_private_segment_wavefront_offset 0
		.amdhsa_system_sgpr_workgroup_id_x 1
		.amdhsa_system_sgpr_workgroup_id_y 0
		.amdhsa_system_sgpr_workgroup_id_z 0
		.amdhsa_system_sgpr_workgroup_info 0
		.amdhsa_system_vgpr_workitem_id 0
		.amdhsa_next_free_vgpr 1
		.amdhsa_next_free_sgpr 0
		.amdhsa_reserve_vcc 0
		.amdhsa_reserve_flat_scratch 0
		.amdhsa_float_round_mode_32 0
		.amdhsa_float_round_mode_16_64 0
		.amdhsa_float_denorm_mode_32 3
		.amdhsa_float_denorm_mode_16_64 3
		.amdhsa_dx10_clamp 1
		.amdhsa_ieee_mode 1
		.amdhsa_fp16_overflow 0
		.amdhsa_exception_fp_ieee_invalid_op 0
		.amdhsa_exception_fp_denorm_src 0
		.amdhsa_exception_fp_ieee_div_zero 0
		.amdhsa_exception_fp_ieee_overflow 0
		.amdhsa_exception_fp_ieee_underflow 0
		.amdhsa_exception_fp_ieee_inexact 0
		.amdhsa_exception_int_div_zero 0
	.end_amdhsa_kernel
	.section	.text._ZN7rocprim17ROCPRIM_400000_NS6detail17trampoline_kernelINS0_14default_configENS1_32segmented_reduce_config_selectorIfEEZNS1_21segmented_reduce_implIS3_PKfPfPKifN6hipcub16HIPCUB_304000_NS6detail27convert_result_type_wrapperIS8_S9_N2at6native12_GLOBAL__N_19CustomSumEEEEE10hipError_tPvRmT0_T1_jT2_SQ_T4_T3_P12ihipStream_tbEUlT_E_NS1_11comp_targetILNS1_3genE10ELNS1_11target_archE1201ELNS1_3gpuE5ELNS1_3repE0EEENS1_30default_config_static_selectorELNS0_4arch9wavefront6targetE1EEEvSP_,"axG",@progbits,_ZN7rocprim17ROCPRIM_400000_NS6detail17trampoline_kernelINS0_14default_configENS1_32segmented_reduce_config_selectorIfEEZNS1_21segmented_reduce_implIS3_PKfPfPKifN6hipcub16HIPCUB_304000_NS6detail27convert_result_type_wrapperIS8_S9_N2at6native12_GLOBAL__N_19CustomSumEEEEE10hipError_tPvRmT0_T1_jT2_SQ_T4_T3_P12ihipStream_tbEUlT_E_NS1_11comp_targetILNS1_3genE10ELNS1_11target_archE1201ELNS1_3gpuE5ELNS1_3repE0EEENS1_30default_config_static_selectorELNS0_4arch9wavefront6targetE1EEEvSP_,comdat
.Lfunc_end53:
	.size	_ZN7rocprim17ROCPRIM_400000_NS6detail17trampoline_kernelINS0_14default_configENS1_32segmented_reduce_config_selectorIfEEZNS1_21segmented_reduce_implIS3_PKfPfPKifN6hipcub16HIPCUB_304000_NS6detail27convert_result_type_wrapperIS8_S9_N2at6native12_GLOBAL__N_19CustomSumEEEEE10hipError_tPvRmT0_T1_jT2_SQ_T4_T3_P12ihipStream_tbEUlT_E_NS1_11comp_targetILNS1_3genE10ELNS1_11target_archE1201ELNS1_3gpuE5ELNS1_3repE0EEENS1_30default_config_static_selectorELNS0_4arch9wavefront6targetE1EEEvSP_, .Lfunc_end53-_ZN7rocprim17ROCPRIM_400000_NS6detail17trampoline_kernelINS0_14default_configENS1_32segmented_reduce_config_selectorIfEEZNS1_21segmented_reduce_implIS3_PKfPfPKifN6hipcub16HIPCUB_304000_NS6detail27convert_result_type_wrapperIS8_S9_N2at6native12_GLOBAL__N_19CustomSumEEEEE10hipError_tPvRmT0_T1_jT2_SQ_T4_T3_P12ihipStream_tbEUlT_E_NS1_11comp_targetILNS1_3genE10ELNS1_11target_archE1201ELNS1_3gpuE5ELNS1_3repE0EEENS1_30default_config_static_selectorELNS0_4arch9wavefront6targetE1EEEvSP_
                                        ; -- End function
	.set _ZN7rocprim17ROCPRIM_400000_NS6detail17trampoline_kernelINS0_14default_configENS1_32segmented_reduce_config_selectorIfEEZNS1_21segmented_reduce_implIS3_PKfPfPKifN6hipcub16HIPCUB_304000_NS6detail27convert_result_type_wrapperIS8_S9_N2at6native12_GLOBAL__N_19CustomSumEEEEE10hipError_tPvRmT0_T1_jT2_SQ_T4_T3_P12ihipStream_tbEUlT_E_NS1_11comp_targetILNS1_3genE10ELNS1_11target_archE1201ELNS1_3gpuE5ELNS1_3repE0EEENS1_30default_config_static_selectorELNS0_4arch9wavefront6targetE1EEEvSP_.num_vgpr, 0
	.set _ZN7rocprim17ROCPRIM_400000_NS6detail17trampoline_kernelINS0_14default_configENS1_32segmented_reduce_config_selectorIfEEZNS1_21segmented_reduce_implIS3_PKfPfPKifN6hipcub16HIPCUB_304000_NS6detail27convert_result_type_wrapperIS8_S9_N2at6native12_GLOBAL__N_19CustomSumEEEEE10hipError_tPvRmT0_T1_jT2_SQ_T4_T3_P12ihipStream_tbEUlT_E_NS1_11comp_targetILNS1_3genE10ELNS1_11target_archE1201ELNS1_3gpuE5ELNS1_3repE0EEENS1_30default_config_static_selectorELNS0_4arch9wavefront6targetE1EEEvSP_.num_agpr, 0
	.set _ZN7rocprim17ROCPRIM_400000_NS6detail17trampoline_kernelINS0_14default_configENS1_32segmented_reduce_config_selectorIfEEZNS1_21segmented_reduce_implIS3_PKfPfPKifN6hipcub16HIPCUB_304000_NS6detail27convert_result_type_wrapperIS8_S9_N2at6native12_GLOBAL__N_19CustomSumEEEEE10hipError_tPvRmT0_T1_jT2_SQ_T4_T3_P12ihipStream_tbEUlT_E_NS1_11comp_targetILNS1_3genE10ELNS1_11target_archE1201ELNS1_3gpuE5ELNS1_3repE0EEENS1_30default_config_static_selectorELNS0_4arch9wavefront6targetE1EEEvSP_.numbered_sgpr, 0
	.set _ZN7rocprim17ROCPRIM_400000_NS6detail17trampoline_kernelINS0_14default_configENS1_32segmented_reduce_config_selectorIfEEZNS1_21segmented_reduce_implIS3_PKfPfPKifN6hipcub16HIPCUB_304000_NS6detail27convert_result_type_wrapperIS8_S9_N2at6native12_GLOBAL__N_19CustomSumEEEEE10hipError_tPvRmT0_T1_jT2_SQ_T4_T3_P12ihipStream_tbEUlT_E_NS1_11comp_targetILNS1_3genE10ELNS1_11target_archE1201ELNS1_3gpuE5ELNS1_3repE0EEENS1_30default_config_static_selectorELNS0_4arch9wavefront6targetE1EEEvSP_.num_named_barrier, 0
	.set _ZN7rocprim17ROCPRIM_400000_NS6detail17trampoline_kernelINS0_14default_configENS1_32segmented_reduce_config_selectorIfEEZNS1_21segmented_reduce_implIS3_PKfPfPKifN6hipcub16HIPCUB_304000_NS6detail27convert_result_type_wrapperIS8_S9_N2at6native12_GLOBAL__N_19CustomSumEEEEE10hipError_tPvRmT0_T1_jT2_SQ_T4_T3_P12ihipStream_tbEUlT_E_NS1_11comp_targetILNS1_3genE10ELNS1_11target_archE1201ELNS1_3gpuE5ELNS1_3repE0EEENS1_30default_config_static_selectorELNS0_4arch9wavefront6targetE1EEEvSP_.private_seg_size, 0
	.set _ZN7rocprim17ROCPRIM_400000_NS6detail17trampoline_kernelINS0_14default_configENS1_32segmented_reduce_config_selectorIfEEZNS1_21segmented_reduce_implIS3_PKfPfPKifN6hipcub16HIPCUB_304000_NS6detail27convert_result_type_wrapperIS8_S9_N2at6native12_GLOBAL__N_19CustomSumEEEEE10hipError_tPvRmT0_T1_jT2_SQ_T4_T3_P12ihipStream_tbEUlT_E_NS1_11comp_targetILNS1_3genE10ELNS1_11target_archE1201ELNS1_3gpuE5ELNS1_3repE0EEENS1_30default_config_static_selectorELNS0_4arch9wavefront6targetE1EEEvSP_.uses_vcc, 0
	.set _ZN7rocprim17ROCPRIM_400000_NS6detail17trampoline_kernelINS0_14default_configENS1_32segmented_reduce_config_selectorIfEEZNS1_21segmented_reduce_implIS3_PKfPfPKifN6hipcub16HIPCUB_304000_NS6detail27convert_result_type_wrapperIS8_S9_N2at6native12_GLOBAL__N_19CustomSumEEEEE10hipError_tPvRmT0_T1_jT2_SQ_T4_T3_P12ihipStream_tbEUlT_E_NS1_11comp_targetILNS1_3genE10ELNS1_11target_archE1201ELNS1_3gpuE5ELNS1_3repE0EEENS1_30default_config_static_selectorELNS0_4arch9wavefront6targetE1EEEvSP_.uses_flat_scratch, 0
	.set _ZN7rocprim17ROCPRIM_400000_NS6detail17trampoline_kernelINS0_14default_configENS1_32segmented_reduce_config_selectorIfEEZNS1_21segmented_reduce_implIS3_PKfPfPKifN6hipcub16HIPCUB_304000_NS6detail27convert_result_type_wrapperIS8_S9_N2at6native12_GLOBAL__N_19CustomSumEEEEE10hipError_tPvRmT0_T1_jT2_SQ_T4_T3_P12ihipStream_tbEUlT_E_NS1_11comp_targetILNS1_3genE10ELNS1_11target_archE1201ELNS1_3gpuE5ELNS1_3repE0EEENS1_30default_config_static_selectorELNS0_4arch9wavefront6targetE1EEEvSP_.has_dyn_sized_stack, 0
	.set _ZN7rocprim17ROCPRIM_400000_NS6detail17trampoline_kernelINS0_14default_configENS1_32segmented_reduce_config_selectorIfEEZNS1_21segmented_reduce_implIS3_PKfPfPKifN6hipcub16HIPCUB_304000_NS6detail27convert_result_type_wrapperIS8_S9_N2at6native12_GLOBAL__N_19CustomSumEEEEE10hipError_tPvRmT0_T1_jT2_SQ_T4_T3_P12ihipStream_tbEUlT_E_NS1_11comp_targetILNS1_3genE10ELNS1_11target_archE1201ELNS1_3gpuE5ELNS1_3repE0EEENS1_30default_config_static_selectorELNS0_4arch9wavefront6targetE1EEEvSP_.has_recursion, 0
	.set _ZN7rocprim17ROCPRIM_400000_NS6detail17trampoline_kernelINS0_14default_configENS1_32segmented_reduce_config_selectorIfEEZNS1_21segmented_reduce_implIS3_PKfPfPKifN6hipcub16HIPCUB_304000_NS6detail27convert_result_type_wrapperIS8_S9_N2at6native12_GLOBAL__N_19CustomSumEEEEE10hipError_tPvRmT0_T1_jT2_SQ_T4_T3_P12ihipStream_tbEUlT_E_NS1_11comp_targetILNS1_3genE10ELNS1_11target_archE1201ELNS1_3gpuE5ELNS1_3repE0EEENS1_30default_config_static_selectorELNS0_4arch9wavefront6targetE1EEEvSP_.has_indirect_call, 0
	.section	.AMDGPU.csdata,"",@progbits
; Kernel info:
; codeLenInByte = 0
; TotalNumSgprs: 4
; NumVgprs: 0
; ScratchSize: 0
; MemoryBound: 0
; FloatMode: 240
; IeeeMode: 1
; LDSByteSize: 0 bytes/workgroup (compile time only)
; SGPRBlocks: 0
; VGPRBlocks: 0
; NumSGPRsForWavesPerEU: 4
; NumVGPRsForWavesPerEU: 1
; Occupancy: 10
; WaveLimiterHint : 0
; COMPUTE_PGM_RSRC2:SCRATCH_EN: 0
; COMPUTE_PGM_RSRC2:USER_SGPR: 6
; COMPUTE_PGM_RSRC2:TRAP_HANDLER: 0
; COMPUTE_PGM_RSRC2:TGID_X_EN: 1
; COMPUTE_PGM_RSRC2:TGID_Y_EN: 0
; COMPUTE_PGM_RSRC2:TGID_Z_EN: 0
; COMPUTE_PGM_RSRC2:TIDIG_COMP_CNT: 0
	.section	.text._ZN7rocprim17ROCPRIM_400000_NS6detail17trampoline_kernelINS0_14default_configENS1_32segmented_reduce_config_selectorIfEEZNS1_21segmented_reduce_implIS3_PKfPfPKifN6hipcub16HIPCUB_304000_NS6detail27convert_result_type_wrapperIS8_S9_N2at6native12_GLOBAL__N_19CustomSumEEEEE10hipError_tPvRmT0_T1_jT2_SQ_T4_T3_P12ihipStream_tbEUlT_E_NS1_11comp_targetILNS1_3genE4ELNS1_11target_archE910ELNS1_3gpuE8ELNS1_3repE0EEENS1_30default_config_static_selectorELNS0_4arch9wavefront6targetE1EEEvSP_,"axG",@progbits,_ZN7rocprim17ROCPRIM_400000_NS6detail17trampoline_kernelINS0_14default_configENS1_32segmented_reduce_config_selectorIfEEZNS1_21segmented_reduce_implIS3_PKfPfPKifN6hipcub16HIPCUB_304000_NS6detail27convert_result_type_wrapperIS8_S9_N2at6native12_GLOBAL__N_19CustomSumEEEEE10hipError_tPvRmT0_T1_jT2_SQ_T4_T3_P12ihipStream_tbEUlT_E_NS1_11comp_targetILNS1_3genE4ELNS1_11target_archE910ELNS1_3gpuE8ELNS1_3repE0EEENS1_30default_config_static_selectorELNS0_4arch9wavefront6targetE1EEEvSP_,comdat
	.globl	_ZN7rocprim17ROCPRIM_400000_NS6detail17trampoline_kernelINS0_14default_configENS1_32segmented_reduce_config_selectorIfEEZNS1_21segmented_reduce_implIS3_PKfPfPKifN6hipcub16HIPCUB_304000_NS6detail27convert_result_type_wrapperIS8_S9_N2at6native12_GLOBAL__N_19CustomSumEEEEE10hipError_tPvRmT0_T1_jT2_SQ_T4_T3_P12ihipStream_tbEUlT_E_NS1_11comp_targetILNS1_3genE4ELNS1_11target_archE910ELNS1_3gpuE8ELNS1_3repE0EEENS1_30default_config_static_selectorELNS0_4arch9wavefront6targetE1EEEvSP_ ; -- Begin function _ZN7rocprim17ROCPRIM_400000_NS6detail17trampoline_kernelINS0_14default_configENS1_32segmented_reduce_config_selectorIfEEZNS1_21segmented_reduce_implIS3_PKfPfPKifN6hipcub16HIPCUB_304000_NS6detail27convert_result_type_wrapperIS8_S9_N2at6native12_GLOBAL__N_19CustomSumEEEEE10hipError_tPvRmT0_T1_jT2_SQ_T4_T3_P12ihipStream_tbEUlT_E_NS1_11comp_targetILNS1_3genE4ELNS1_11target_archE910ELNS1_3gpuE8ELNS1_3repE0EEENS1_30default_config_static_selectorELNS0_4arch9wavefront6targetE1EEEvSP_
	.p2align	8
	.type	_ZN7rocprim17ROCPRIM_400000_NS6detail17trampoline_kernelINS0_14default_configENS1_32segmented_reduce_config_selectorIfEEZNS1_21segmented_reduce_implIS3_PKfPfPKifN6hipcub16HIPCUB_304000_NS6detail27convert_result_type_wrapperIS8_S9_N2at6native12_GLOBAL__N_19CustomSumEEEEE10hipError_tPvRmT0_T1_jT2_SQ_T4_T3_P12ihipStream_tbEUlT_E_NS1_11comp_targetILNS1_3genE4ELNS1_11target_archE910ELNS1_3gpuE8ELNS1_3repE0EEENS1_30default_config_static_selectorELNS0_4arch9wavefront6targetE1EEEvSP_,@function
_ZN7rocprim17ROCPRIM_400000_NS6detail17trampoline_kernelINS0_14default_configENS1_32segmented_reduce_config_selectorIfEEZNS1_21segmented_reduce_implIS3_PKfPfPKifN6hipcub16HIPCUB_304000_NS6detail27convert_result_type_wrapperIS8_S9_N2at6native12_GLOBAL__N_19CustomSumEEEEE10hipError_tPvRmT0_T1_jT2_SQ_T4_T3_P12ihipStream_tbEUlT_E_NS1_11comp_targetILNS1_3genE4ELNS1_11target_archE910ELNS1_3gpuE8ELNS1_3repE0EEENS1_30default_config_static_selectorELNS0_4arch9wavefront6targetE1EEEvSP_: ; @_ZN7rocprim17ROCPRIM_400000_NS6detail17trampoline_kernelINS0_14default_configENS1_32segmented_reduce_config_selectorIfEEZNS1_21segmented_reduce_implIS3_PKfPfPKifN6hipcub16HIPCUB_304000_NS6detail27convert_result_type_wrapperIS8_S9_N2at6native12_GLOBAL__N_19CustomSumEEEEE10hipError_tPvRmT0_T1_jT2_SQ_T4_T3_P12ihipStream_tbEUlT_E_NS1_11comp_targetILNS1_3genE4ELNS1_11target_archE910ELNS1_3gpuE8ELNS1_3repE0EEENS1_30default_config_static_selectorELNS0_4arch9wavefront6targetE1EEEvSP_
; %bb.0:
	.section	.rodata,"a",@progbits
	.p2align	6, 0x0
	.amdhsa_kernel _ZN7rocprim17ROCPRIM_400000_NS6detail17trampoline_kernelINS0_14default_configENS1_32segmented_reduce_config_selectorIfEEZNS1_21segmented_reduce_implIS3_PKfPfPKifN6hipcub16HIPCUB_304000_NS6detail27convert_result_type_wrapperIS8_S9_N2at6native12_GLOBAL__N_19CustomSumEEEEE10hipError_tPvRmT0_T1_jT2_SQ_T4_T3_P12ihipStream_tbEUlT_E_NS1_11comp_targetILNS1_3genE4ELNS1_11target_archE910ELNS1_3gpuE8ELNS1_3repE0EEENS1_30default_config_static_selectorELNS0_4arch9wavefront6targetE1EEEvSP_
		.amdhsa_group_segment_fixed_size 0
		.amdhsa_private_segment_fixed_size 0
		.amdhsa_kernarg_size 48
		.amdhsa_user_sgpr_count 6
		.amdhsa_user_sgpr_private_segment_buffer 1
		.amdhsa_user_sgpr_dispatch_ptr 0
		.amdhsa_user_sgpr_queue_ptr 0
		.amdhsa_user_sgpr_kernarg_segment_ptr 1
		.amdhsa_user_sgpr_dispatch_id 0
		.amdhsa_user_sgpr_flat_scratch_init 0
		.amdhsa_user_sgpr_private_segment_size 0
		.amdhsa_uses_dynamic_stack 0
		.amdhsa_system_sgpr_private_segment_wavefront_offset 0
		.amdhsa_system_sgpr_workgroup_id_x 1
		.amdhsa_system_sgpr_workgroup_id_y 0
		.amdhsa_system_sgpr_workgroup_id_z 0
		.amdhsa_system_sgpr_workgroup_info 0
		.amdhsa_system_vgpr_workitem_id 0
		.amdhsa_next_free_vgpr 1
		.amdhsa_next_free_sgpr 0
		.amdhsa_reserve_vcc 0
		.amdhsa_reserve_flat_scratch 0
		.amdhsa_float_round_mode_32 0
		.amdhsa_float_round_mode_16_64 0
		.amdhsa_float_denorm_mode_32 3
		.amdhsa_float_denorm_mode_16_64 3
		.amdhsa_dx10_clamp 1
		.amdhsa_ieee_mode 1
		.amdhsa_fp16_overflow 0
		.amdhsa_exception_fp_ieee_invalid_op 0
		.amdhsa_exception_fp_denorm_src 0
		.amdhsa_exception_fp_ieee_div_zero 0
		.amdhsa_exception_fp_ieee_overflow 0
		.amdhsa_exception_fp_ieee_underflow 0
		.amdhsa_exception_fp_ieee_inexact 0
		.amdhsa_exception_int_div_zero 0
	.end_amdhsa_kernel
	.section	.text._ZN7rocprim17ROCPRIM_400000_NS6detail17trampoline_kernelINS0_14default_configENS1_32segmented_reduce_config_selectorIfEEZNS1_21segmented_reduce_implIS3_PKfPfPKifN6hipcub16HIPCUB_304000_NS6detail27convert_result_type_wrapperIS8_S9_N2at6native12_GLOBAL__N_19CustomSumEEEEE10hipError_tPvRmT0_T1_jT2_SQ_T4_T3_P12ihipStream_tbEUlT_E_NS1_11comp_targetILNS1_3genE4ELNS1_11target_archE910ELNS1_3gpuE8ELNS1_3repE0EEENS1_30default_config_static_selectorELNS0_4arch9wavefront6targetE1EEEvSP_,"axG",@progbits,_ZN7rocprim17ROCPRIM_400000_NS6detail17trampoline_kernelINS0_14default_configENS1_32segmented_reduce_config_selectorIfEEZNS1_21segmented_reduce_implIS3_PKfPfPKifN6hipcub16HIPCUB_304000_NS6detail27convert_result_type_wrapperIS8_S9_N2at6native12_GLOBAL__N_19CustomSumEEEEE10hipError_tPvRmT0_T1_jT2_SQ_T4_T3_P12ihipStream_tbEUlT_E_NS1_11comp_targetILNS1_3genE4ELNS1_11target_archE910ELNS1_3gpuE8ELNS1_3repE0EEENS1_30default_config_static_selectorELNS0_4arch9wavefront6targetE1EEEvSP_,comdat
.Lfunc_end54:
	.size	_ZN7rocprim17ROCPRIM_400000_NS6detail17trampoline_kernelINS0_14default_configENS1_32segmented_reduce_config_selectorIfEEZNS1_21segmented_reduce_implIS3_PKfPfPKifN6hipcub16HIPCUB_304000_NS6detail27convert_result_type_wrapperIS8_S9_N2at6native12_GLOBAL__N_19CustomSumEEEEE10hipError_tPvRmT0_T1_jT2_SQ_T4_T3_P12ihipStream_tbEUlT_E_NS1_11comp_targetILNS1_3genE4ELNS1_11target_archE910ELNS1_3gpuE8ELNS1_3repE0EEENS1_30default_config_static_selectorELNS0_4arch9wavefront6targetE1EEEvSP_, .Lfunc_end54-_ZN7rocprim17ROCPRIM_400000_NS6detail17trampoline_kernelINS0_14default_configENS1_32segmented_reduce_config_selectorIfEEZNS1_21segmented_reduce_implIS3_PKfPfPKifN6hipcub16HIPCUB_304000_NS6detail27convert_result_type_wrapperIS8_S9_N2at6native12_GLOBAL__N_19CustomSumEEEEE10hipError_tPvRmT0_T1_jT2_SQ_T4_T3_P12ihipStream_tbEUlT_E_NS1_11comp_targetILNS1_3genE4ELNS1_11target_archE910ELNS1_3gpuE8ELNS1_3repE0EEENS1_30default_config_static_selectorELNS0_4arch9wavefront6targetE1EEEvSP_
                                        ; -- End function
	.set _ZN7rocprim17ROCPRIM_400000_NS6detail17trampoline_kernelINS0_14default_configENS1_32segmented_reduce_config_selectorIfEEZNS1_21segmented_reduce_implIS3_PKfPfPKifN6hipcub16HIPCUB_304000_NS6detail27convert_result_type_wrapperIS8_S9_N2at6native12_GLOBAL__N_19CustomSumEEEEE10hipError_tPvRmT0_T1_jT2_SQ_T4_T3_P12ihipStream_tbEUlT_E_NS1_11comp_targetILNS1_3genE4ELNS1_11target_archE910ELNS1_3gpuE8ELNS1_3repE0EEENS1_30default_config_static_selectorELNS0_4arch9wavefront6targetE1EEEvSP_.num_vgpr, 0
	.set _ZN7rocprim17ROCPRIM_400000_NS6detail17trampoline_kernelINS0_14default_configENS1_32segmented_reduce_config_selectorIfEEZNS1_21segmented_reduce_implIS3_PKfPfPKifN6hipcub16HIPCUB_304000_NS6detail27convert_result_type_wrapperIS8_S9_N2at6native12_GLOBAL__N_19CustomSumEEEEE10hipError_tPvRmT0_T1_jT2_SQ_T4_T3_P12ihipStream_tbEUlT_E_NS1_11comp_targetILNS1_3genE4ELNS1_11target_archE910ELNS1_3gpuE8ELNS1_3repE0EEENS1_30default_config_static_selectorELNS0_4arch9wavefront6targetE1EEEvSP_.num_agpr, 0
	.set _ZN7rocprim17ROCPRIM_400000_NS6detail17trampoline_kernelINS0_14default_configENS1_32segmented_reduce_config_selectorIfEEZNS1_21segmented_reduce_implIS3_PKfPfPKifN6hipcub16HIPCUB_304000_NS6detail27convert_result_type_wrapperIS8_S9_N2at6native12_GLOBAL__N_19CustomSumEEEEE10hipError_tPvRmT0_T1_jT2_SQ_T4_T3_P12ihipStream_tbEUlT_E_NS1_11comp_targetILNS1_3genE4ELNS1_11target_archE910ELNS1_3gpuE8ELNS1_3repE0EEENS1_30default_config_static_selectorELNS0_4arch9wavefront6targetE1EEEvSP_.numbered_sgpr, 0
	.set _ZN7rocprim17ROCPRIM_400000_NS6detail17trampoline_kernelINS0_14default_configENS1_32segmented_reduce_config_selectorIfEEZNS1_21segmented_reduce_implIS3_PKfPfPKifN6hipcub16HIPCUB_304000_NS6detail27convert_result_type_wrapperIS8_S9_N2at6native12_GLOBAL__N_19CustomSumEEEEE10hipError_tPvRmT0_T1_jT2_SQ_T4_T3_P12ihipStream_tbEUlT_E_NS1_11comp_targetILNS1_3genE4ELNS1_11target_archE910ELNS1_3gpuE8ELNS1_3repE0EEENS1_30default_config_static_selectorELNS0_4arch9wavefront6targetE1EEEvSP_.num_named_barrier, 0
	.set _ZN7rocprim17ROCPRIM_400000_NS6detail17trampoline_kernelINS0_14default_configENS1_32segmented_reduce_config_selectorIfEEZNS1_21segmented_reduce_implIS3_PKfPfPKifN6hipcub16HIPCUB_304000_NS6detail27convert_result_type_wrapperIS8_S9_N2at6native12_GLOBAL__N_19CustomSumEEEEE10hipError_tPvRmT0_T1_jT2_SQ_T4_T3_P12ihipStream_tbEUlT_E_NS1_11comp_targetILNS1_3genE4ELNS1_11target_archE910ELNS1_3gpuE8ELNS1_3repE0EEENS1_30default_config_static_selectorELNS0_4arch9wavefront6targetE1EEEvSP_.private_seg_size, 0
	.set _ZN7rocprim17ROCPRIM_400000_NS6detail17trampoline_kernelINS0_14default_configENS1_32segmented_reduce_config_selectorIfEEZNS1_21segmented_reduce_implIS3_PKfPfPKifN6hipcub16HIPCUB_304000_NS6detail27convert_result_type_wrapperIS8_S9_N2at6native12_GLOBAL__N_19CustomSumEEEEE10hipError_tPvRmT0_T1_jT2_SQ_T4_T3_P12ihipStream_tbEUlT_E_NS1_11comp_targetILNS1_3genE4ELNS1_11target_archE910ELNS1_3gpuE8ELNS1_3repE0EEENS1_30default_config_static_selectorELNS0_4arch9wavefront6targetE1EEEvSP_.uses_vcc, 0
	.set _ZN7rocprim17ROCPRIM_400000_NS6detail17trampoline_kernelINS0_14default_configENS1_32segmented_reduce_config_selectorIfEEZNS1_21segmented_reduce_implIS3_PKfPfPKifN6hipcub16HIPCUB_304000_NS6detail27convert_result_type_wrapperIS8_S9_N2at6native12_GLOBAL__N_19CustomSumEEEEE10hipError_tPvRmT0_T1_jT2_SQ_T4_T3_P12ihipStream_tbEUlT_E_NS1_11comp_targetILNS1_3genE4ELNS1_11target_archE910ELNS1_3gpuE8ELNS1_3repE0EEENS1_30default_config_static_selectorELNS0_4arch9wavefront6targetE1EEEvSP_.uses_flat_scratch, 0
	.set _ZN7rocprim17ROCPRIM_400000_NS6detail17trampoline_kernelINS0_14default_configENS1_32segmented_reduce_config_selectorIfEEZNS1_21segmented_reduce_implIS3_PKfPfPKifN6hipcub16HIPCUB_304000_NS6detail27convert_result_type_wrapperIS8_S9_N2at6native12_GLOBAL__N_19CustomSumEEEEE10hipError_tPvRmT0_T1_jT2_SQ_T4_T3_P12ihipStream_tbEUlT_E_NS1_11comp_targetILNS1_3genE4ELNS1_11target_archE910ELNS1_3gpuE8ELNS1_3repE0EEENS1_30default_config_static_selectorELNS0_4arch9wavefront6targetE1EEEvSP_.has_dyn_sized_stack, 0
	.set _ZN7rocprim17ROCPRIM_400000_NS6detail17trampoline_kernelINS0_14default_configENS1_32segmented_reduce_config_selectorIfEEZNS1_21segmented_reduce_implIS3_PKfPfPKifN6hipcub16HIPCUB_304000_NS6detail27convert_result_type_wrapperIS8_S9_N2at6native12_GLOBAL__N_19CustomSumEEEEE10hipError_tPvRmT0_T1_jT2_SQ_T4_T3_P12ihipStream_tbEUlT_E_NS1_11comp_targetILNS1_3genE4ELNS1_11target_archE910ELNS1_3gpuE8ELNS1_3repE0EEENS1_30default_config_static_selectorELNS0_4arch9wavefront6targetE1EEEvSP_.has_recursion, 0
	.set _ZN7rocprim17ROCPRIM_400000_NS6detail17trampoline_kernelINS0_14default_configENS1_32segmented_reduce_config_selectorIfEEZNS1_21segmented_reduce_implIS3_PKfPfPKifN6hipcub16HIPCUB_304000_NS6detail27convert_result_type_wrapperIS8_S9_N2at6native12_GLOBAL__N_19CustomSumEEEEE10hipError_tPvRmT0_T1_jT2_SQ_T4_T3_P12ihipStream_tbEUlT_E_NS1_11comp_targetILNS1_3genE4ELNS1_11target_archE910ELNS1_3gpuE8ELNS1_3repE0EEENS1_30default_config_static_selectorELNS0_4arch9wavefront6targetE1EEEvSP_.has_indirect_call, 0
	.section	.AMDGPU.csdata,"",@progbits
; Kernel info:
; codeLenInByte = 0
; TotalNumSgprs: 4
; NumVgprs: 0
; ScratchSize: 0
; MemoryBound: 0
; FloatMode: 240
; IeeeMode: 1
; LDSByteSize: 0 bytes/workgroup (compile time only)
; SGPRBlocks: 0
; VGPRBlocks: 0
; NumSGPRsForWavesPerEU: 4
; NumVGPRsForWavesPerEU: 1
; Occupancy: 10
; WaveLimiterHint : 0
; COMPUTE_PGM_RSRC2:SCRATCH_EN: 0
; COMPUTE_PGM_RSRC2:USER_SGPR: 6
; COMPUTE_PGM_RSRC2:TRAP_HANDLER: 0
; COMPUTE_PGM_RSRC2:TGID_X_EN: 1
; COMPUTE_PGM_RSRC2:TGID_Y_EN: 0
; COMPUTE_PGM_RSRC2:TGID_Z_EN: 0
; COMPUTE_PGM_RSRC2:TIDIG_COMP_CNT: 0
	.section	.text._ZN7rocprim17ROCPRIM_400000_NS6detail17trampoline_kernelINS0_14default_configENS1_32segmented_reduce_config_selectorIfEEZNS1_21segmented_reduce_implIS3_PKfPfPKifN6hipcub16HIPCUB_304000_NS6detail27convert_result_type_wrapperIS8_S9_N2at6native12_GLOBAL__N_19CustomSumEEEEE10hipError_tPvRmT0_T1_jT2_SQ_T4_T3_P12ihipStream_tbEUlT_E_NS1_11comp_targetILNS1_3genE3ELNS1_11target_archE908ELNS1_3gpuE7ELNS1_3repE0EEENS1_30default_config_static_selectorELNS0_4arch9wavefront6targetE1EEEvSP_,"axG",@progbits,_ZN7rocprim17ROCPRIM_400000_NS6detail17trampoline_kernelINS0_14default_configENS1_32segmented_reduce_config_selectorIfEEZNS1_21segmented_reduce_implIS3_PKfPfPKifN6hipcub16HIPCUB_304000_NS6detail27convert_result_type_wrapperIS8_S9_N2at6native12_GLOBAL__N_19CustomSumEEEEE10hipError_tPvRmT0_T1_jT2_SQ_T4_T3_P12ihipStream_tbEUlT_E_NS1_11comp_targetILNS1_3genE3ELNS1_11target_archE908ELNS1_3gpuE7ELNS1_3repE0EEENS1_30default_config_static_selectorELNS0_4arch9wavefront6targetE1EEEvSP_,comdat
	.globl	_ZN7rocprim17ROCPRIM_400000_NS6detail17trampoline_kernelINS0_14default_configENS1_32segmented_reduce_config_selectorIfEEZNS1_21segmented_reduce_implIS3_PKfPfPKifN6hipcub16HIPCUB_304000_NS6detail27convert_result_type_wrapperIS8_S9_N2at6native12_GLOBAL__N_19CustomSumEEEEE10hipError_tPvRmT0_T1_jT2_SQ_T4_T3_P12ihipStream_tbEUlT_E_NS1_11comp_targetILNS1_3genE3ELNS1_11target_archE908ELNS1_3gpuE7ELNS1_3repE0EEENS1_30default_config_static_selectorELNS0_4arch9wavefront6targetE1EEEvSP_ ; -- Begin function _ZN7rocprim17ROCPRIM_400000_NS6detail17trampoline_kernelINS0_14default_configENS1_32segmented_reduce_config_selectorIfEEZNS1_21segmented_reduce_implIS3_PKfPfPKifN6hipcub16HIPCUB_304000_NS6detail27convert_result_type_wrapperIS8_S9_N2at6native12_GLOBAL__N_19CustomSumEEEEE10hipError_tPvRmT0_T1_jT2_SQ_T4_T3_P12ihipStream_tbEUlT_E_NS1_11comp_targetILNS1_3genE3ELNS1_11target_archE908ELNS1_3gpuE7ELNS1_3repE0EEENS1_30default_config_static_selectorELNS0_4arch9wavefront6targetE1EEEvSP_
	.p2align	8
	.type	_ZN7rocprim17ROCPRIM_400000_NS6detail17trampoline_kernelINS0_14default_configENS1_32segmented_reduce_config_selectorIfEEZNS1_21segmented_reduce_implIS3_PKfPfPKifN6hipcub16HIPCUB_304000_NS6detail27convert_result_type_wrapperIS8_S9_N2at6native12_GLOBAL__N_19CustomSumEEEEE10hipError_tPvRmT0_T1_jT2_SQ_T4_T3_P12ihipStream_tbEUlT_E_NS1_11comp_targetILNS1_3genE3ELNS1_11target_archE908ELNS1_3gpuE7ELNS1_3repE0EEENS1_30default_config_static_selectorELNS0_4arch9wavefront6targetE1EEEvSP_,@function
_ZN7rocprim17ROCPRIM_400000_NS6detail17trampoline_kernelINS0_14default_configENS1_32segmented_reduce_config_selectorIfEEZNS1_21segmented_reduce_implIS3_PKfPfPKifN6hipcub16HIPCUB_304000_NS6detail27convert_result_type_wrapperIS8_S9_N2at6native12_GLOBAL__N_19CustomSumEEEEE10hipError_tPvRmT0_T1_jT2_SQ_T4_T3_P12ihipStream_tbEUlT_E_NS1_11comp_targetILNS1_3genE3ELNS1_11target_archE908ELNS1_3gpuE7ELNS1_3repE0EEENS1_30default_config_static_selectorELNS0_4arch9wavefront6targetE1EEEvSP_: ; @_ZN7rocprim17ROCPRIM_400000_NS6detail17trampoline_kernelINS0_14default_configENS1_32segmented_reduce_config_selectorIfEEZNS1_21segmented_reduce_implIS3_PKfPfPKifN6hipcub16HIPCUB_304000_NS6detail27convert_result_type_wrapperIS8_S9_N2at6native12_GLOBAL__N_19CustomSumEEEEE10hipError_tPvRmT0_T1_jT2_SQ_T4_T3_P12ihipStream_tbEUlT_E_NS1_11comp_targetILNS1_3genE3ELNS1_11target_archE908ELNS1_3gpuE7ELNS1_3repE0EEENS1_30default_config_static_selectorELNS0_4arch9wavefront6targetE1EEEvSP_
; %bb.0:
	.section	.rodata,"a",@progbits
	.p2align	6, 0x0
	.amdhsa_kernel _ZN7rocprim17ROCPRIM_400000_NS6detail17trampoline_kernelINS0_14default_configENS1_32segmented_reduce_config_selectorIfEEZNS1_21segmented_reduce_implIS3_PKfPfPKifN6hipcub16HIPCUB_304000_NS6detail27convert_result_type_wrapperIS8_S9_N2at6native12_GLOBAL__N_19CustomSumEEEEE10hipError_tPvRmT0_T1_jT2_SQ_T4_T3_P12ihipStream_tbEUlT_E_NS1_11comp_targetILNS1_3genE3ELNS1_11target_archE908ELNS1_3gpuE7ELNS1_3repE0EEENS1_30default_config_static_selectorELNS0_4arch9wavefront6targetE1EEEvSP_
		.amdhsa_group_segment_fixed_size 0
		.amdhsa_private_segment_fixed_size 0
		.amdhsa_kernarg_size 48
		.amdhsa_user_sgpr_count 6
		.amdhsa_user_sgpr_private_segment_buffer 1
		.amdhsa_user_sgpr_dispatch_ptr 0
		.amdhsa_user_sgpr_queue_ptr 0
		.amdhsa_user_sgpr_kernarg_segment_ptr 1
		.amdhsa_user_sgpr_dispatch_id 0
		.amdhsa_user_sgpr_flat_scratch_init 0
		.amdhsa_user_sgpr_private_segment_size 0
		.amdhsa_uses_dynamic_stack 0
		.amdhsa_system_sgpr_private_segment_wavefront_offset 0
		.amdhsa_system_sgpr_workgroup_id_x 1
		.amdhsa_system_sgpr_workgroup_id_y 0
		.amdhsa_system_sgpr_workgroup_id_z 0
		.amdhsa_system_sgpr_workgroup_info 0
		.amdhsa_system_vgpr_workitem_id 0
		.amdhsa_next_free_vgpr 1
		.amdhsa_next_free_sgpr 0
		.amdhsa_reserve_vcc 0
		.amdhsa_reserve_flat_scratch 0
		.amdhsa_float_round_mode_32 0
		.amdhsa_float_round_mode_16_64 0
		.amdhsa_float_denorm_mode_32 3
		.amdhsa_float_denorm_mode_16_64 3
		.amdhsa_dx10_clamp 1
		.amdhsa_ieee_mode 1
		.amdhsa_fp16_overflow 0
		.amdhsa_exception_fp_ieee_invalid_op 0
		.amdhsa_exception_fp_denorm_src 0
		.amdhsa_exception_fp_ieee_div_zero 0
		.amdhsa_exception_fp_ieee_overflow 0
		.amdhsa_exception_fp_ieee_underflow 0
		.amdhsa_exception_fp_ieee_inexact 0
		.amdhsa_exception_int_div_zero 0
	.end_amdhsa_kernel
	.section	.text._ZN7rocprim17ROCPRIM_400000_NS6detail17trampoline_kernelINS0_14default_configENS1_32segmented_reduce_config_selectorIfEEZNS1_21segmented_reduce_implIS3_PKfPfPKifN6hipcub16HIPCUB_304000_NS6detail27convert_result_type_wrapperIS8_S9_N2at6native12_GLOBAL__N_19CustomSumEEEEE10hipError_tPvRmT0_T1_jT2_SQ_T4_T3_P12ihipStream_tbEUlT_E_NS1_11comp_targetILNS1_3genE3ELNS1_11target_archE908ELNS1_3gpuE7ELNS1_3repE0EEENS1_30default_config_static_selectorELNS0_4arch9wavefront6targetE1EEEvSP_,"axG",@progbits,_ZN7rocprim17ROCPRIM_400000_NS6detail17trampoline_kernelINS0_14default_configENS1_32segmented_reduce_config_selectorIfEEZNS1_21segmented_reduce_implIS3_PKfPfPKifN6hipcub16HIPCUB_304000_NS6detail27convert_result_type_wrapperIS8_S9_N2at6native12_GLOBAL__N_19CustomSumEEEEE10hipError_tPvRmT0_T1_jT2_SQ_T4_T3_P12ihipStream_tbEUlT_E_NS1_11comp_targetILNS1_3genE3ELNS1_11target_archE908ELNS1_3gpuE7ELNS1_3repE0EEENS1_30default_config_static_selectorELNS0_4arch9wavefront6targetE1EEEvSP_,comdat
.Lfunc_end55:
	.size	_ZN7rocprim17ROCPRIM_400000_NS6detail17trampoline_kernelINS0_14default_configENS1_32segmented_reduce_config_selectorIfEEZNS1_21segmented_reduce_implIS3_PKfPfPKifN6hipcub16HIPCUB_304000_NS6detail27convert_result_type_wrapperIS8_S9_N2at6native12_GLOBAL__N_19CustomSumEEEEE10hipError_tPvRmT0_T1_jT2_SQ_T4_T3_P12ihipStream_tbEUlT_E_NS1_11comp_targetILNS1_3genE3ELNS1_11target_archE908ELNS1_3gpuE7ELNS1_3repE0EEENS1_30default_config_static_selectorELNS0_4arch9wavefront6targetE1EEEvSP_, .Lfunc_end55-_ZN7rocprim17ROCPRIM_400000_NS6detail17trampoline_kernelINS0_14default_configENS1_32segmented_reduce_config_selectorIfEEZNS1_21segmented_reduce_implIS3_PKfPfPKifN6hipcub16HIPCUB_304000_NS6detail27convert_result_type_wrapperIS8_S9_N2at6native12_GLOBAL__N_19CustomSumEEEEE10hipError_tPvRmT0_T1_jT2_SQ_T4_T3_P12ihipStream_tbEUlT_E_NS1_11comp_targetILNS1_3genE3ELNS1_11target_archE908ELNS1_3gpuE7ELNS1_3repE0EEENS1_30default_config_static_selectorELNS0_4arch9wavefront6targetE1EEEvSP_
                                        ; -- End function
	.set _ZN7rocprim17ROCPRIM_400000_NS6detail17trampoline_kernelINS0_14default_configENS1_32segmented_reduce_config_selectorIfEEZNS1_21segmented_reduce_implIS3_PKfPfPKifN6hipcub16HIPCUB_304000_NS6detail27convert_result_type_wrapperIS8_S9_N2at6native12_GLOBAL__N_19CustomSumEEEEE10hipError_tPvRmT0_T1_jT2_SQ_T4_T3_P12ihipStream_tbEUlT_E_NS1_11comp_targetILNS1_3genE3ELNS1_11target_archE908ELNS1_3gpuE7ELNS1_3repE0EEENS1_30default_config_static_selectorELNS0_4arch9wavefront6targetE1EEEvSP_.num_vgpr, 0
	.set _ZN7rocprim17ROCPRIM_400000_NS6detail17trampoline_kernelINS0_14default_configENS1_32segmented_reduce_config_selectorIfEEZNS1_21segmented_reduce_implIS3_PKfPfPKifN6hipcub16HIPCUB_304000_NS6detail27convert_result_type_wrapperIS8_S9_N2at6native12_GLOBAL__N_19CustomSumEEEEE10hipError_tPvRmT0_T1_jT2_SQ_T4_T3_P12ihipStream_tbEUlT_E_NS1_11comp_targetILNS1_3genE3ELNS1_11target_archE908ELNS1_3gpuE7ELNS1_3repE0EEENS1_30default_config_static_selectorELNS0_4arch9wavefront6targetE1EEEvSP_.num_agpr, 0
	.set _ZN7rocprim17ROCPRIM_400000_NS6detail17trampoline_kernelINS0_14default_configENS1_32segmented_reduce_config_selectorIfEEZNS1_21segmented_reduce_implIS3_PKfPfPKifN6hipcub16HIPCUB_304000_NS6detail27convert_result_type_wrapperIS8_S9_N2at6native12_GLOBAL__N_19CustomSumEEEEE10hipError_tPvRmT0_T1_jT2_SQ_T4_T3_P12ihipStream_tbEUlT_E_NS1_11comp_targetILNS1_3genE3ELNS1_11target_archE908ELNS1_3gpuE7ELNS1_3repE0EEENS1_30default_config_static_selectorELNS0_4arch9wavefront6targetE1EEEvSP_.numbered_sgpr, 0
	.set _ZN7rocprim17ROCPRIM_400000_NS6detail17trampoline_kernelINS0_14default_configENS1_32segmented_reduce_config_selectorIfEEZNS1_21segmented_reduce_implIS3_PKfPfPKifN6hipcub16HIPCUB_304000_NS6detail27convert_result_type_wrapperIS8_S9_N2at6native12_GLOBAL__N_19CustomSumEEEEE10hipError_tPvRmT0_T1_jT2_SQ_T4_T3_P12ihipStream_tbEUlT_E_NS1_11comp_targetILNS1_3genE3ELNS1_11target_archE908ELNS1_3gpuE7ELNS1_3repE0EEENS1_30default_config_static_selectorELNS0_4arch9wavefront6targetE1EEEvSP_.num_named_barrier, 0
	.set _ZN7rocprim17ROCPRIM_400000_NS6detail17trampoline_kernelINS0_14default_configENS1_32segmented_reduce_config_selectorIfEEZNS1_21segmented_reduce_implIS3_PKfPfPKifN6hipcub16HIPCUB_304000_NS6detail27convert_result_type_wrapperIS8_S9_N2at6native12_GLOBAL__N_19CustomSumEEEEE10hipError_tPvRmT0_T1_jT2_SQ_T4_T3_P12ihipStream_tbEUlT_E_NS1_11comp_targetILNS1_3genE3ELNS1_11target_archE908ELNS1_3gpuE7ELNS1_3repE0EEENS1_30default_config_static_selectorELNS0_4arch9wavefront6targetE1EEEvSP_.private_seg_size, 0
	.set _ZN7rocprim17ROCPRIM_400000_NS6detail17trampoline_kernelINS0_14default_configENS1_32segmented_reduce_config_selectorIfEEZNS1_21segmented_reduce_implIS3_PKfPfPKifN6hipcub16HIPCUB_304000_NS6detail27convert_result_type_wrapperIS8_S9_N2at6native12_GLOBAL__N_19CustomSumEEEEE10hipError_tPvRmT0_T1_jT2_SQ_T4_T3_P12ihipStream_tbEUlT_E_NS1_11comp_targetILNS1_3genE3ELNS1_11target_archE908ELNS1_3gpuE7ELNS1_3repE0EEENS1_30default_config_static_selectorELNS0_4arch9wavefront6targetE1EEEvSP_.uses_vcc, 0
	.set _ZN7rocprim17ROCPRIM_400000_NS6detail17trampoline_kernelINS0_14default_configENS1_32segmented_reduce_config_selectorIfEEZNS1_21segmented_reduce_implIS3_PKfPfPKifN6hipcub16HIPCUB_304000_NS6detail27convert_result_type_wrapperIS8_S9_N2at6native12_GLOBAL__N_19CustomSumEEEEE10hipError_tPvRmT0_T1_jT2_SQ_T4_T3_P12ihipStream_tbEUlT_E_NS1_11comp_targetILNS1_3genE3ELNS1_11target_archE908ELNS1_3gpuE7ELNS1_3repE0EEENS1_30default_config_static_selectorELNS0_4arch9wavefront6targetE1EEEvSP_.uses_flat_scratch, 0
	.set _ZN7rocprim17ROCPRIM_400000_NS6detail17trampoline_kernelINS0_14default_configENS1_32segmented_reduce_config_selectorIfEEZNS1_21segmented_reduce_implIS3_PKfPfPKifN6hipcub16HIPCUB_304000_NS6detail27convert_result_type_wrapperIS8_S9_N2at6native12_GLOBAL__N_19CustomSumEEEEE10hipError_tPvRmT0_T1_jT2_SQ_T4_T3_P12ihipStream_tbEUlT_E_NS1_11comp_targetILNS1_3genE3ELNS1_11target_archE908ELNS1_3gpuE7ELNS1_3repE0EEENS1_30default_config_static_selectorELNS0_4arch9wavefront6targetE1EEEvSP_.has_dyn_sized_stack, 0
	.set _ZN7rocprim17ROCPRIM_400000_NS6detail17trampoline_kernelINS0_14default_configENS1_32segmented_reduce_config_selectorIfEEZNS1_21segmented_reduce_implIS3_PKfPfPKifN6hipcub16HIPCUB_304000_NS6detail27convert_result_type_wrapperIS8_S9_N2at6native12_GLOBAL__N_19CustomSumEEEEE10hipError_tPvRmT0_T1_jT2_SQ_T4_T3_P12ihipStream_tbEUlT_E_NS1_11comp_targetILNS1_3genE3ELNS1_11target_archE908ELNS1_3gpuE7ELNS1_3repE0EEENS1_30default_config_static_selectorELNS0_4arch9wavefront6targetE1EEEvSP_.has_recursion, 0
	.set _ZN7rocprim17ROCPRIM_400000_NS6detail17trampoline_kernelINS0_14default_configENS1_32segmented_reduce_config_selectorIfEEZNS1_21segmented_reduce_implIS3_PKfPfPKifN6hipcub16HIPCUB_304000_NS6detail27convert_result_type_wrapperIS8_S9_N2at6native12_GLOBAL__N_19CustomSumEEEEE10hipError_tPvRmT0_T1_jT2_SQ_T4_T3_P12ihipStream_tbEUlT_E_NS1_11comp_targetILNS1_3genE3ELNS1_11target_archE908ELNS1_3gpuE7ELNS1_3repE0EEENS1_30default_config_static_selectorELNS0_4arch9wavefront6targetE1EEEvSP_.has_indirect_call, 0
	.section	.AMDGPU.csdata,"",@progbits
; Kernel info:
; codeLenInByte = 0
; TotalNumSgprs: 4
; NumVgprs: 0
; ScratchSize: 0
; MemoryBound: 0
; FloatMode: 240
; IeeeMode: 1
; LDSByteSize: 0 bytes/workgroup (compile time only)
; SGPRBlocks: 0
; VGPRBlocks: 0
; NumSGPRsForWavesPerEU: 4
; NumVGPRsForWavesPerEU: 1
; Occupancy: 10
; WaveLimiterHint : 0
; COMPUTE_PGM_RSRC2:SCRATCH_EN: 0
; COMPUTE_PGM_RSRC2:USER_SGPR: 6
; COMPUTE_PGM_RSRC2:TRAP_HANDLER: 0
; COMPUTE_PGM_RSRC2:TGID_X_EN: 1
; COMPUTE_PGM_RSRC2:TGID_Y_EN: 0
; COMPUTE_PGM_RSRC2:TGID_Z_EN: 0
; COMPUTE_PGM_RSRC2:TIDIG_COMP_CNT: 0
	.section	.text._ZN7rocprim17ROCPRIM_400000_NS6detail17trampoline_kernelINS0_14default_configENS1_32segmented_reduce_config_selectorIfEEZNS1_21segmented_reduce_implIS3_PKfPfPKifN6hipcub16HIPCUB_304000_NS6detail27convert_result_type_wrapperIS8_S9_N2at6native12_GLOBAL__N_19CustomSumEEEEE10hipError_tPvRmT0_T1_jT2_SQ_T4_T3_P12ihipStream_tbEUlT_E_NS1_11comp_targetILNS1_3genE2ELNS1_11target_archE906ELNS1_3gpuE6ELNS1_3repE0EEENS1_30default_config_static_selectorELNS0_4arch9wavefront6targetE1EEEvSP_,"axG",@progbits,_ZN7rocprim17ROCPRIM_400000_NS6detail17trampoline_kernelINS0_14default_configENS1_32segmented_reduce_config_selectorIfEEZNS1_21segmented_reduce_implIS3_PKfPfPKifN6hipcub16HIPCUB_304000_NS6detail27convert_result_type_wrapperIS8_S9_N2at6native12_GLOBAL__N_19CustomSumEEEEE10hipError_tPvRmT0_T1_jT2_SQ_T4_T3_P12ihipStream_tbEUlT_E_NS1_11comp_targetILNS1_3genE2ELNS1_11target_archE906ELNS1_3gpuE6ELNS1_3repE0EEENS1_30default_config_static_selectorELNS0_4arch9wavefront6targetE1EEEvSP_,comdat
	.globl	_ZN7rocprim17ROCPRIM_400000_NS6detail17trampoline_kernelINS0_14default_configENS1_32segmented_reduce_config_selectorIfEEZNS1_21segmented_reduce_implIS3_PKfPfPKifN6hipcub16HIPCUB_304000_NS6detail27convert_result_type_wrapperIS8_S9_N2at6native12_GLOBAL__N_19CustomSumEEEEE10hipError_tPvRmT0_T1_jT2_SQ_T4_T3_P12ihipStream_tbEUlT_E_NS1_11comp_targetILNS1_3genE2ELNS1_11target_archE906ELNS1_3gpuE6ELNS1_3repE0EEENS1_30default_config_static_selectorELNS0_4arch9wavefront6targetE1EEEvSP_ ; -- Begin function _ZN7rocprim17ROCPRIM_400000_NS6detail17trampoline_kernelINS0_14default_configENS1_32segmented_reduce_config_selectorIfEEZNS1_21segmented_reduce_implIS3_PKfPfPKifN6hipcub16HIPCUB_304000_NS6detail27convert_result_type_wrapperIS8_S9_N2at6native12_GLOBAL__N_19CustomSumEEEEE10hipError_tPvRmT0_T1_jT2_SQ_T4_T3_P12ihipStream_tbEUlT_E_NS1_11comp_targetILNS1_3genE2ELNS1_11target_archE906ELNS1_3gpuE6ELNS1_3repE0EEENS1_30default_config_static_selectorELNS0_4arch9wavefront6targetE1EEEvSP_
	.p2align	8
	.type	_ZN7rocprim17ROCPRIM_400000_NS6detail17trampoline_kernelINS0_14default_configENS1_32segmented_reduce_config_selectorIfEEZNS1_21segmented_reduce_implIS3_PKfPfPKifN6hipcub16HIPCUB_304000_NS6detail27convert_result_type_wrapperIS8_S9_N2at6native12_GLOBAL__N_19CustomSumEEEEE10hipError_tPvRmT0_T1_jT2_SQ_T4_T3_P12ihipStream_tbEUlT_E_NS1_11comp_targetILNS1_3genE2ELNS1_11target_archE906ELNS1_3gpuE6ELNS1_3repE0EEENS1_30default_config_static_selectorELNS0_4arch9wavefront6targetE1EEEvSP_,@function
_ZN7rocprim17ROCPRIM_400000_NS6detail17trampoline_kernelINS0_14default_configENS1_32segmented_reduce_config_selectorIfEEZNS1_21segmented_reduce_implIS3_PKfPfPKifN6hipcub16HIPCUB_304000_NS6detail27convert_result_type_wrapperIS8_S9_N2at6native12_GLOBAL__N_19CustomSumEEEEE10hipError_tPvRmT0_T1_jT2_SQ_T4_T3_P12ihipStream_tbEUlT_E_NS1_11comp_targetILNS1_3genE2ELNS1_11target_archE906ELNS1_3gpuE6ELNS1_3repE0EEENS1_30default_config_static_selectorELNS0_4arch9wavefront6targetE1EEEvSP_: ; @_ZN7rocprim17ROCPRIM_400000_NS6detail17trampoline_kernelINS0_14default_configENS1_32segmented_reduce_config_selectorIfEEZNS1_21segmented_reduce_implIS3_PKfPfPKifN6hipcub16HIPCUB_304000_NS6detail27convert_result_type_wrapperIS8_S9_N2at6native12_GLOBAL__N_19CustomSumEEEEE10hipError_tPvRmT0_T1_jT2_SQ_T4_T3_P12ihipStream_tbEUlT_E_NS1_11comp_targetILNS1_3genE2ELNS1_11target_archE906ELNS1_3gpuE6ELNS1_3repE0EEENS1_30default_config_static_selectorELNS0_4arch9wavefront6targetE1EEEvSP_
; %bb.0:
	s_load_dwordx8 s[36:43], s[4:5], 0x0
	s_load_dwordx2 s[0:1], s[4:5], 0x20
	s_load_dword s33, s[4:5], 0x2c
	s_mov_b32 s7, 0
	v_cmp_eq_u32_e32 vcc, 0, v0
	s_waitcnt lgkmcnt(0)
	s_lshl_b64 s[30:31], s[40:41], 2
	s_add_u32 s2, s42, s30
	s_addc_u32 s3, s43, s31
	s_add_u32 s4, s0, s30
	s_addc_u32 s5, s1, s31
	s_lshl_b64 s[34:35], s[6:7], 2
	s_add_u32 s0, s2, s34
	s_addc_u32 s1, s3, s35
	s_load_dword s42, s[0:1], 0x0
	s_add_u32 s0, s4, s34
	s_addc_u32 s1, s5, s35
	s_load_dword s48, s[0:1], 0x0
	s_waitcnt lgkmcnt(0)
	s_cmp_gt_i32 s48, s42
	s_cbranch_scc1 .LBB56_3
; %bb.1:
	s_and_b64 s[40:41], vcc, exec
	s_cbranch_execz .LBB56_4
; %bb.2:
	v_mov_b32_e32 v1, s33
	s_and_saveexec_b64 s[0:1], s[40:41]
	s_cbranch_execnz .LBB56_67
	s_branch .LBB56_68
.LBB56_3:
	s_mov_b64 s[40:41], 0
.LBB56_4:
	s_add_i32 s0, s42, 0x1000
	s_cmp_le_i32 s0, s48
	s_movk_i32 s1, 0x1000
	s_cbranch_scc0 .LBB56_45
; %bb.5:
	s_ashr_i32 s43, s42, 31
	s_lshl_b64 s[2:3], s[42:43], 2
	s_add_u32 s2, s36, s2
	s_addc_u32 s3, s37, s3
	v_lshlrev_b32_e32 v18, 2, v0
	v_mov_b32_e32 v1, s3
	v_add_co_u32_e32 v17, vcc, s2, v18
	v_addc_co_u32_e32 v20, vcc, 0, v1, vcc
	v_add_co_u32_e32 v13, vcc, s1, v17
	v_addc_co_u32_e32 v14, vcc, 0, v20, vcc
	s_movk_i32 s1, 0x2000
	v_add_co_u32_e32 v15, vcc, s1, v17
	v_addc_co_u32_e32 v16, vcc, 0, v20, vcc
	global_load_dword v4, v18, s[2:3]
	global_load_dword v3, v18, s[2:3] offset:1024
	global_load_dword v2, v18, s[2:3] offset:2048
	;; [unrolled: 1-line block ×3, first 2 shown]
	global_load_dword v7, v[13:14], off offset:1024
	global_load_dword v6, v[13:14], off offset:2048
	;; [unrolled: 1-line block ×3, first 2 shown]
	global_load_dword v12, v[15:16], off offset:-4096
	global_load_dword v11, v[15:16], off
	global_load_dword v10, v[15:16], off offset:1024
	global_load_dword v9, v[15:16], off offset:2048
	;; [unrolled: 1-line block ×3, first 2 shown]
	s_movk_i32 s2, 0x3000
	v_add_co_u32_e32 v19, vcc, s2, v17
	v_addc_co_u32_e32 v20, vcc, 0, v20, vcc
	global_load_dword v15, v[19:20], off
	global_load_dword v14, v[19:20], off offset:1024
	global_load_dword v13, v[19:20], off offset:2048
	;; [unrolled: 1-line block ×3, first 2 shown]
	s_add_i32 s3, s42, 0x2000
	s_cmp_ge_i32 s3, s48
	s_waitcnt vmcnt(14)
	v_add_f32_e32 v17, v4, v3
	s_waitcnt vmcnt(13)
	v_add_f32_e32 v17, v17, v2
	;; [unrolled: 2-line block ×4, first 2 shown]
	v_add_f32_e32 v17, v17, v7
	v_add_f32_e32 v17, v17, v6
	;; [unrolled: 1-line block ×3, first 2 shown]
	s_waitcnt vmcnt(7)
	v_add_f32_e32 v17, v17, v11
	s_waitcnt vmcnt(6)
	v_add_f32_e32 v17, v17, v10
	;; [unrolled: 2-line block ×8, first 2 shown]
	s_cbranch_scc1 .LBB56_8
; %bb.6:
	v_mov_b32_e32 v1, s37
	v_add_co_u32_e32 v19, vcc, s36, v18
	v_addc_co_u32_e32 v20, vcc, 0, v1, vcc
	s_movk_i32 s3, 0x1000
.LBB56_7:                               ; =>This Inner Loop Header: Depth=1
	s_mov_b32 s4, s0
	s_ashr_i32 s5, s0, 31
	s_lshl_b64 s[6:7], s[4:5], 2
	v_mov_b32_e32 v1, s7
	v_add_co_u32_e32 v12, vcc, s6, v19
	v_addc_co_u32_e32 v13, vcc, v20, v1, vcc
	global_load_dword v4, v[12:13], off
	global_load_dword v3, v[12:13], off offset:1024
	global_load_dword v2, v[12:13], off offset:2048
	;; [unrolled: 1-line block ×3, first 2 shown]
	v_add_co_u32_e32 v8, vcc, s3, v12
	v_addc_co_u32_e32 v9, vcc, 0, v13, vcc
	v_add_co_u32_e32 v14, vcc, s1, v12
	v_addc_co_u32_e32 v15, vcc, 0, v13, vcc
	global_load_dword v7, v[8:9], off offset:1024
	global_load_dword v6, v[8:9], off offset:2048
	;; [unrolled: 1-line block ×3, first 2 shown]
	v_add_co_u32_e32 v21, vcc, s2, v12
	global_load_dword v12, v[14:15], off offset:-4096
	global_load_dword v11, v[14:15], off
	global_load_dword v10, v[14:15], off offset:1024
	global_load_dword v9, v[14:15], off offset:2048
	;; [unrolled: 1-line block ×3, first 2 shown]
	v_addc_co_u32_e32 v22, vcc, 0, v13, vcc
	global_load_dword v15, v[21:22], off
	global_load_dword v14, v[21:22], off offset:1024
	global_load_dword v13, v[21:22], off offset:2048
	;; [unrolled: 1-line block ×3, first 2 shown]
	s_addk_i32 s0, 0x1000
	s_addk_i32 s4, 0x2000
	s_cmp_lt_i32 s4, s48
	s_waitcnt vmcnt(15)
	v_add_f32_e32 v17, v17, v4
	s_waitcnt vmcnt(14)
	v_add_f32_e32 v17, v17, v3
	;; [unrolled: 2-line block ×5, first 2 shown]
	v_add_f32_e32 v17, v17, v7
	v_add_f32_e32 v17, v17, v6
	;; [unrolled: 1-line block ×3, first 2 shown]
	s_waitcnt vmcnt(7)
	v_add_f32_e32 v17, v17, v11
	s_waitcnt vmcnt(6)
	v_add_f32_e32 v17, v17, v10
	;; [unrolled: 2-line block ×8, first 2 shown]
	s_cbranch_scc1 .LBB56_7
.LBB56_8:
	s_ashr_i32 s1, s0, 31
	s_sub_i32 s43, s48, s0
	s_lshl_b64 s[0:1], s[0:1], 2
	s_add_u32 s44, s36, s0
	s_addc_u32 s45, s37, s1
	v_cmp_gt_u32_e32 vcc, s43, v0
	s_and_saveexec_b64 s[0:1], vcc
	s_cbranch_execz .LBB56_10
; %bb.9:
	global_load_dword v4, v18, s[44:45]
.LBB56_10:
	s_or_b64 exec, exec, s[0:1]
	v_or_b32_e32 v19, 0x100, v0
	v_cmp_gt_u32_e64 s[0:1], s43, v19
	s_and_saveexec_b64 s[2:3], s[0:1]
	s_cbranch_execz .LBB56_12
; %bb.11:
	global_load_dword v3, v18, s[44:45] offset:1024
.LBB56_12:
	s_or_b64 exec, exec, s[2:3]
	v_or_b32_e32 v19, 0x200, v0
	v_cmp_gt_u32_e64 s[2:3], s43, v19
	s_and_saveexec_b64 s[4:5], s[2:3]
	s_cbranch_execz .LBB56_14
; %bb.13:
	global_load_dword v2, v18, s[44:45] offset:2048
.LBB56_14:
	s_or_b64 exec, exec, s[4:5]
	v_or_b32_e32 v19, 0x300, v0
	v_cmp_gt_u32_e64 s[4:5], s43, v19
	s_and_saveexec_b64 s[6:7], s[4:5]
	s_cbranch_execz .LBB56_16
; %bb.15:
	global_load_dword v1, v18, s[44:45] offset:3072
.LBB56_16:
	s_or_b64 exec, exec, s[6:7]
	v_or_b32_e32 v18, 0x400, v0
	v_cmp_gt_u32_e64 s[6:7], s43, v18
	s_and_saveexec_b64 s[8:9], s[6:7]
	s_cbranch_execz .LBB56_18
; %bb.17:
	v_lshlrev_b32_e32 v12, 2, v18
	global_load_dword v12, v12, s[44:45]
.LBB56_18:
	s_or_b64 exec, exec, s[8:9]
	v_or_b32_e32 v18, 0x500, v0
	v_cmp_gt_u32_e64 s[8:9], s43, v18
	s_and_saveexec_b64 s[10:11], s[8:9]
	s_cbranch_execz .LBB56_20
; %bb.19:
	v_lshlrev_b32_e32 v7, 2, v18
	global_load_dword v7, v7, s[44:45]
.LBB56_20:
	;; [unrolled: 9-line block ×12, first 2 shown]
	s_or_b64 exec, exec, s[46:47]
	s_waitcnt vmcnt(0)
	v_add_f32_e32 v4, v17, v4
	v_cndmask_b32_e32 v4, v17, v4, vcc
	v_add_f32_e32 v3, v3, v4
	v_cndmask_b32_e64 v3, v4, v3, s[0:1]
	v_add_f32_e32 v2, v2, v3
	v_cndmask_b32_e64 v2, v3, v2, s[2:3]
	;; [unrolled: 2-line block ×15, first 2 shown]
	v_mbcnt_lo_u32_b32 v1, -1, 0
	v_mbcnt_hi_u32_b32 v1, -1, v1
	v_add_f32_dpp v2, v2, v2 quad_perm:[1,0,3,2] row_mask:0xf bank_mask:0xf bound_ctrl:1
	v_cmp_eq_u32_e32 vcc, 0, v1
	s_nop 0
	v_add_f32_dpp v2, v2, v2 quad_perm:[2,3,0,1] row_mask:0xf bank_mask:0xf bound_ctrl:1
	s_nop 1
	v_add_f32_dpp v2, v2, v2 row_ror:4 row_mask:0xf bank_mask:0xf bound_ctrl:1
	s_nop 1
	v_add_f32_dpp v2, v2, v2 row_ror:8 row_mask:0xf bank_mask:0xf bound_ctrl:1
	s_nop 1
	v_add_f32_dpp v2, v2, v2 row_bcast:15 row_mask:0xf bank_mask:0xf bound_ctrl:1
	s_nop 1
	v_add_f32_dpp v3, v2, v2 row_bcast:31 row_mask:0xf bank_mask:0xf bound_ctrl:1
	v_lshlrev_b32_e32 v2, 2, v1
	v_or_b32_e32 v4, 0xfc, v2
	ds_bpermute_b32 v4, v4, v3
	s_and_saveexec_b64 s[0:1], vcc
	s_cbranch_execz .LBB56_42
; %bb.41:
	v_lshrrev_b32_e32 v3, 4, v0
	v_and_b32_e32 v3, 12, v3
	s_waitcnt lgkmcnt(0)
	ds_write_b32 v3, v4
.LBB56_42:
	s_or_b64 exec, exec, s[0:1]
	v_cmp_gt_u32_e32 vcc, 64, v0
	s_waitcnt lgkmcnt(0)
	s_barrier
	s_and_saveexec_b64 s[0:1], vcc
	s_cbranch_execz .LBB56_44
; %bb.43:
	v_and_b32_e32 v3, 3, v1
	v_lshlrev_b32_e32 v4, 2, v3
	ds_read_b32 v4, v4
	v_cmp_ne_u32_e32 vcc, 3, v3
	v_addc_co_u32_e32 v1, vcc, 0, v1, vcc
	v_lshlrev_b32_e32 v1, 2, v1
	s_waitcnt lgkmcnt(0)
	ds_bpermute_b32 v1, v1, v4
	v_or_b32_e32 v2, 8, v2
	s_waitcnt lgkmcnt(0)
	v_add_f32_e32 v1, v4, v1
	ds_bpermute_b32 v2, v2, v1
	s_waitcnt lgkmcnt(0)
	v_add_f32_e32 v4, v1, v2
.LBB56_44:
	s_or_b64 exec, exec, s[0:1]
	s_branch .LBB56_64
.LBB56_45:
                                        ; implicit-def: $vgpr4
	s_cbranch_execz .LBB56_64
; %bb.46:
	s_sub_i32 s6, s48, s42
	v_cmp_gt_u32_e32 vcc, s6, v0
                                        ; implicit-def: $vgpr3
	s_and_saveexec_b64 s[0:1], vcc
	s_cbranch_execz .LBB56_52
; %bb.47:
	v_add_u32_e32 v1, s42, v0
	v_ashrrev_i32_e32 v2, 31, v1
	v_lshlrev_b64 v[2:3], 2, v[1:2]
	v_mov_b32_e32 v4, s37
	v_add_co_u32_e32 v2, vcc, s36, v2
	v_addc_co_u32_e32 v3, vcc, v4, v3, vcc
	global_load_dword v3, v[2:3], off
	v_add_u32_e32 v1, 0x100, v1
	v_cmp_gt_i32_e32 vcc, s48, v1
	s_and_saveexec_b64 s[2:3], vcc
	s_cbranch_execz .LBB56_51
; %bb.48:
	s_mov_b64 s[4:5], 0
	v_mov_b32_e32 v4, s37
.LBB56_49:                              ; =>This Inner Loop Header: Depth=1
	v_ashrrev_i32_e32 v2, 31, v1
	v_lshlrev_b64 v[5:6], 2, v[1:2]
	v_add_u32_e32 v1, 0x100, v1
	v_add_co_u32_e32 v5, vcc, s36, v5
	v_addc_co_u32_e32 v6, vcc, v4, v6, vcc
	global_load_dword v2, v[5:6], off
	v_cmp_le_i32_e32 vcc, s48, v1
	s_or_b64 s[4:5], vcc, s[4:5]
	s_waitcnt vmcnt(0)
	v_add_f32_e32 v3, v3, v2
	s_andn2_b64 exec, exec, s[4:5]
	s_cbranch_execnz .LBB56_49
; %bb.50:
	s_or_b64 exec, exec, s[4:5]
.LBB56_51:
	s_or_b64 exec, exec, s[2:3]
.LBB56_52:
	s_or_b64 exec, exec, s[0:1]
	v_mbcnt_lo_u32_b32 v1, -1, 0
	v_mbcnt_hi_u32_b32 v2, -1, v1
	s_cmpk_lt_u32 s6, 0x100
	v_lshlrev_b32_e32 v1, 2, v2
	v_cmp_eq_u32_e32 vcc, 0, v2
	s_cbranch_scc0 .LBB56_58
; %bb.53:
	v_and_b32_e32 v4, 63, v2
	v_cmp_ne_u32_e64 s[0:1], 63, v4
	v_addc_co_u32_e64 v5, s[0:1], 0, v2, s[0:1]
	v_lshlrev_b32_e32 v5, 2, v5
	s_waitcnt vmcnt(0)
	ds_bpermute_b32 v5, v5, v3
	v_and_b32_e32 v6, 0xc0, v0
	v_sub_u32_e64 v6, s6, v6 clamp
	v_add_u32_e32 v7, 1, v4
	v_cmp_gt_u32_e64 s[2:3], 62, v4
	s_waitcnt lgkmcnt(0)
	v_add_f32_e32 v5, v3, v5
	v_cmp_lt_u32_e64 s[0:1], v7, v6
	v_cndmask_b32_e64 v7, 0, 2, s[2:3]
	v_cndmask_b32_e64 v5, v3, v5, s[0:1]
	v_add_lshl_u32 v7, v7, v2, 2
	ds_bpermute_b32 v7, v7, v5
	v_add_u32_e32 v8, 2, v4
	v_cmp_lt_u32_e64 s[2:3], v8, v6
	v_add_u32_e32 v8, 4, v4
	s_waitcnt lgkmcnt(0)
	v_add_f32_e32 v7, v5, v7
	v_cndmask_b32_e64 v5, v5, v7, s[2:3]
	v_cmp_gt_u32_e64 s[2:3], 60, v4
	v_cndmask_b32_e64 v7, 0, 4, s[2:3]
	v_add_lshl_u32 v7, v7, v2, 2
	ds_bpermute_b32 v7, v7, v5
	v_cmp_lt_u32_e64 s[2:3], v8, v6
	v_add_u32_e32 v8, 8, v4
	s_waitcnt lgkmcnt(0)
	v_add_f32_e32 v7, v5, v7
	v_cndmask_b32_e64 v5, v5, v7, s[2:3]
	v_cmp_gt_u32_e64 s[2:3], 56, v4
	v_cndmask_b32_e64 v7, 0, 8, s[2:3]
	v_add_lshl_u32 v7, v7, v2, 2
	ds_bpermute_b32 v7, v7, v5
	;; [unrolled: 9-line block ×3, first 2 shown]
	v_cmp_lt_u32_e64 s[2:3], v8, v6
	v_add_u32_e32 v4, 32, v4
	s_waitcnt lgkmcnt(0)
	v_add_f32_e32 v7, v5, v7
	v_cndmask_b32_e64 v5, v5, v7, s[2:3]
	v_or_b32_e32 v7, 0x80, v1
	ds_bpermute_b32 v7, v7, v5
	v_cmp_lt_u32_e64 s[2:3], v4, v6
	s_waitcnt lgkmcnt(0)
	v_add_f32_e32 v7, v5, v7
	v_cndmask_b32_e64 v4, v5, v7, s[2:3]
	v_cndmask_b32_e64 v4, v3, v4, s[0:1]
	s_and_saveexec_b64 s[0:1], vcc
; %bb.54:
	v_lshrrev_b32_e32 v5, 4, v0
	v_and_b32_e32 v5, 12, v5
	ds_write_b32 v5, v4
; %bb.55:
	s_or_b64 exec, exec, s[0:1]
	v_cmp_gt_u32_e32 vcc, 4, v0
	s_waitcnt lgkmcnt(0)
	s_barrier
	s_and_saveexec_b64 s[2:3], vcc
	s_cbranch_execz .LBB56_57
; %bb.56:
	ds_read_b32 v4, v1
	v_and_b32_e32 v5, 3, v2
	v_cmp_ne_u32_e32 vcc, 3, v5
	v_addc_co_u32_e32 v6, vcc, 0, v2, vcc
	v_lshlrev_b32_e32 v6, 2, v6
	s_waitcnt lgkmcnt(0)
	ds_bpermute_b32 v6, v6, v4
	s_add_i32 s6, s6, 63
	s_lshr_b32 s0, s6, 6
	v_add_u32_e32 v7, 1, v5
	v_cmp_gt_u32_e32 vcc, s0, v7
	s_waitcnt lgkmcnt(0)
	v_add_f32_e32 v6, v4, v6
	v_cndmask_b32_e32 v6, v4, v6, vcc
	v_or_b32_e32 v7, 8, v1
	ds_bpermute_b32 v7, v7, v6
	v_add_u32_e32 v5, 2, v5
	v_cmp_gt_u32_e64 s[0:1], s0, v5
	s_waitcnt lgkmcnt(0)
	v_add_f32_e32 v7, v6, v7
	v_cndmask_b32_e64 v5, v6, v7, s[0:1]
	v_cndmask_b32_e32 v4, v4, v5, vcc
.LBB56_57:
	s_or_b64 exec, exec, s[2:3]
	s_branch .LBB56_64
.LBB56_58:
                                        ; implicit-def: $vgpr4
	s_cbranch_execz .LBB56_64
; %bb.59:
	s_waitcnt vmcnt(0)
	v_add_f32_dpp v3, v3, v3 quad_perm:[1,0,3,2] row_mask:0xf bank_mask:0xf bound_ctrl:1
	v_or_b32_e32 v4, 0xfc, v1
	v_cmp_eq_u32_e32 vcc, 0, v2
	v_add_f32_dpp v3, v3, v3 quad_perm:[2,3,0,1] row_mask:0xf bank_mask:0xf bound_ctrl:1
	s_nop 1
	v_add_f32_dpp v3, v3, v3 row_ror:4 row_mask:0xf bank_mask:0xf bound_ctrl:1
	s_nop 1
	v_add_f32_dpp v3, v3, v3 row_ror:8 row_mask:0xf bank_mask:0xf bound_ctrl:1
	s_nop 1
	v_add_f32_dpp v3, v3, v3 row_bcast:15 row_mask:0xf bank_mask:0xf bound_ctrl:1
	s_nop 1
	v_add_f32_dpp v3, v3, v3 row_bcast:31 row_mask:0xf bank_mask:0xf bound_ctrl:1
	ds_bpermute_b32 v4, v4, v3
	s_and_saveexec_b64 s[0:1], vcc
	s_cbranch_execz .LBB56_61
; %bb.60:
	v_lshrrev_b32_e32 v3, 4, v0
	v_and_b32_e32 v3, 12, v3
	s_waitcnt lgkmcnt(0)
	ds_write_b32 v3, v4
.LBB56_61:
	s_or_b64 exec, exec, s[0:1]
	v_cmp_gt_u32_e32 vcc, 64, v0
	s_waitcnt lgkmcnt(0)
	s_barrier
	s_and_saveexec_b64 s[0:1], vcc
	s_cbranch_execz .LBB56_63
; %bb.62:
	v_and_b32_e32 v3, 3, v2
	v_lshlrev_b32_e32 v4, 2, v3
	ds_read_b32 v4, v4
	v_cmp_ne_u32_e32 vcc, 3, v3
	v_addc_co_u32_e32 v2, vcc, 0, v2, vcc
	v_lshlrev_b32_e32 v2, 2, v2
	s_waitcnt lgkmcnt(0)
	ds_bpermute_b32 v2, v2, v4
	v_or_b32_e32 v1, 8, v1
	s_waitcnt lgkmcnt(0)
	v_add_f32_e32 v2, v4, v2
	ds_bpermute_b32 v1, v1, v2
	s_waitcnt lgkmcnt(0)
	v_add_f32_e32 v4, v2, v1
.LBB56_63:
	s_or_b64 exec, exec, s[0:1]
.LBB56_64:
	v_cmp_eq_u32_e32 vcc, 0, v0
                                        ; implicit-def: $vgpr1
	s_and_saveexec_b64 s[0:1], vcc
; %bb.65:
	v_add_f32_e32 v1, s33, v4
	s_or_b64 s[40:41], s[40:41], exec
; %bb.66:
	s_or_b64 exec, exec, s[0:1]
	s_and_saveexec_b64 s[0:1], s[40:41]
	s_cbranch_execz .LBB56_68
.LBB56_67:
	s_add_u32 s0, s38, s30
	s_addc_u32 s1, s39, s31
	s_add_u32 s0, s0, s34
	s_addc_u32 s1, s1, s35
	v_mov_b32_e32 v0, 0
	global_store_dword v0, v1, s[0:1]
.LBB56_68:
	s_endpgm
	.section	.rodata,"a",@progbits
	.p2align	6, 0x0
	.amdhsa_kernel _ZN7rocprim17ROCPRIM_400000_NS6detail17trampoline_kernelINS0_14default_configENS1_32segmented_reduce_config_selectorIfEEZNS1_21segmented_reduce_implIS3_PKfPfPKifN6hipcub16HIPCUB_304000_NS6detail27convert_result_type_wrapperIS8_S9_N2at6native12_GLOBAL__N_19CustomSumEEEEE10hipError_tPvRmT0_T1_jT2_SQ_T4_T3_P12ihipStream_tbEUlT_E_NS1_11comp_targetILNS1_3genE2ELNS1_11target_archE906ELNS1_3gpuE6ELNS1_3repE0EEENS1_30default_config_static_selectorELNS0_4arch9wavefront6targetE1EEEvSP_
		.amdhsa_group_segment_fixed_size 16
		.amdhsa_private_segment_fixed_size 0
		.amdhsa_kernarg_size 48
		.amdhsa_user_sgpr_count 6
		.amdhsa_user_sgpr_private_segment_buffer 1
		.amdhsa_user_sgpr_dispatch_ptr 0
		.amdhsa_user_sgpr_queue_ptr 0
		.amdhsa_user_sgpr_kernarg_segment_ptr 1
		.amdhsa_user_sgpr_dispatch_id 0
		.amdhsa_user_sgpr_flat_scratch_init 0
		.amdhsa_user_sgpr_private_segment_size 0
		.amdhsa_uses_dynamic_stack 0
		.amdhsa_system_sgpr_private_segment_wavefront_offset 0
		.amdhsa_system_sgpr_workgroup_id_x 1
		.amdhsa_system_sgpr_workgroup_id_y 0
		.amdhsa_system_sgpr_workgroup_id_z 0
		.amdhsa_system_sgpr_workgroup_info 0
		.amdhsa_system_vgpr_workitem_id 0
		.amdhsa_next_free_vgpr 23
		.amdhsa_next_free_sgpr 49
		.amdhsa_reserve_vcc 1
		.amdhsa_reserve_flat_scratch 0
		.amdhsa_float_round_mode_32 0
		.amdhsa_float_round_mode_16_64 0
		.amdhsa_float_denorm_mode_32 3
		.amdhsa_float_denorm_mode_16_64 3
		.amdhsa_dx10_clamp 1
		.amdhsa_ieee_mode 1
		.amdhsa_fp16_overflow 0
		.amdhsa_exception_fp_ieee_invalid_op 0
		.amdhsa_exception_fp_denorm_src 0
		.amdhsa_exception_fp_ieee_div_zero 0
		.amdhsa_exception_fp_ieee_overflow 0
		.amdhsa_exception_fp_ieee_underflow 0
		.amdhsa_exception_fp_ieee_inexact 0
		.amdhsa_exception_int_div_zero 0
	.end_amdhsa_kernel
	.section	.text._ZN7rocprim17ROCPRIM_400000_NS6detail17trampoline_kernelINS0_14default_configENS1_32segmented_reduce_config_selectorIfEEZNS1_21segmented_reduce_implIS3_PKfPfPKifN6hipcub16HIPCUB_304000_NS6detail27convert_result_type_wrapperIS8_S9_N2at6native12_GLOBAL__N_19CustomSumEEEEE10hipError_tPvRmT0_T1_jT2_SQ_T4_T3_P12ihipStream_tbEUlT_E_NS1_11comp_targetILNS1_3genE2ELNS1_11target_archE906ELNS1_3gpuE6ELNS1_3repE0EEENS1_30default_config_static_selectorELNS0_4arch9wavefront6targetE1EEEvSP_,"axG",@progbits,_ZN7rocprim17ROCPRIM_400000_NS6detail17trampoline_kernelINS0_14default_configENS1_32segmented_reduce_config_selectorIfEEZNS1_21segmented_reduce_implIS3_PKfPfPKifN6hipcub16HIPCUB_304000_NS6detail27convert_result_type_wrapperIS8_S9_N2at6native12_GLOBAL__N_19CustomSumEEEEE10hipError_tPvRmT0_T1_jT2_SQ_T4_T3_P12ihipStream_tbEUlT_E_NS1_11comp_targetILNS1_3genE2ELNS1_11target_archE906ELNS1_3gpuE6ELNS1_3repE0EEENS1_30default_config_static_selectorELNS0_4arch9wavefront6targetE1EEEvSP_,comdat
.Lfunc_end56:
	.size	_ZN7rocprim17ROCPRIM_400000_NS6detail17trampoline_kernelINS0_14default_configENS1_32segmented_reduce_config_selectorIfEEZNS1_21segmented_reduce_implIS3_PKfPfPKifN6hipcub16HIPCUB_304000_NS6detail27convert_result_type_wrapperIS8_S9_N2at6native12_GLOBAL__N_19CustomSumEEEEE10hipError_tPvRmT0_T1_jT2_SQ_T4_T3_P12ihipStream_tbEUlT_E_NS1_11comp_targetILNS1_3genE2ELNS1_11target_archE906ELNS1_3gpuE6ELNS1_3repE0EEENS1_30default_config_static_selectorELNS0_4arch9wavefront6targetE1EEEvSP_, .Lfunc_end56-_ZN7rocprim17ROCPRIM_400000_NS6detail17trampoline_kernelINS0_14default_configENS1_32segmented_reduce_config_selectorIfEEZNS1_21segmented_reduce_implIS3_PKfPfPKifN6hipcub16HIPCUB_304000_NS6detail27convert_result_type_wrapperIS8_S9_N2at6native12_GLOBAL__N_19CustomSumEEEEE10hipError_tPvRmT0_T1_jT2_SQ_T4_T3_P12ihipStream_tbEUlT_E_NS1_11comp_targetILNS1_3genE2ELNS1_11target_archE906ELNS1_3gpuE6ELNS1_3repE0EEENS1_30default_config_static_selectorELNS0_4arch9wavefront6targetE1EEEvSP_
                                        ; -- End function
	.set _ZN7rocprim17ROCPRIM_400000_NS6detail17trampoline_kernelINS0_14default_configENS1_32segmented_reduce_config_selectorIfEEZNS1_21segmented_reduce_implIS3_PKfPfPKifN6hipcub16HIPCUB_304000_NS6detail27convert_result_type_wrapperIS8_S9_N2at6native12_GLOBAL__N_19CustomSumEEEEE10hipError_tPvRmT0_T1_jT2_SQ_T4_T3_P12ihipStream_tbEUlT_E_NS1_11comp_targetILNS1_3genE2ELNS1_11target_archE906ELNS1_3gpuE6ELNS1_3repE0EEENS1_30default_config_static_selectorELNS0_4arch9wavefront6targetE1EEEvSP_.num_vgpr, 23
	.set _ZN7rocprim17ROCPRIM_400000_NS6detail17trampoline_kernelINS0_14default_configENS1_32segmented_reduce_config_selectorIfEEZNS1_21segmented_reduce_implIS3_PKfPfPKifN6hipcub16HIPCUB_304000_NS6detail27convert_result_type_wrapperIS8_S9_N2at6native12_GLOBAL__N_19CustomSumEEEEE10hipError_tPvRmT0_T1_jT2_SQ_T4_T3_P12ihipStream_tbEUlT_E_NS1_11comp_targetILNS1_3genE2ELNS1_11target_archE906ELNS1_3gpuE6ELNS1_3repE0EEENS1_30default_config_static_selectorELNS0_4arch9wavefront6targetE1EEEvSP_.num_agpr, 0
	.set _ZN7rocprim17ROCPRIM_400000_NS6detail17trampoline_kernelINS0_14default_configENS1_32segmented_reduce_config_selectorIfEEZNS1_21segmented_reduce_implIS3_PKfPfPKifN6hipcub16HIPCUB_304000_NS6detail27convert_result_type_wrapperIS8_S9_N2at6native12_GLOBAL__N_19CustomSumEEEEE10hipError_tPvRmT0_T1_jT2_SQ_T4_T3_P12ihipStream_tbEUlT_E_NS1_11comp_targetILNS1_3genE2ELNS1_11target_archE906ELNS1_3gpuE6ELNS1_3repE0EEENS1_30default_config_static_selectorELNS0_4arch9wavefront6targetE1EEEvSP_.numbered_sgpr, 49
	.set _ZN7rocprim17ROCPRIM_400000_NS6detail17trampoline_kernelINS0_14default_configENS1_32segmented_reduce_config_selectorIfEEZNS1_21segmented_reduce_implIS3_PKfPfPKifN6hipcub16HIPCUB_304000_NS6detail27convert_result_type_wrapperIS8_S9_N2at6native12_GLOBAL__N_19CustomSumEEEEE10hipError_tPvRmT0_T1_jT2_SQ_T4_T3_P12ihipStream_tbEUlT_E_NS1_11comp_targetILNS1_3genE2ELNS1_11target_archE906ELNS1_3gpuE6ELNS1_3repE0EEENS1_30default_config_static_selectorELNS0_4arch9wavefront6targetE1EEEvSP_.num_named_barrier, 0
	.set _ZN7rocprim17ROCPRIM_400000_NS6detail17trampoline_kernelINS0_14default_configENS1_32segmented_reduce_config_selectorIfEEZNS1_21segmented_reduce_implIS3_PKfPfPKifN6hipcub16HIPCUB_304000_NS6detail27convert_result_type_wrapperIS8_S9_N2at6native12_GLOBAL__N_19CustomSumEEEEE10hipError_tPvRmT0_T1_jT2_SQ_T4_T3_P12ihipStream_tbEUlT_E_NS1_11comp_targetILNS1_3genE2ELNS1_11target_archE906ELNS1_3gpuE6ELNS1_3repE0EEENS1_30default_config_static_selectorELNS0_4arch9wavefront6targetE1EEEvSP_.private_seg_size, 0
	.set _ZN7rocprim17ROCPRIM_400000_NS6detail17trampoline_kernelINS0_14default_configENS1_32segmented_reduce_config_selectorIfEEZNS1_21segmented_reduce_implIS3_PKfPfPKifN6hipcub16HIPCUB_304000_NS6detail27convert_result_type_wrapperIS8_S9_N2at6native12_GLOBAL__N_19CustomSumEEEEE10hipError_tPvRmT0_T1_jT2_SQ_T4_T3_P12ihipStream_tbEUlT_E_NS1_11comp_targetILNS1_3genE2ELNS1_11target_archE906ELNS1_3gpuE6ELNS1_3repE0EEENS1_30default_config_static_selectorELNS0_4arch9wavefront6targetE1EEEvSP_.uses_vcc, 1
	.set _ZN7rocprim17ROCPRIM_400000_NS6detail17trampoline_kernelINS0_14default_configENS1_32segmented_reduce_config_selectorIfEEZNS1_21segmented_reduce_implIS3_PKfPfPKifN6hipcub16HIPCUB_304000_NS6detail27convert_result_type_wrapperIS8_S9_N2at6native12_GLOBAL__N_19CustomSumEEEEE10hipError_tPvRmT0_T1_jT2_SQ_T4_T3_P12ihipStream_tbEUlT_E_NS1_11comp_targetILNS1_3genE2ELNS1_11target_archE906ELNS1_3gpuE6ELNS1_3repE0EEENS1_30default_config_static_selectorELNS0_4arch9wavefront6targetE1EEEvSP_.uses_flat_scratch, 0
	.set _ZN7rocprim17ROCPRIM_400000_NS6detail17trampoline_kernelINS0_14default_configENS1_32segmented_reduce_config_selectorIfEEZNS1_21segmented_reduce_implIS3_PKfPfPKifN6hipcub16HIPCUB_304000_NS6detail27convert_result_type_wrapperIS8_S9_N2at6native12_GLOBAL__N_19CustomSumEEEEE10hipError_tPvRmT0_T1_jT2_SQ_T4_T3_P12ihipStream_tbEUlT_E_NS1_11comp_targetILNS1_3genE2ELNS1_11target_archE906ELNS1_3gpuE6ELNS1_3repE0EEENS1_30default_config_static_selectorELNS0_4arch9wavefront6targetE1EEEvSP_.has_dyn_sized_stack, 0
	.set _ZN7rocprim17ROCPRIM_400000_NS6detail17trampoline_kernelINS0_14default_configENS1_32segmented_reduce_config_selectorIfEEZNS1_21segmented_reduce_implIS3_PKfPfPKifN6hipcub16HIPCUB_304000_NS6detail27convert_result_type_wrapperIS8_S9_N2at6native12_GLOBAL__N_19CustomSumEEEEE10hipError_tPvRmT0_T1_jT2_SQ_T4_T3_P12ihipStream_tbEUlT_E_NS1_11comp_targetILNS1_3genE2ELNS1_11target_archE906ELNS1_3gpuE6ELNS1_3repE0EEENS1_30default_config_static_selectorELNS0_4arch9wavefront6targetE1EEEvSP_.has_recursion, 0
	.set _ZN7rocprim17ROCPRIM_400000_NS6detail17trampoline_kernelINS0_14default_configENS1_32segmented_reduce_config_selectorIfEEZNS1_21segmented_reduce_implIS3_PKfPfPKifN6hipcub16HIPCUB_304000_NS6detail27convert_result_type_wrapperIS8_S9_N2at6native12_GLOBAL__N_19CustomSumEEEEE10hipError_tPvRmT0_T1_jT2_SQ_T4_T3_P12ihipStream_tbEUlT_E_NS1_11comp_targetILNS1_3genE2ELNS1_11target_archE906ELNS1_3gpuE6ELNS1_3repE0EEENS1_30default_config_static_selectorELNS0_4arch9wavefront6targetE1EEEvSP_.has_indirect_call, 0
	.section	.AMDGPU.csdata,"",@progbits
; Kernel info:
; codeLenInByte = 2848
; TotalNumSgprs: 53
; NumVgprs: 23
; ScratchSize: 0
; MemoryBound: 0
; FloatMode: 240
; IeeeMode: 1
; LDSByteSize: 16 bytes/workgroup (compile time only)
; SGPRBlocks: 6
; VGPRBlocks: 5
; NumSGPRsForWavesPerEU: 53
; NumVGPRsForWavesPerEU: 23
; Occupancy: 10
; WaveLimiterHint : 1
; COMPUTE_PGM_RSRC2:SCRATCH_EN: 0
; COMPUTE_PGM_RSRC2:USER_SGPR: 6
; COMPUTE_PGM_RSRC2:TRAP_HANDLER: 0
; COMPUTE_PGM_RSRC2:TGID_X_EN: 1
; COMPUTE_PGM_RSRC2:TGID_Y_EN: 0
; COMPUTE_PGM_RSRC2:TGID_Z_EN: 0
; COMPUTE_PGM_RSRC2:TIDIG_COMP_CNT: 0
	.section	.text._ZN7rocprim17ROCPRIM_400000_NS6detail17trampoline_kernelINS0_14default_configENS1_32segmented_reduce_config_selectorIfEEZNS1_21segmented_reduce_implIS3_PKfPfPKifN6hipcub16HIPCUB_304000_NS6detail27convert_result_type_wrapperIS8_S9_N2at6native12_GLOBAL__N_19CustomSumEEEEE10hipError_tPvRmT0_T1_jT2_SQ_T4_T3_P12ihipStream_tbEUlT_E_NS1_11comp_targetILNS1_3genE9ELNS1_11target_archE1100ELNS1_3gpuE3ELNS1_3repE0EEENS1_30default_config_static_selectorELNS0_4arch9wavefront6targetE1EEEvSP_,"axG",@progbits,_ZN7rocprim17ROCPRIM_400000_NS6detail17trampoline_kernelINS0_14default_configENS1_32segmented_reduce_config_selectorIfEEZNS1_21segmented_reduce_implIS3_PKfPfPKifN6hipcub16HIPCUB_304000_NS6detail27convert_result_type_wrapperIS8_S9_N2at6native12_GLOBAL__N_19CustomSumEEEEE10hipError_tPvRmT0_T1_jT2_SQ_T4_T3_P12ihipStream_tbEUlT_E_NS1_11comp_targetILNS1_3genE9ELNS1_11target_archE1100ELNS1_3gpuE3ELNS1_3repE0EEENS1_30default_config_static_selectorELNS0_4arch9wavefront6targetE1EEEvSP_,comdat
	.globl	_ZN7rocprim17ROCPRIM_400000_NS6detail17trampoline_kernelINS0_14default_configENS1_32segmented_reduce_config_selectorIfEEZNS1_21segmented_reduce_implIS3_PKfPfPKifN6hipcub16HIPCUB_304000_NS6detail27convert_result_type_wrapperIS8_S9_N2at6native12_GLOBAL__N_19CustomSumEEEEE10hipError_tPvRmT0_T1_jT2_SQ_T4_T3_P12ihipStream_tbEUlT_E_NS1_11comp_targetILNS1_3genE9ELNS1_11target_archE1100ELNS1_3gpuE3ELNS1_3repE0EEENS1_30default_config_static_selectorELNS0_4arch9wavefront6targetE1EEEvSP_ ; -- Begin function _ZN7rocprim17ROCPRIM_400000_NS6detail17trampoline_kernelINS0_14default_configENS1_32segmented_reduce_config_selectorIfEEZNS1_21segmented_reduce_implIS3_PKfPfPKifN6hipcub16HIPCUB_304000_NS6detail27convert_result_type_wrapperIS8_S9_N2at6native12_GLOBAL__N_19CustomSumEEEEE10hipError_tPvRmT0_T1_jT2_SQ_T4_T3_P12ihipStream_tbEUlT_E_NS1_11comp_targetILNS1_3genE9ELNS1_11target_archE1100ELNS1_3gpuE3ELNS1_3repE0EEENS1_30default_config_static_selectorELNS0_4arch9wavefront6targetE1EEEvSP_
	.p2align	8
	.type	_ZN7rocprim17ROCPRIM_400000_NS6detail17trampoline_kernelINS0_14default_configENS1_32segmented_reduce_config_selectorIfEEZNS1_21segmented_reduce_implIS3_PKfPfPKifN6hipcub16HIPCUB_304000_NS6detail27convert_result_type_wrapperIS8_S9_N2at6native12_GLOBAL__N_19CustomSumEEEEE10hipError_tPvRmT0_T1_jT2_SQ_T4_T3_P12ihipStream_tbEUlT_E_NS1_11comp_targetILNS1_3genE9ELNS1_11target_archE1100ELNS1_3gpuE3ELNS1_3repE0EEENS1_30default_config_static_selectorELNS0_4arch9wavefront6targetE1EEEvSP_,@function
_ZN7rocprim17ROCPRIM_400000_NS6detail17trampoline_kernelINS0_14default_configENS1_32segmented_reduce_config_selectorIfEEZNS1_21segmented_reduce_implIS3_PKfPfPKifN6hipcub16HIPCUB_304000_NS6detail27convert_result_type_wrapperIS8_S9_N2at6native12_GLOBAL__N_19CustomSumEEEEE10hipError_tPvRmT0_T1_jT2_SQ_T4_T3_P12ihipStream_tbEUlT_E_NS1_11comp_targetILNS1_3genE9ELNS1_11target_archE1100ELNS1_3gpuE3ELNS1_3repE0EEENS1_30default_config_static_selectorELNS0_4arch9wavefront6targetE1EEEvSP_: ; @_ZN7rocprim17ROCPRIM_400000_NS6detail17trampoline_kernelINS0_14default_configENS1_32segmented_reduce_config_selectorIfEEZNS1_21segmented_reduce_implIS3_PKfPfPKifN6hipcub16HIPCUB_304000_NS6detail27convert_result_type_wrapperIS8_S9_N2at6native12_GLOBAL__N_19CustomSumEEEEE10hipError_tPvRmT0_T1_jT2_SQ_T4_T3_P12ihipStream_tbEUlT_E_NS1_11comp_targetILNS1_3genE9ELNS1_11target_archE1100ELNS1_3gpuE3ELNS1_3repE0EEENS1_30default_config_static_selectorELNS0_4arch9wavefront6targetE1EEEvSP_
; %bb.0:
	.section	.rodata,"a",@progbits
	.p2align	6, 0x0
	.amdhsa_kernel _ZN7rocprim17ROCPRIM_400000_NS6detail17trampoline_kernelINS0_14default_configENS1_32segmented_reduce_config_selectorIfEEZNS1_21segmented_reduce_implIS3_PKfPfPKifN6hipcub16HIPCUB_304000_NS6detail27convert_result_type_wrapperIS8_S9_N2at6native12_GLOBAL__N_19CustomSumEEEEE10hipError_tPvRmT0_T1_jT2_SQ_T4_T3_P12ihipStream_tbEUlT_E_NS1_11comp_targetILNS1_3genE9ELNS1_11target_archE1100ELNS1_3gpuE3ELNS1_3repE0EEENS1_30default_config_static_selectorELNS0_4arch9wavefront6targetE1EEEvSP_
		.amdhsa_group_segment_fixed_size 0
		.amdhsa_private_segment_fixed_size 0
		.amdhsa_kernarg_size 48
		.amdhsa_user_sgpr_count 6
		.amdhsa_user_sgpr_private_segment_buffer 1
		.amdhsa_user_sgpr_dispatch_ptr 0
		.amdhsa_user_sgpr_queue_ptr 0
		.amdhsa_user_sgpr_kernarg_segment_ptr 1
		.amdhsa_user_sgpr_dispatch_id 0
		.amdhsa_user_sgpr_flat_scratch_init 0
		.amdhsa_user_sgpr_private_segment_size 0
		.amdhsa_uses_dynamic_stack 0
		.amdhsa_system_sgpr_private_segment_wavefront_offset 0
		.amdhsa_system_sgpr_workgroup_id_x 1
		.amdhsa_system_sgpr_workgroup_id_y 0
		.amdhsa_system_sgpr_workgroup_id_z 0
		.amdhsa_system_sgpr_workgroup_info 0
		.amdhsa_system_vgpr_workitem_id 0
		.amdhsa_next_free_vgpr 1
		.amdhsa_next_free_sgpr 0
		.amdhsa_reserve_vcc 0
		.amdhsa_reserve_flat_scratch 0
		.amdhsa_float_round_mode_32 0
		.amdhsa_float_round_mode_16_64 0
		.amdhsa_float_denorm_mode_32 3
		.amdhsa_float_denorm_mode_16_64 3
		.amdhsa_dx10_clamp 1
		.amdhsa_ieee_mode 1
		.amdhsa_fp16_overflow 0
		.amdhsa_exception_fp_ieee_invalid_op 0
		.amdhsa_exception_fp_denorm_src 0
		.amdhsa_exception_fp_ieee_div_zero 0
		.amdhsa_exception_fp_ieee_overflow 0
		.amdhsa_exception_fp_ieee_underflow 0
		.amdhsa_exception_fp_ieee_inexact 0
		.amdhsa_exception_int_div_zero 0
	.end_amdhsa_kernel
	.section	.text._ZN7rocprim17ROCPRIM_400000_NS6detail17trampoline_kernelINS0_14default_configENS1_32segmented_reduce_config_selectorIfEEZNS1_21segmented_reduce_implIS3_PKfPfPKifN6hipcub16HIPCUB_304000_NS6detail27convert_result_type_wrapperIS8_S9_N2at6native12_GLOBAL__N_19CustomSumEEEEE10hipError_tPvRmT0_T1_jT2_SQ_T4_T3_P12ihipStream_tbEUlT_E_NS1_11comp_targetILNS1_3genE9ELNS1_11target_archE1100ELNS1_3gpuE3ELNS1_3repE0EEENS1_30default_config_static_selectorELNS0_4arch9wavefront6targetE1EEEvSP_,"axG",@progbits,_ZN7rocprim17ROCPRIM_400000_NS6detail17trampoline_kernelINS0_14default_configENS1_32segmented_reduce_config_selectorIfEEZNS1_21segmented_reduce_implIS3_PKfPfPKifN6hipcub16HIPCUB_304000_NS6detail27convert_result_type_wrapperIS8_S9_N2at6native12_GLOBAL__N_19CustomSumEEEEE10hipError_tPvRmT0_T1_jT2_SQ_T4_T3_P12ihipStream_tbEUlT_E_NS1_11comp_targetILNS1_3genE9ELNS1_11target_archE1100ELNS1_3gpuE3ELNS1_3repE0EEENS1_30default_config_static_selectorELNS0_4arch9wavefront6targetE1EEEvSP_,comdat
.Lfunc_end57:
	.size	_ZN7rocprim17ROCPRIM_400000_NS6detail17trampoline_kernelINS0_14default_configENS1_32segmented_reduce_config_selectorIfEEZNS1_21segmented_reduce_implIS3_PKfPfPKifN6hipcub16HIPCUB_304000_NS6detail27convert_result_type_wrapperIS8_S9_N2at6native12_GLOBAL__N_19CustomSumEEEEE10hipError_tPvRmT0_T1_jT2_SQ_T4_T3_P12ihipStream_tbEUlT_E_NS1_11comp_targetILNS1_3genE9ELNS1_11target_archE1100ELNS1_3gpuE3ELNS1_3repE0EEENS1_30default_config_static_selectorELNS0_4arch9wavefront6targetE1EEEvSP_, .Lfunc_end57-_ZN7rocprim17ROCPRIM_400000_NS6detail17trampoline_kernelINS0_14default_configENS1_32segmented_reduce_config_selectorIfEEZNS1_21segmented_reduce_implIS3_PKfPfPKifN6hipcub16HIPCUB_304000_NS6detail27convert_result_type_wrapperIS8_S9_N2at6native12_GLOBAL__N_19CustomSumEEEEE10hipError_tPvRmT0_T1_jT2_SQ_T4_T3_P12ihipStream_tbEUlT_E_NS1_11comp_targetILNS1_3genE9ELNS1_11target_archE1100ELNS1_3gpuE3ELNS1_3repE0EEENS1_30default_config_static_selectorELNS0_4arch9wavefront6targetE1EEEvSP_
                                        ; -- End function
	.set _ZN7rocprim17ROCPRIM_400000_NS6detail17trampoline_kernelINS0_14default_configENS1_32segmented_reduce_config_selectorIfEEZNS1_21segmented_reduce_implIS3_PKfPfPKifN6hipcub16HIPCUB_304000_NS6detail27convert_result_type_wrapperIS8_S9_N2at6native12_GLOBAL__N_19CustomSumEEEEE10hipError_tPvRmT0_T1_jT2_SQ_T4_T3_P12ihipStream_tbEUlT_E_NS1_11comp_targetILNS1_3genE9ELNS1_11target_archE1100ELNS1_3gpuE3ELNS1_3repE0EEENS1_30default_config_static_selectorELNS0_4arch9wavefront6targetE1EEEvSP_.num_vgpr, 0
	.set _ZN7rocprim17ROCPRIM_400000_NS6detail17trampoline_kernelINS0_14default_configENS1_32segmented_reduce_config_selectorIfEEZNS1_21segmented_reduce_implIS3_PKfPfPKifN6hipcub16HIPCUB_304000_NS6detail27convert_result_type_wrapperIS8_S9_N2at6native12_GLOBAL__N_19CustomSumEEEEE10hipError_tPvRmT0_T1_jT2_SQ_T4_T3_P12ihipStream_tbEUlT_E_NS1_11comp_targetILNS1_3genE9ELNS1_11target_archE1100ELNS1_3gpuE3ELNS1_3repE0EEENS1_30default_config_static_selectorELNS0_4arch9wavefront6targetE1EEEvSP_.num_agpr, 0
	.set _ZN7rocprim17ROCPRIM_400000_NS6detail17trampoline_kernelINS0_14default_configENS1_32segmented_reduce_config_selectorIfEEZNS1_21segmented_reduce_implIS3_PKfPfPKifN6hipcub16HIPCUB_304000_NS6detail27convert_result_type_wrapperIS8_S9_N2at6native12_GLOBAL__N_19CustomSumEEEEE10hipError_tPvRmT0_T1_jT2_SQ_T4_T3_P12ihipStream_tbEUlT_E_NS1_11comp_targetILNS1_3genE9ELNS1_11target_archE1100ELNS1_3gpuE3ELNS1_3repE0EEENS1_30default_config_static_selectorELNS0_4arch9wavefront6targetE1EEEvSP_.numbered_sgpr, 0
	.set _ZN7rocprim17ROCPRIM_400000_NS6detail17trampoline_kernelINS0_14default_configENS1_32segmented_reduce_config_selectorIfEEZNS1_21segmented_reduce_implIS3_PKfPfPKifN6hipcub16HIPCUB_304000_NS6detail27convert_result_type_wrapperIS8_S9_N2at6native12_GLOBAL__N_19CustomSumEEEEE10hipError_tPvRmT0_T1_jT2_SQ_T4_T3_P12ihipStream_tbEUlT_E_NS1_11comp_targetILNS1_3genE9ELNS1_11target_archE1100ELNS1_3gpuE3ELNS1_3repE0EEENS1_30default_config_static_selectorELNS0_4arch9wavefront6targetE1EEEvSP_.num_named_barrier, 0
	.set _ZN7rocprim17ROCPRIM_400000_NS6detail17trampoline_kernelINS0_14default_configENS1_32segmented_reduce_config_selectorIfEEZNS1_21segmented_reduce_implIS3_PKfPfPKifN6hipcub16HIPCUB_304000_NS6detail27convert_result_type_wrapperIS8_S9_N2at6native12_GLOBAL__N_19CustomSumEEEEE10hipError_tPvRmT0_T1_jT2_SQ_T4_T3_P12ihipStream_tbEUlT_E_NS1_11comp_targetILNS1_3genE9ELNS1_11target_archE1100ELNS1_3gpuE3ELNS1_3repE0EEENS1_30default_config_static_selectorELNS0_4arch9wavefront6targetE1EEEvSP_.private_seg_size, 0
	.set _ZN7rocprim17ROCPRIM_400000_NS6detail17trampoline_kernelINS0_14default_configENS1_32segmented_reduce_config_selectorIfEEZNS1_21segmented_reduce_implIS3_PKfPfPKifN6hipcub16HIPCUB_304000_NS6detail27convert_result_type_wrapperIS8_S9_N2at6native12_GLOBAL__N_19CustomSumEEEEE10hipError_tPvRmT0_T1_jT2_SQ_T4_T3_P12ihipStream_tbEUlT_E_NS1_11comp_targetILNS1_3genE9ELNS1_11target_archE1100ELNS1_3gpuE3ELNS1_3repE0EEENS1_30default_config_static_selectorELNS0_4arch9wavefront6targetE1EEEvSP_.uses_vcc, 0
	.set _ZN7rocprim17ROCPRIM_400000_NS6detail17trampoline_kernelINS0_14default_configENS1_32segmented_reduce_config_selectorIfEEZNS1_21segmented_reduce_implIS3_PKfPfPKifN6hipcub16HIPCUB_304000_NS6detail27convert_result_type_wrapperIS8_S9_N2at6native12_GLOBAL__N_19CustomSumEEEEE10hipError_tPvRmT0_T1_jT2_SQ_T4_T3_P12ihipStream_tbEUlT_E_NS1_11comp_targetILNS1_3genE9ELNS1_11target_archE1100ELNS1_3gpuE3ELNS1_3repE0EEENS1_30default_config_static_selectorELNS0_4arch9wavefront6targetE1EEEvSP_.uses_flat_scratch, 0
	.set _ZN7rocprim17ROCPRIM_400000_NS6detail17trampoline_kernelINS0_14default_configENS1_32segmented_reduce_config_selectorIfEEZNS1_21segmented_reduce_implIS3_PKfPfPKifN6hipcub16HIPCUB_304000_NS6detail27convert_result_type_wrapperIS8_S9_N2at6native12_GLOBAL__N_19CustomSumEEEEE10hipError_tPvRmT0_T1_jT2_SQ_T4_T3_P12ihipStream_tbEUlT_E_NS1_11comp_targetILNS1_3genE9ELNS1_11target_archE1100ELNS1_3gpuE3ELNS1_3repE0EEENS1_30default_config_static_selectorELNS0_4arch9wavefront6targetE1EEEvSP_.has_dyn_sized_stack, 0
	.set _ZN7rocprim17ROCPRIM_400000_NS6detail17trampoline_kernelINS0_14default_configENS1_32segmented_reduce_config_selectorIfEEZNS1_21segmented_reduce_implIS3_PKfPfPKifN6hipcub16HIPCUB_304000_NS6detail27convert_result_type_wrapperIS8_S9_N2at6native12_GLOBAL__N_19CustomSumEEEEE10hipError_tPvRmT0_T1_jT2_SQ_T4_T3_P12ihipStream_tbEUlT_E_NS1_11comp_targetILNS1_3genE9ELNS1_11target_archE1100ELNS1_3gpuE3ELNS1_3repE0EEENS1_30default_config_static_selectorELNS0_4arch9wavefront6targetE1EEEvSP_.has_recursion, 0
	.set _ZN7rocprim17ROCPRIM_400000_NS6detail17trampoline_kernelINS0_14default_configENS1_32segmented_reduce_config_selectorIfEEZNS1_21segmented_reduce_implIS3_PKfPfPKifN6hipcub16HIPCUB_304000_NS6detail27convert_result_type_wrapperIS8_S9_N2at6native12_GLOBAL__N_19CustomSumEEEEE10hipError_tPvRmT0_T1_jT2_SQ_T4_T3_P12ihipStream_tbEUlT_E_NS1_11comp_targetILNS1_3genE9ELNS1_11target_archE1100ELNS1_3gpuE3ELNS1_3repE0EEENS1_30default_config_static_selectorELNS0_4arch9wavefront6targetE1EEEvSP_.has_indirect_call, 0
	.section	.AMDGPU.csdata,"",@progbits
; Kernel info:
; codeLenInByte = 0
; TotalNumSgprs: 4
; NumVgprs: 0
; ScratchSize: 0
; MemoryBound: 0
; FloatMode: 240
; IeeeMode: 1
; LDSByteSize: 0 bytes/workgroup (compile time only)
; SGPRBlocks: 0
; VGPRBlocks: 0
; NumSGPRsForWavesPerEU: 4
; NumVGPRsForWavesPerEU: 1
; Occupancy: 10
; WaveLimiterHint : 0
; COMPUTE_PGM_RSRC2:SCRATCH_EN: 0
; COMPUTE_PGM_RSRC2:USER_SGPR: 6
; COMPUTE_PGM_RSRC2:TRAP_HANDLER: 0
; COMPUTE_PGM_RSRC2:TGID_X_EN: 1
; COMPUTE_PGM_RSRC2:TGID_Y_EN: 0
; COMPUTE_PGM_RSRC2:TGID_Z_EN: 0
; COMPUTE_PGM_RSRC2:TIDIG_COMP_CNT: 0
	.section	.text._ZN7rocprim17ROCPRIM_400000_NS6detail17trampoline_kernelINS0_14default_configENS1_32segmented_reduce_config_selectorIfEEZNS1_21segmented_reduce_implIS3_PKfPfPKifN6hipcub16HIPCUB_304000_NS6detail27convert_result_type_wrapperIS8_S9_N2at6native12_GLOBAL__N_19CustomSumEEEEE10hipError_tPvRmT0_T1_jT2_SQ_T4_T3_P12ihipStream_tbEUlT_E_NS1_11comp_targetILNS1_3genE8ELNS1_11target_archE1030ELNS1_3gpuE2ELNS1_3repE0EEENS1_30default_config_static_selectorELNS0_4arch9wavefront6targetE1EEEvSP_,"axG",@progbits,_ZN7rocprim17ROCPRIM_400000_NS6detail17trampoline_kernelINS0_14default_configENS1_32segmented_reduce_config_selectorIfEEZNS1_21segmented_reduce_implIS3_PKfPfPKifN6hipcub16HIPCUB_304000_NS6detail27convert_result_type_wrapperIS8_S9_N2at6native12_GLOBAL__N_19CustomSumEEEEE10hipError_tPvRmT0_T1_jT2_SQ_T4_T3_P12ihipStream_tbEUlT_E_NS1_11comp_targetILNS1_3genE8ELNS1_11target_archE1030ELNS1_3gpuE2ELNS1_3repE0EEENS1_30default_config_static_selectorELNS0_4arch9wavefront6targetE1EEEvSP_,comdat
	.globl	_ZN7rocprim17ROCPRIM_400000_NS6detail17trampoline_kernelINS0_14default_configENS1_32segmented_reduce_config_selectorIfEEZNS1_21segmented_reduce_implIS3_PKfPfPKifN6hipcub16HIPCUB_304000_NS6detail27convert_result_type_wrapperIS8_S9_N2at6native12_GLOBAL__N_19CustomSumEEEEE10hipError_tPvRmT0_T1_jT2_SQ_T4_T3_P12ihipStream_tbEUlT_E_NS1_11comp_targetILNS1_3genE8ELNS1_11target_archE1030ELNS1_3gpuE2ELNS1_3repE0EEENS1_30default_config_static_selectorELNS0_4arch9wavefront6targetE1EEEvSP_ ; -- Begin function _ZN7rocprim17ROCPRIM_400000_NS6detail17trampoline_kernelINS0_14default_configENS1_32segmented_reduce_config_selectorIfEEZNS1_21segmented_reduce_implIS3_PKfPfPKifN6hipcub16HIPCUB_304000_NS6detail27convert_result_type_wrapperIS8_S9_N2at6native12_GLOBAL__N_19CustomSumEEEEE10hipError_tPvRmT0_T1_jT2_SQ_T4_T3_P12ihipStream_tbEUlT_E_NS1_11comp_targetILNS1_3genE8ELNS1_11target_archE1030ELNS1_3gpuE2ELNS1_3repE0EEENS1_30default_config_static_selectorELNS0_4arch9wavefront6targetE1EEEvSP_
	.p2align	8
	.type	_ZN7rocprim17ROCPRIM_400000_NS6detail17trampoline_kernelINS0_14default_configENS1_32segmented_reduce_config_selectorIfEEZNS1_21segmented_reduce_implIS3_PKfPfPKifN6hipcub16HIPCUB_304000_NS6detail27convert_result_type_wrapperIS8_S9_N2at6native12_GLOBAL__N_19CustomSumEEEEE10hipError_tPvRmT0_T1_jT2_SQ_T4_T3_P12ihipStream_tbEUlT_E_NS1_11comp_targetILNS1_3genE8ELNS1_11target_archE1030ELNS1_3gpuE2ELNS1_3repE0EEENS1_30default_config_static_selectorELNS0_4arch9wavefront6targetE1EEEvSP_,@function
_ZN7rocprim17ROCPRIM_400000_NS6detail17trampoline_kernelINS0_14default_configENS1_32segmented_reduce_config_selectorIfEEZNS1_21segmented_reduce_implIS3_PKfPfPKifN6hipcub16HIPCUB_304000_NS6detail27convert_result_type_wrapperIS8_S9_N2at6native12_GLOBAL__N_19CustomSumEEEEE10hipError_tPvRmT0_T1_jT2_SQ_T4_T3_P12ihipStream_tbEUlT_E_NS1_11comp_targetILNS1_3genE8ELNS1_11target_archE1030ELNS1_3gpuE2ELNS1_3repE0EEENS1_30default_config_static_selectorELNS0_4arch9wavefront6targetE1EEEvSP_: ; @_ZN7rocprim17ROCPRIM_400000_NS6detail17trampoline_kernelINS0_14default_configENS1_32segmented_reduce_config_selectorIfEEZNS1_21segmented_reduce_implIS3_PKfPfPKifN6hipcub16HIPCUB_304000_NS6detail27convert_result_type_wrapperIS8_S9_N2at6native12_GLOBAL__N_19CustomSumEEEEE10hipError_tPvRmT0_T1_jT2_SQ_T4_T3_P12ihipStream_tbEUlT_E_NS1_11comp_targetILNS1_3genE8ELNS1_11target_archE1030ELNS1_3gpuE2ELNS1_3repE0EEENS1_30default_config_static_selectorELNS0_4arch9wavefront6targetE1EEEvSP_
; %bb.0:
	.section	.rodata,"a",@progbits
	.p2align	6, 0x0
	.amdhsa_kernel _ZN7rocprim17ROCPRIM_400000_NS6detail17trampoline_kernelINS0_14default_configENS1_32segmented_reduce_config_selectorIfEEZNS1_21segmented_reduce_implIS3_PKfPfPKifN6hipcub16HIPCUB_304000_NS6detail27convert_result_type_wrapperIS8_S9_N2at6native12_GLOBAL__N_19CustomSumEEEEE10hipError_tPvRmT0_T1_jT2_SQ_T4_T3_P12ihipStream_tbEUlT_E_NS1_11comp_targetILNS1_3genE8ELNS1_11target_archE1030ELNS1_3gpuE2ELNS1_3repE0EEENS1_30default_config_static_selectorELNS0_4arch9wavefront6targetE1EEEvSP_
		.amdhsa_group_segment_fixed_size 0
		.amdhsa_private_segment_fixed_size 0
		.amdhsa_kernarg_size 48
		.amdhsa_user_sgpr_count 6
		.amdhsa_user_sgpr_private_segment_buffer 1
		.amdhsa_user_sgpr_dispatch_ptr 0
		.amdhsa_user_sgpr_queue_ptr 0
		.amdhsa_user_sgpr_kernarg_segment_ptr 1
		.amdhsa_user_sgpr_dispatch_id 0
		.amdhsa_user_sgpr_flat_scratch_init 0
		.amdhsa_user_sgpr_private_segment_size 0
		.amdhsa_uses_dynamic_stack 0
		.amdhsa_system_sgpr_private_segment_wavefront_offset 0
		.amdhsa_system_sgpr_workgroup_id_x 1
		.amdhsa_system_sgpr_workgroup_id_y 0
		.amdhsa_system_sgpr_workgroup_id_z 0
		.amdhsa_system_sgpr_workgroup_info 0
		.amdhsa_system_vgpr_workitem_id 0
		.amdhsa_next_free_vgpr 1
		.amdhsa_next_free_sgpr 0
		.amdhsa_reserve_vcc 0
		.amdhsa_reserve_flat_scratch 0
		.amdhsa_float_round_mode_32 0
		.amdhsa_float_round_mode_16_64 0
		.amdhsa_float_denorm_mode_32 3
		.amdhsa_float_denorm_mode_16_64 3
		.amdhsa_dx10_clamp 1
		.amdhsa_ieee_mode 1
		.amdhsa_fp16_overflow 0
		.amdhsa_exception_fp_ieee_invalid_op 0
		.amdhsa_exception_fp_denorm_src 0
		.amdhsa_exception_fp_ieee_div_zero 0
		.amdhsa_exception_fp_ieee_overflow 0
		.amdhsa_exception_fp_ieee_underflow 0
		.amdhsa_exception_fp_ieee_inexact 0
		.amdhsa_exception_int_div_zero 0
	.end_amdhsa_kernel
	.section	.text._ZN7rocprim17ROCPRIM_400000_NS6detail17trampoline_kernelINS0_14default_configENS1_32segmented_reduce_config_selectorIfEEZNS1_21segmented_reduce_implIS3_PKfPfPKifN6hipcub16HIPCUB_304000_NS6detail27convert_result_type_wrapperIS8_S9_N2at6native12_GLOBAL__N_19CustomSumEEEEE10hipError_tPvRmT0_T1_jT2_SQ_T4_T3_P12ihipStream_tbEUlT_E_NS1_11comp_targetILNS1_3genE8ELNS1_11target_archE1030ELNS1_3gpuE2ELNS1_3repE0EEENS1_30default_config_static_selectorELNS0_4arch9wavefront6targetE1EEEvSP_,"axG",@progbits,_ZN7rocprim17ROCPRIM_400000_NS6detail17trampoline_kernelINS0_14default_configENS1_32segmented_reduce_config_selectorIfEEZNS1_21segmented_reduce_implIS3_PKfPfPKifN6hipcub16HIPCUB_304000_NS6detail27convert_result_type_wrapperIS8_S9_N2at6native12_GLOBAL__N_19CustomSumEEEEE10hipError_tPvRmT0_T1_jT2_SQ_T4_T3_P12ihipStream_tbEUlT_E_NS1_11comp_targetILNS1_3genE8ELNS1_11target_archE1030ELNS1_3gpuE2ELNS1_3repE0EEENS1_30default_config_static_selectorELNS0_4arch9wavefront6targetE1EEEvSP_,comdat
.Lfunc_end58:
	.size	_ZN7rocprim17ROCPRIM_400000_NS6detail17trampoline_kernelINS0_14default_configENS1_32segmented_reduce_config_selectorIfEEZNS1_21segmented_reduce_implIS3_PKfPfPKifN6hipcub16HIPCUB_304000_NS6detail27convert_result_type_wrapperIS8_S9_N2at6native12_GLOBAL__N_19CustomSumEEEEE10hipError_tPvRmT0_T1_jT2_SQ_T4_T3_P12ihipStream_tbEUlT_E_NS1_11comp_targetILNS1_3genE8ELNS1_11target_archE1030ELNS1_3gpuE2ELNS1_3repE0EEENS1_30default_config_static_selectorELNS0_4arch9wavefront6targetE1EEEvSP_, .Lfunc_end58-_ZN7rocprim17ROCPRIM_400000_NS6detail17trampoline_kernelINS0_14default_configENS1_32segmented_reduce_config_selectorIfEEZNS1_21segmented_reduce_implIS3_PKfPfPKifN6hipcub16HIPCUB_304000_NS6detail27convert_result_type_wrapperIS8_S9_N2at6native12_GLOBAL__N_19CustomSumEEEEE10hipError_tPvRmT0_T1_jT2_SQ_T4_T3_P12ihipStream_tbEUlT_E_NS1_11comp_targetILNS1_3genE8ELNS1_11target_archE1030ELNS1_3gpuE2ELNS1_3repE0EEENS1_30default_config_static_selectorELNS0_4arch9wavefront6targetE1EEEvSP_
                                        ; -- End function
	.set _ZN7rocprim17ROCPRIM_400000_NS6detail17trampoline_kernelINS0_14default_configENS1_32segmented_reduce_config_selectorIfEEZNS1_21segmented_reduce_implIS3_PKfPfPKifN6hipcub16HIPCUB_304000_NS6detail27convert_result_type_wrapperIS8_S9_N2at6native12_GLOBAL__N_19CustomSumEEEEE10hipError_tPvRmT0_T1_jT2_SQ_T4_T3_P12ihipStream_tbEUlT_E_NS1_11comp_targetILNS1_3genE8ELNS1_11target_archE1030ELNS1_3gpuE2ELNS1_3repE0EEENS1_30default_config_static_selectorELNS0_4arch9wavefront6targetE1EEEvSP_.num_vgpr, 0
	.set _ZN7rocprim17ROCPRIM_400000_NS6detail17trampoline_kernelINS0_14default_configENS1_32segmented_reduce_config_selectorIfEEZNS1_21segmented_reduce_implIS3_PKfPfPKifN6hipcub16HIPCUB_304000_NS6detail27convert_result_type_wrapperIS8_S9_N2at6native12_GLOBAL__N_19CustomSumEEEEE10hipError_tPvRmT0_T1_jT2_SQ_T4_T3_P12ihipStream_tbEUlT_E_NS1_11comp_targetILNS1_3genE8ELNS1_11target_archE1030ELNS1_3gpuE2ELNS1_3repE0EEENS1_30default_config_static_selectorELNS0_4arch9wavefront6targetE1EEEvSP_.num_agpr, 0
	.set _ZN7rocprim17ROCPRIM_400000_NS6detail17trampoline_kernelINS0_14default_configENS1_32segmented_reduce_config_selectorIfEEZNS1_21segmented_reduce_implIS3_PKfPfPKifN6hipcub16HIPCUB_304000_NS6detail27convert_result_type_wrapperIS8_S9_N2at6native12_GLOBAL__N_19CustomSumEEEEE10hipError_tPvRmT0_T1_jT2_SQ_T4_T3_P12ihipStream_tbEUlT_E_NS1_11comp_targetILNS1_3genE8ELNS1_11target_archE1030ELNS1_3gpuE2ELNS1_3repE0EEENS1_30default_config_static_selectorELNS0_4arch9wavefront6targetE1EEEvSP_.numbered_sgpr, 0
	.set _ZN7rocprim17ROCPRIM_400000_NS6detail17trampoline_kernelINS0_14default_configENS1_32segmented_reduce_config_selectorIfEEZNS1_21segmented_reduce_implIS3_PKfPfPKifN6hipcub16HIPCUB_304000_NS6detail27convert_result_type_wrapperIS8_S9_N2at6native12_GLOBAL__N_19CustomSumEEEEE10hipError_tPvRmT0_T1_jT2_SQ_T4_T3_P12ihipStream_tbEUlT_E_NS1_11comp_targetILNS1_3genE8ELNS1_11target_archE1030ELNS1_3gpuE2ELNS1_3repE0EEENS1_30default_config_static_selectorELNS0_4arch9wavefront6targetE1EEEvSP_.num_named_barrier, 0
	.set _ZN7rocprim17ROCPRIM_400000_NS6detail17trampoline_kernelINS0_14default_configENS1_32segmented_reduce_config_selectorIfEEZNS1_21segmented_reduce_implIS3_PKfPfPKifN6hipcub16HIPCUB_304000_NS6detail27convert_result_type_wrapperIS8_S9_N2at6native12_GLOBAL__N_19CustomSumEEEEE10hipError_tPvRmT0_T1_jT2_SQ_T4_T3_P12ihipStream_tbEUlT_E_NS1_11comp_targetILNS1_3genE8ELNS1_11target_archE1030ELNS1_3gpuE2ELNS1_3repE0EEENS1_30default_config_static_selectorELNS0_4arch9wavefront6targetE1EEEvSP_.private_seg_size, 0
	.set _ZN7rocprim17ROCPRIM_400000_NS6detail17trampoline_kernelINS0_14default_configENS1_32segmented_reduce_config_selectorIfEEZNS1_21segmented_reduce_implIS3_PKfPfPKifN6hipcub16HIPCUB_304000_NS6detail27convert_result_type_wrapperIS8_S9_N2at6native12_GLOBAL__N_19CustomSumEEEEE10hipError_tPvRmT0_T1_jT2_SQ_T4_T3_P12ihipStream_tbEUlT_E_NS1_11comp_targetILNS1_3genE8ELNS1_11target_archE1030ELNS1_3gpuE2ELNS1_3repE0EEENS1_30default_config_static_selectorELNS0_4arch9wavefront6targetE1EEEvSP_.uses_vcc, 0
	.set _ZN7rocprim17ROCPRIM_400000_NS6detail17trampoline_kernelINS0_14default_configENS1_32segmented_reduce_config_selectorIfEEZNS1_21segmented_reduce_implIS3_PKfPfPKifN6hipcub16HIPCUB_304000_NS6detail27convert_result_type_wrapperIS8_S9_N2at6native12_GLOBAL__N_19CustomSumEEEEE10hipError_tPvRmT0_T1_jT2_SQ_T4_T3_P12ihipStream_tbEUlT_E_NS1_11comp_targetILNS1_3genE8ELNS1_11target_archE1030ELNS1_3gpuE2ELNS1_3repE0EEENS1_30default_config_static_selectorELNS0_4arch9wavefront6targetE1EEEvSP_.uses_flat_scratch, 0
	.set _ZN7rocprim17ROCPRIM_400000_NS6detail17trampoline_kernelINS0_14default_configENS1_32segmented_reduce_config_selectorIfEEZNS1_21segmented_reduce_implIS3_PKfPfPKifN6hipcub16HIPCUB_304000_NS6detail27convert_result_type_wrapperIS8_S9_N2at6native12_GLOBAL__N_19CustomSumEEEEE10hipError_tPvRmT0_T1_jT2_SQ_T4_T3_P12ihipStream_tbEUlT_E_NS1_11comp_targetILNS1_3genE8ELNS1_11target_archE1030ELNS1_3gpuE2ELNS1_3repE0EEENS1_30default_config_static_selectorELNS0_4arch9wavefront6targetE1EEEvSP_.has_dyn_sized_stack, 0
	.set _ZN7rocprim17ROCPRIM_400000_NS6detail17trampoline_kernelINS0_14default_configENS1_32segmented_reduce_config_selectorIfEEZNS1_21segmented_reduce_implIS3_PKfPfPKifN6hipcub16HIPCUB_304000_NS6detail27convert_result_type_wrapperIS8_S9_N2at6native12_GLOBAL__N_19CustomSumEEEEE10hipError_tPvRmT0_T1_jT2_SQ_T4_T3_P12ihipStream_tbEUlT_E_NS1_11comp_targetILNS1_3genE8ELNS1_11target_archE1030ELNS1_3gpuE2ELNS1_3repE0EEENS1_30default_config_static_selectorELNS0_4arch9wavefront6targetE1EEEvSP_.has_recursion, 0
	.set _ZN7rocprim17ROCPRIM_400000_NS6detail17trampoline_kernelINS0_14default_configENS1_32segmented_reduce_config_selectorIfEEZNS1_21segmented_reduce_implIS3_PKfPfPKifN6hipcub16HIPCUB_304000_NS6detail27convert_result_type_wrapperIS8_S9_N2at6native12_GLOBAL__N_19CustomSumEEEEE10hipError_tPvRmT0_T1_jT2_SQ_T4_T3_P12ihipStream_tbEUlT_E_NS1_11comp_targetILNS1_3genE8ELNS1_11target_archE1030ELNS1_3gpuE2ELNS1_3repE0EEENS1_30default_config_static_selectorELNS0_4arch9wavefront6targetE1EEEvSP_.has_indirect_call, 0
	.section	.AMDGPU.csdata,"",@progbits
; Kernel info:
; codeLenInByte = 0
; TotalNumSgprs: 4
; NumVgprs: 0
; ScratchSize: 0
; MemoryBound: 0
; FloatMode: 240
; IeeeMode: 1
; LDSByteSize: 0 bytes/workgroup (compile time only)
; SGPRBlocks: 0
; VGPRBlocks: 0
; NumSGPRsForWavesPerEU: 4
; NumVGPRsForWavesPerEU: 1
; Occupancy: 10
; WaveLimiterHint : 0
; COMPUTE_PGM_RSRC2:SCRATCH_EN: 0
; COMPUTE_PGM_RSRC2:USER_SGPR: 6
; COMPUTE_PGM_RSRC2:TRAP_HANDLER: 0
; COMPUTE_PGM_RSRC2:TGID_X_EN: 1
; COMPUTE_PGM_RSRC2:TGID_Y_EN: 0
; COMPUTE_PGM_RSRC2:TGID_Z_EN: 0
; COMPUTE_PGM_RSRC2:TIDIG_COMP_CNT: 0
	.section	.text._ZN2at6native12_GLOBAL__N_119post_sum_div_kernelIfiEEvPT_PKT0_lbS3_,"axG",@progbits,_ZN2at6native12_GLOBAL__N_119post_sum_div_kernelIfiEEvPT_PKT0_lbS3_,comdat
	.globl	_ZN2at6native12_GLOBAL__N_119post_sum_div_kernelIfiEEvPT_PKT0_lbS3_ ; -- Begin function _ZN2at6native12_GLOBAL__N_119post_sum_div_kernelIfiEEvPT_PKT0_lbS3_
	.p2align	8
	.type	_ZN2at6native12_GLOBAL__N_119post_sum_div_kernelIfiEEvPT_PKT0_lbS3_,@function
_ZN2at6native12_GLOBAL__N_119post_sum_div_kernelIfiEEvPT_PKT0_lbS3_: ; @_ZN2at6native12_GLOBAL__N_119post_sum_div_kernelIfiEEvPT_PKT0_lbS3_
; %bb.0:
	s_load_dword s7, s[4:5], 0x2c
	s_load_dwordx2 s[2:3], s[4:5], 0x10
	s_add_u32 s0, s4, 32
	s_addc_u32 s1, s5, 0
	v_mov_b32_e32 v1, 0
	s_waitcnt lgkmcnt(0)
	s_and_b32 s7, s7, 0xffff
	v_mov_b32_e32 v2, s6
	v_mad_u64_u32 v[2:3], s[8:9], s7, v2, v[0:1]
	v_cmp_gt_i64_e32 vcc, s[2:3], v[2:3]
	s_and_saveexec_b64 s[8:9], vcc
	s_cbranch_execz .LBB59_12
; %bb.1:
	s_load_dwordx2 s[12:13], s[4:5], 0x18
	s_load_dword s6, s[0:1], 0x0
	s_load_dwordx4 s[8:11], s[4:5], 0x0
	v_mov_b32_e32 v0, 0x7fc00000
	s_mov_b64 s[4:5], 0
	s_waitcnt lgkmcnt(0)
	s_bitcmp1_b32 s12, 0
	s_mul_i32 s22, s6, s7
	v_mov_b32_e32 v4, s13
	s_cselect_b64 vcc, -1, 0
	v_cndmask_b32_e32 v6, v0, v4, vcc
	v_mov_b32_e32 v0, v1
	v_mov_b32_e32 v1, v2
	s_mov_b32 s23, s22
	v_mov_b32_e32 v7, s11
                                        ; implicit-def: $sgpr6_sgpr7
                                        ; implicit-def: $sgpr14_sgpr15
                                        ; implicit-def: $sgpr12_sgpr13
.LBB59_2:                               ; =>This Inner Loop Header: Depth=1
	v_ashrrev_i64 v[4:5], 30, v[0:1]
	s_or_b64 s[12:13], s[12:13], exec
	v_add_co_u32_e32 v4, vcc, s10, v4
	v_addc_co_u32_e32 v5, vcc, v7, v5, vcc
	global_load_dword v8, v[4:5], off
	s_or_b64 s[14:15], s[14:15], exec
	s_waitcnt vmcnt(0)
	v_cmp_lt_i32_e32 vcc, -1, v8
	s_and_saveexec_b64 s[16:17], vcc
	s_cbranch_execz .LBB59_10
; %bb.3:                                ;   in Loop: Header=BB59_2 Depth=1
	v_ashrrev_i32_e32 v5, 31, v1
	v_mov_b32_e32 v4, v1
	v_lshlrev_b64 v[4:5], 2, v[4:5]
	v_mov_b32_e32 v9, s9
	v_add_co_u32_e64 v4, s[0:1], s8, v4
	v_cmp_ne_u32_e32 vcc, 0, v8
	v_addc_co_u32_e64 v5, s[0:1], v9, v5, s[0:1]
	s_mov_b64 s[18:19], -1
	v_mov_b32_e32 v9, v6
	s_and_saveexec_b64 s[0:1], vcc
	s_cbranch_execz .LBB59_7
; %bb.4:                                ;   in Loop: Header=BB59_2 Depth=1
	global_load_dword v10, v[4:5], off
	s_mov_b64 s[18:19], 0
                                        ; implicit-def: $vgpr9
	s_waitcnt vmcnt(0)
	v_cmp_o_f32_e32 vcc, v10, v10
	s_and_saveexec_b64 s[20:21], vcc
	s_cbranch_execz .LBB59_6
; %bb.5:                                ;   in Loop: Header=BB59_2 Depth=1
	v_cvt_f32_u32_e32 v8, v8
	s_mov_b64 s[18:19], exec
	v_div_scale_f32 v9, s[24:25], v8, v8, v10
	v_div_scale_f32 v11, vcc, v10, v8, v10
	v_rcp_f32_e32 v12, v9
	v_fma_f32 v13, -v9, v12, 1.0
	v_fmac_f32_e32 v12, v13, v12
	v_mul_f32_e32 v13, v11, v12
	v_fma_f32 v14, -v9, v13, v11
	v_fmac_f32_e32 v13, v14, v12
	v_fma_f32 v9, -v9, v13, v11
	v_div_fmas_f32 v9, v9, v12, v13
	v_div_fixup_f32 v9, v9, v8, v10
.LBB59_6:                               ;   in Loop: Header=BB59_2 Depth=1
	s_or_b64 exec, exec, s[20:21]
	s_orn2_b64 s[18:19], s[18:19], exec
.LBB59_7:                               ;   in Loop: Header=BB59_2 Depth=1
	s_or_b64 exec, exec, s[0:1]
	s_and_saveexec_b64 s[0:1], s[18:19]
	s_cbranch_execz .LBB59_9
; %bb.8:                                ;   in Loop: Header=BB59_2 Depth=1
	global_store_dword v[4:5], v9, off
.LBB59_9:                               ;   in Loop: Header=BB59_2 Depth=1
	s_or_b64 exec, exec, s[0:1]
	v_add_co_u32_e32 v2, vcc, s22, v2
	v_addc_co_u32_e32 v3, vcc, 0, v3, vcc
	v_mov_b32_e32 v4, s23
	v_add_co_u32_e32 v0, vcc, 0, v0
	v_addc_co_u32_e32 v1, vcc, v1, v4, vcc
	v_cmp_le_i64_e32 vcc, s[2:3], v[2:3]
	s_andn2_b64 s[0:1], s[14:15], exec
	s_and_b64 s[14:15], vcc, exec
	s_andn2_b64 s[12:13], s[12:13], exec
	s_or_b64 s[14:15], s[0:1], s[14:15]
.LBB59_10:                              ;   in Loop: Header=BB59_2 Depth=1
	s_or_b64 exec, exec, s[16:17]
	s_and_b64 s[0:1], exec, s[14:15]
	s_or_b64 s[4:5], s[0:1], s[4:5]
	s_andn2_b64 s[0:1], s[6:7], exec
	s_and_b64 s[6:7], s[12:13], exec
	s_or_b64 s[6:7], s[0:1], s[6:7]
	s_andn2_b64 exec, exec, s[4:5]
	s_cbranch_execnz .LBB59_2
; %bb.11:
	s_or_b64 exec, exec, s[4:5]
	s_and_saveexec_b64 s[0:1], s[6:7]
	s_xor_b64 s[0:1], exec, s[0:1]
	s_cbranch_execnz .LBB59_13
.LBB59_12:
	s_endpgm
.LBB59_13:
	s_trap 2
	; divergent unreachable
	s_endpgm
	.section	.rodata,"a",@progbits
	.p2align	6, 0x0
	.amdhsa_kernel _ZN2at6native12_GLOBAL__N_119post_sum_div_kernelIfiEEvPT_PKT0_lbS3_
		.amdhsa_group_segment_fixed_size 0
		.amdhsa_private_segment_fixed_size 0
		.amdhsa_kernarg_size 288
		.amdhsa_user_sgpr_count 6
		.amdhsa_user_sgpr_private_segment_buffer 1
		.amdhsa_user_sgpr_dispatch_ptr 0
		.amdhsa_user_sgpr_queue_ptr 0
		.amdhsa_user_sgpr_kernarg_segment_ptr 1
		.amdhsa_user_sgpr_dispatch_id 0
		.amdhsa_user_sgpr_flat_scratch_init 0
		.amdhsa_user_sgpr_private_segment_size 0
		.amdhsa_uses_dynamic_stack 0
		.amdhsa_system_sgpr_private_segment_wavefront_offset 0
		.amdhsa_system_sgpr_workgroup_id_x 1
		.amdhsa_system_sgpr_workgroup_id_y 0
		.amdhsa_system_sgpr_workgroup_id_z 0
		.amdhsa_system_sgpr_workgroup_info 0
		.amdhsa_system_vgpr_workitem_id 0
		.amdhsa_next_free_vgpr 15
		.amdhsa_next_free_sgpr 26
		.amdhsa_reserve_vcc 1
		.amdhsa_reserve_flat_scratch 0
		.amdhsa_float_round_mode_32 0
		.amdhsa_float_round_mode_16_64 0
		.amdhsa_float_denorm_mode_32 3
		.amdhsa_float_denorm_mode_16_64 3
		.amdhsa_dx10_clamp 1
		.amdhsa_ieee_mode 1
		.amdhsa_fp16_overflow 0
		.amdhsa_exception_fp_ieee_invalid_op 0
		.amdhsa_exception_fp_denorm_src 0
		.amdhsa_exception_fp_ieee_div_zero 0
		.amdhsa_exception_fp_ieee_overflow 0
		.amdhsa_exception_fp_ieee_underflow 0
		.amdhsa_exception_fp_ieee_inexact 0
		.amdhsa_exception_int_div_zero 0
	.end_amdhsa_kernel
	.section	.text._ZN2at6native12_GLOBAL__N_119post_sum_div_kernelIfiEEvPT_PKT0_lbS3_,"axG",@progbits,_ZN2at6native12_GLOBAL__N_119post_sum_div_kernelIfiEEvPT_PKT0_lbS3_,comdat
.Lfunc_end59:
	.size	_ZN2at6native12_GLOBAL__N_119post_sum_div_kernelIfiEEvPT_PKT0_lbS3_, .Lfunc_end59-_ZN2at6native12_GLOBAL__N_119post_sum_div_kernelIfiEEvPT_PKT0_lbS3_
                                        ; -- End function
	.set _ZN2at6native12_GLOBAL__N_119post_sum_div_kernelIfiEEvPT_PKT0_lbS3_.num_vgpr, 15
	.set _ZN2at6native12_GLOBAL__N_119post_sum_div_kernelIfiEEvPT_PKT0_lbS3_.num_agpr, 0
	.set _ZN2at6native12_GLOBAL__N_119post_sum_div_kernelIfiEEvPT_PKT0_lbS3_.numbered_sgpr, 26
	.set _ZN2at6native12_GLOBAL__N_119post_sum_div_kernelIfiEEvPT_PKT0_lbS3_.num_named_barrier, 0
	.set _ZN2at6native12_GLOBAL__N_119post_sum_div_kernelIfiEEvPT_PKT0_lbS3_.private_seg_size, 0
	.set _ZN2at6native12_GLOBAL__N_119post_sum_div_kernelIfiEEvPT_PKT0_lbS3_.uses_vcc, 1
	.set _ZN2at6native12_GLOBAL__N_119post_sum_div_kernelIfiEEvPT_PKT0_lbS3_.uses_flat_scratch, 0
	.set _ZN2at6native12_GLOBAL__N_119post_sum_div_kernelIfiEEvPT_PKT0_lbS3_.has_dyn_sized_stack, 0
	.set _ZN2at6native12_GLOBAL__N_119post_sum_div_kernelIfiEEvPT_PKT0_lbS3_.has_recursion, 0
	.set _ZN2at6native12_GLOBAL__N_119post_sum_div_kernelIfiEEvPT_PKT0_lbS3_.has_indirect_call, 0
	.section	.AMDGPU.csdata,"",@progbits
; Kernel info:
; codeLenInByte = 484
; TotalNumSgprs: 30
; NumVgprs: 15
; ScratchSize: 0
; MemoryBound: 0
; FloatMode: 240
; IeeeMode: 1
; LDSByteSize: 0 bytes/workgroup (compile time only)
; SGPRBlocks: 3
; VGPRBlocks: 3
; NumSGPRsForWavesPerEU: 30
; NumVGPRsForWavesPerEU: 15
; Occupancy: 10
; WaveLimiterHint : 0
; COMPUTE_PGM_RSRC2:SCRATCH_EN: 0
; COMPUTE_PGM_RSRC2:USER_SGPR: 6
; COMPUTE_PGM_RSRC2:TRAP_HANDLER: 0
; COMPUTE_PGM_RSRC2:TGID_X_EN: 1
; COMPUTE_PGM_RSRC2:TGID_Y_EN: 0
; COMPUTE_PGM_RSRC2:TGID_Z_EN: 0
; COMPUTE_PGM_RSRC2:TIDIG_COMP_CNT: 0
	.section	.text._ZN7rocprim17ROCPRIM_400000_NS6detail17trampoline_kernelINS0_14default_configENS1_32segmented_reduce_config_selectorIfEEZNS1_21segmented_reduce_implIS3_PKfPfPKifN6hipcub16HIPCUB_304000_NS6detail27convert_result_type_wrapperIS8_S9_N2at6native12_GLOBAL__N_19CustomMinEEEEE10hipError_tPvRmT0_T1_jT2_SQ_T4_T3_P12ihipStream_tbEUlT_E_NS1_11comp_targetILNS1_3genE0ELNS1_11target_archE4294967295ELNS1_3gpuE0ELNS1_3repE0EEENS1_30default_config_static_selectorELNS0_4arch9wavefront6targetE1EEEvSP_,"axG",@progbits,_ZN7rocprim17ROCPRIM_400000_NS6detail17trampoline_kernelINS0_14default_configENS1_32segmented_reduce_config_selectorIfEEZNS1_21segmented_reduce_implIS3_PKfPfPKifN6hipcub16HIPCUB_304000_NS6detail27convert_result_type_wrapperIS8_S9_N2at6native12_GLOBAL__N_19CustomMinEEEEE10hipError_tPvRmT0_T1_jT2_SQ_T4_T3_P12ihipStream_tbEUlT_E_NS1_11comp_targetILNS1_3genE0ELNS1_11target_archE4294967295ELNS1_3gpuE0ELNS1_3repE0EEENS1_30default_config_static_selectorELNS0_4arch9wavefront6targetE1EEEvSP_,comdat
	.globl	_ZN7rocprim17ROCPRIM_400000_NS6detail17trampoline_kernelINS0_14default_configENS1_32segmented_reduce_config_selectorIfEEZNS1_21segmented_reduce_implIS3_PKfPfPKifN6hipcub16HIPCUB_304000_NS6detail27convert_result_type_wrapperIS8_S9_N2at6native12_GLOBAL__N_19CustomMinEEEEE10hipError_tPvRmT0_T1_jT2_SQ_T4_T3_P12ihipStream_tbEUlT_E_NS1_11comp_targetILNS1_3genE0ELNS1_11target_archE4294967295ELNS1_3gpuE0ELNS1_3repE0EEENS1_30default_config_static_selectorELNS0_4arch9wavefront6targetE1EEEvSP_ ; -- Begin function _ZN7rocprim17ROCPRIM_400000_NS6detail17trampoline_kernelINS0_14default_configENS1_32segmented_reduce_config_selectorIfEEZNS1_21segmented_reduce_implIS3_PKfPfPKifN6hipcub16HIPCUB_304000_NS6detail27convert_result_type_wrapperIS8_S9_N2at6native12_GLOBAL__N_19CustomMinEEEEE10hipError_tPvRmT0_T1_jT2_SQ_T4_T3_P12ihipStream_tbEUlT_E_NS1_11comp_targetILNS1_3genE0ELNS1_11target_archE4294967295ELNS1_3gpuE0ELNS1_3repE0EEENS1_30default_config_static_selectorELNS0_4arch9wavefront6targetE1EEEvSP_
	.p2align	8
	.type	_ZN7rocprim17ROCPRIM_400000_NS6detail17trampoline_kernelINS0_14default_configENS1_32segmented_reduce_config_selectorIfEEZNS1_21segmented_reduce_implIS3_PKfPfPKifN6hipcub16HIPCUB_304000_NS6detail27convert_result_type_wrapperIS8_S9_N2at6native12_GLOBAL__N_19CustomMinEEEEE10hipError_tPvRmT0_T1_jT2_SQ_T4_T3_P12ihipStream_tbEUlT_E_NS1_11comp_targetILNS1_3genE0ELNS1_11target_archE4294967295ELNS1_3gpuE0ELNS1_3repE0EEENS1_30default_config_static_selectorELNS0_4arch9wavefront6targetE1EEEvSP_,@function
_ZN7rocprim17ROCPRIM_400000_NS6detail17trampoline_kernelINS0_14default_configENS1_32segmented_reduce_config_selectorIfEEZNS1_21segmented_reduce_implIS3_PKfPfPKifN6hipcub16HIPCUB_304000_NS6detail27convert_result_type_wrapperIS8_S9_N2at6native12_GLOBAL__N_19CustomMinEEEEE10hipError_tPvRmT0_T1_jT2_SQ_T4_T3_P12ihipStream_tbEUlT_E_NS1_11comp_targetILNS1_3genE0ELNS1_11target_archE4294967295ELNS1_3gpuE0ELNS1_3repE0EEENS1_30default_config_static_selectorELNS0_4arch9wavefront6targetE1EEEvSP_: ; @_ZN7rocprim17ROCPRIM_400000_NS6detail17trampoline_kernelINS0_14default_configENS1_32segmented_reduce_config_selectorIfEEZNS1_21segmented_reduce_implIS3_PKfPfPKifN6hipcub16HIPCUB_304000_NS6detail27convert_result_type_wrapperIS8_S9_N2at6native12_GLOBAL__N_19CustomMinEEEEE10hipError_tPvRmT0_T1_jT2_SQ_T4_T3_P12ihipStream_tbEUlT_E_NS1_11comp_targetILNS1_3genE0ELNS1_11target_archE4294967295ELNS1_3gpuE0ELNS1_3repE0EEENS1_30default_config_static_selectorELNS0_4arch9wavefront6targetE1EEEvSP_
; %bb.0:
	.section	.rodata,"a",@progbits
	.p2align	6, 0x0
	.amdhsa_kernel _ZN7rocprim17ROCPRIM_400000_NS6detail17trampoline_kernelINS0_14default_configENS1_32segmented_reduce_config_selectorIfEEZNS1_21segmented_reduce_implIS3_PKfPfPKifN6hipcub16HIPCUB_304000_NS6detail27convert_result_type_wrapperIS8_S9_N2at6native12_GLOBAL__N_19CustomMinEEEEE10hipError_tPvRmT0_T1_jT2_SQ_T4_T3_P12ihipStream_tbEUlT_E_NS1_11comp_targetILNS1_3genE0ELNS1_11target_archE4294967295ELNS1_3gpuE0ELNS1_3repE0EEENS1_30default_config_static_selectorELNS0_4arch9wavefront6targetE1EEEvSP_
		.amdhsa_group_segment_fixed_size 0
		.amdhsa_private_segment_fixed_size 0
		.amdhsa_kernarg_size 48
		.amdhsa_user_sgpr_count 6
		.amdhsa_user_sgpr_private_segment_buffer 1
		.amdhsa_user_sgpr_dispatch_ptr 0
		.amdhsa_user_sgpr_queue_ptr 0
		.amdhsa_user_sgpr_kernarg_segment_ptr 1
		.amdhsa_user_sgpr_dispatch_id 0
		.amdhsa_user_sgpr_flat_scratch_init 0
		.amdhsa_user_sgpr_private_segment_size 0
		.amdhsa_uses_dynamic_stack 0
		.amdhsa_system_sgpr_private_segment_wavefront_offset 0
		.amdhsa_system_sgpr_workgroup_id_x 1
		.amdhsa_system_sgpr_workgroup_id_y 0
		.amdhsa_system_sgpr_workgroup_id_z 0
		.amdhsa_system_sgpr_workgroup_info 0
		.amdhsa_system_vgpr_workitem_id 0
		.amdhsa_next_free_vgpr 1
		.amdhsa_next_free_sgpr 0
		.amdhsa_reserve_vcc 0
		.amdhsa_reserve_flat_scratch 0
		.amdhsa_float_round_mode_32 0
		.amdhsa_float_round_mode_16_64 0
		.amdhsa_float_denorm_mode_32 3
		.amdhsa_float_denorm_mode_16_64 3
		.amdhsa_dx10_clamp 1
		.amdhsa_ieee_mode 1
		.amdhsa_fp16_overflow 0
		.amdhsa_exception_fp_ieee_invalid_op 0
		.amdhsa_exception_fp_denorm_src 0
		.amdhsa_exception_fp_ieee_div_zero 0
		.amdhsa_exception_fp_ieee_overflow 0
		.amdhsa_exception_fp_ieee_underflow 0
		.amdhsa_exception_fp_ieee_inexact 0
		.amdhsa_exception_int_div_zero 0
	.end_amdhsa_kernel
	.section	.text._ZN7rocprim17ROCPRIM_400000_NS6detail17trampoline_kernelINS0_14default_configENS1_32segmented_reduce_config_selectorIfEEZNS1_21segmented_reduce_implIS3_PKfPfPKifN6hipcub16HIPCUB_304000_NS6detail27convert_result_type_wrapperIS8_S9_N2at6native12_GLOBAL__N_19CustomMinEEEEE10hipError_tPvRmT0_T1_jT2_SQ_T4_T3_P12ihipStream_tbEUlT_E_NS1_11comp_targetILNS1_3genE0ELNS1_11target_archE4294967295ELNS1_3gpuE0ELNS1_3repE0EEENS1_30default_config_static_selectorELNS0_4arch9wavefront6targetE1EEEvSP_,"axG",@progbits,_ZN7rocprim17ROCPRIM_400000_NS6detail17trampoline_kernelINS0_14default_configENS1_32segmented_reduce_config_selectorIfEEZNS1_21segmented_reduce_implIS3_PKfPfPKifN6hipcub16HIPCUB_304000_NS6detail27convert_result_type_wrapperIS8_S9_N2at6native12_GLOBAL__N_19CustomMinEEEEE10hipError_tPvRmT0_T1_jT2_SQ_T4_T3_P12ihipStream_tbEUlT_E_NS1_11comp_targetILNS1_3genE0ELNS1_11target_archE4294967295ELNS1_3gpuE0ELNS1_3repE0EEENS1_30default_config_static_selectorELNS0_4arch9wavefront6targetE1EEEvSP_,comdat
.Lfunc_end60:
	.size	_ZN7rocprim17ROCPRIM_400000_NS6detail17trampoline_kernelINS0_14default_configENS1_32segmented_reduce_config_selectorIfEEZNS1_21segmented_reduce_implIS3_PKfPfPKifN6hipcub16HIPCUB_304000_NS6detail27convert_result_type_wrapperIS8_S9_N2at6native12_GLOBAL__N_19CustomMinEEEEE10hipError_tPvRmT0_T1_jT2_SQ_T4_T3_P12ihipStream_tbEUlT_E_NS1_11comp_targetILNS1_3genE0ELNS1_11target_archE4294967295ELNS1_3gpuE0ELNS1_3repE0EEENS1_30default_config_static_selectorELNS0_4arch9wavefront6targetE1EEEvSP_, .Lfunc_end60-_ZN7rocprim17ROCPRIM_400000_NS6detail17trampoline_kernelINS0_14default_configENS1_32segmented_reduce_config_selectorIfEEZNS1_21segmented_reduce_implIS3_PKfPfPKifN6hipcub16HIPCUB_304000_NS6detail27convert_result_type_wrapperIS8_S9_N2at6native12_GLOBAL__N_19CustomMinEEEEE10hipError_tPvRmT0_T1_jT2_SQ_T4_T3_P12ihipStream_tbEUlT_E_NS1_11comp_targetILNS1_3genE0ELNS1_11target_archE4294967295ELNS1_3gpuE0ELNS1_3repE0EEENS1_30default_config_static_selectorELNS0_4arch9wavefront6targetE1EEEvSP_
                                        ; -- End function
	.set _ZN7rocprim17ROCPRIM_400000_NS6detail17trampoline_kernelINS0_14default_configENS1_32segmented_reduce_config_selectorIfEEZNS1_21segmented_reduce_implIS3_PKfPfPKifN6hipcub16HIPCUB_304000_NS6detail27convert_result_type_wrapperIS8_S9_N2at6native12_GLOBAL__N_19CustomMinEEEEE10hipError_tPvRmT0_T1_jT2_SQ_T4_T3_P12ihipStream_tbEUlT_E_NS1_11comp_targetILNS1_3genE0ELNS1_11target_archE4294967295ELNS1_3gpuE0ELNS1_3repE0EEENS1_30default_config_static_selectorELNS0_4arch9wavefront6targetE1EEEvSP_.num_vgpr, 0
	.set _ZN7rocprim17ROCPRIM_400000_NS6detail17trampoline_kernelINS0_14default_configENS1_32segmented_reduce_config_selectorIfEEZNS1_21segmented_reduce_implIS3_PKfPfPKifN6hipcub16HIPCUB_304000_NS6detail27convert_result_type_wrapperIS8_S9_N2at6native12_GLOBAL__N_19CustomMinEEEEE10hipError_tPvRmT0_T1_jT2_SQ_T4_T3_P12ihipStream_tbEUlT_E_NS1_11comp_targetILNS1_3genE0ELNS1_11target_archE4294967295ELNS1_3gpuE0ELNS1_3repE0EEENS1_30default_config_static_selectorELNS0_4arch9wavefront6targetE1EEEvSP_.num_agpr, 0
	.set _ZN7rocprim17ROCPRIM_400000_NS6detail17trampoline_kernelINS0_14default_configENS1_32segmented_reduce_config_selectorIfEEZNS1_21segmented_reduce_implIS3_PKfPfPKifN6hipcub16HIPCUB_304000_NS6detail27convert_result_type_wrapperIS8_S9_N2at6native12_GLOBAL__N_19CustomMinEEEEE10hipError_tPvRmT0_T1_jT2_SQ_T4_T3_P12ihipStream_tbEUlT_E_NS1_11comp_targetILNS1_3genE0ELNS1_11target_archE4294967295ELNS1_3gpuE0ELNS1_3repE0EEENS1_30default_config_static_selectorELNS0_4arch9wavefront6targetE1EEEvSP_.numbered_sgpr, 0
	.set _ZN7rocprim17ROCPRIM_400000_NS6detail17trampoline_kernelINS0_14default_configENS1_32segmented_reduce_config_selectorIfEEZNS1_21segmented_reduce_implIS3_PKfPfPKifN6hipcub16HIPCUB_304000_NS6detail27convert_result_type_wrapperIS8_S9_N2at6native12_GLOBAL__N_19CustomMinEEEEE10hipError_tPvRmT0_T1_jT2_SQ_T4_T3_P12ihipStream_tbEUlT_E_NS1_11comp_targetILNS1_3genE0ELNS1_11target_archE4294967295ELNS1_3gpuE0ELNS1_3repE0EEENS1_30default_config_static_selectorELNS0_4arch9wavefront6targetE1EEEvSP_.num_named_barrier, 0
	.set _ZN7rocprim17ROCPRIM_400000_NS6detail17trampoline_kernelINS0_14default_configENS1_32segmented_reduce_config_selectorIfEEZNS1_21segmented_reduce_implIS3_PKfPfPKifN6hipcub16HIPCUB_304000_NS6detail27convert_result_type_wrapperIS8_S9_N2at6native12_GLOBAL__N_19CustomMinEEEEE10hipError_tPvRmT0_T1_jT2_SQ_T4_T3_P12ihipStream_tbEUlT_E_NS1_11comp_targetILNS1_3genE0ELNS1_11target_archE4294967295ELNS1_3gpuE0ELNS1_3repE0EEENS1_30default_config_static_selectorELNS0_4arch9wavefront6targetE1EEEvSP_.private_seg_size, 0
	.set _ZN7rocprim17ROCPRIM_400000_NS6detail17trampoline_kernelINS0_14default_configENS1_32segmented_reduce_config_selectorIfEEZNS1_21segmented_reduce_implIS3_PKfPfPKifN6hipcub16HIPCUB_304000_NS6detail27convert_result_type_wrapperIS8_S9_N2at6native12_GLOBAL__N_19CustomMinEEEEE10hipError_tPvRmT0_T1_jT2_SQ_T4_T3_P12ihipStream_tbEUlT_E_NS1_11comp_targetILNS1_3genE0ELNS1_11target_archE4294967295ELNS1_3gpuE0ELNS1_3repE0EEENS1_30default_config_static_selectorELNS0_4arch9wavefront6targetE1EEEvSP_.uses_vcc, 0
	.set _ZN7rocprim17ROCPRIM_400000_NS6detail17trampoline_kernelINS0_14default_configENS1_32segmented_reduce_config_selectorIfEEZNS1_21segmented_reduce_implIS3_PKfPfPKifN6hipcub16HIPCUB_304000_NS6detail27convert_result_type_wrapperIS8_S9_N2at6native12_GLOBAL__N_19CustomMinEEEEE10hipError_tPvRmT0_T1_jT2_SQ_T4_T3_P12ihipStream_tbEUlT_E_NS1_11comp_targetILNS1_3genE0ELNS1_11target_archE4294967295ELNS1_3gpuE0ELNS1_3repE0EEENS1_30default_config_static_selectorELNS0_4arch9wavefront6targetE1EEEvSP_.uses_flat_scratch, 0
	.set _ZN7rocprim17ROCPRIM_400000_NS6detail17trampoline_kernelINS0_14default_configENS1_32segmented_reduce_config_selectorIfEEZNS1_21segmented_reduce_implIS3_PKfPfPKifN6hipcub16HIPCUB_304000_NS6detail27convert_result_type_wrapperIS8_S9_N2at6native12_GLOBAL__N_19CustomMinEEEEE10hipError_tPvRmT0_T1_jT2_SQ_T4_T3_P12ihipStream_tbEUlT_E_NS1_11comp_targetILNS1_3genE0ELNS1_11target_archE4294967295ELNS1_3gpuE0ELNS1_3repE0EEENS1_30default_config_static_selectorELNS0_4arch9wavefront6targetE1EEEvSP_.has_dyn_sized_stack, 0
	.set _ZN7rocprim17ROCPRIM_400000_NS6detail17trampoline_kernelINS0_14default_configENS1_32segmented_reduce_config_selectorIfEEZNS1_21segmented_reduce_implIS3_PKfPfPKifN6hipcub16HIPCUB_304000_NS6detail27convert_result_type_wrapperIS8_S9_N2at6native12_GLOBAL__N_19CustomMinEEEEE10hipError_tPvRmT0_T1_jT2_SQ_T4_T3_P12ihipStream_tbEUlT_E_NS1_11comp_targetILNS1_3genE0ELNS1_11target_archE4294967295ELNS1_3gpuE0ELNS1_3repE0EEENS1_30default_config_static_selectorELNS0_4arch9wavefront6targetE1EEEvSP_.has_recursion, 0
	.set _ZN7rocprim17ROCPRIM_400000_NS6detail17trampoline_kernelINS0_14default_configENS1_32segmented_reduce_config_selectorIfEEZNS1_21segmented_reduce_implIS3_PKfPfPKifN6hipcub16HIPCUB_304000_NS6detail27convert_result_type_wrapperIS8_S9_N2at6native12_GLOBAL__N_19CustomMinEEEEE10hipError_tPvRmT0_T1_jT2_SQ_T4_T3_P12ihipStream_tbEUlT_E_NS1_11comp_targetILNS1_3genE0ELNS1_11target_archE4294967295ELNS1_3gpuE0ELNS1_3repE0EEENS1_30default_config_static_selectorELNS0_4arch9wavefront6targetE1EEEvSP_.has_indirect_call, 0
	.section	.AMDGPU.csdata,"",@progbits
; Kernel info:
; codeLenInByte = 0
; TotalNumSgprs: 4
; NumVgprs: 0
; ScratchSize: 0
; MemoryBound: 0
; FloatMode: 240
; IeeeMode: 1
; LDSByteSize: 0 bytes/workgroup (compile time only)
; SGPRBlocks: 0
; VGPRBlocks: 0
; NumSGPRsForWavesPerEU: 4
; NumVGPRsForWavesPerEU: 1
; Occupancy: 10
; WaveLimiterHint : 0
; COMPUTE_PGM_RSRC2:SCRATCH_EN: 0
; COMPUTE_PGM_RSRC2:USER_SGPR: 6
; COMPUTE_PGM_RSRC2:TRAP_HANDLER: 0
; COMPUTE_PGM_RSRC2:TGID_X_EN: 1
; COMPUTE_PGM_RSRC2:TGID_Y_EN: 0
; COMPUTE_PGM_RSRC2:TGID_Z_EN: 0
; COMPUTE_PGM_RSRC2:TIDIG_COMP_CNT: 0
	.section	.text._ZN7rocprim17ROCPRIM_400000_NS6detail17trampoline_kernelINS0_14default_configENS1_32segmented_reduce_config_selectorIfEEZNS1_21segmented_reduce_implIS3_PKfPfPKifN6hipcub16HIPCUB_304000_NS6detail27convert_result_type_wrapperIS8_S9_N2at6native12_GLOBAL__N_19CustomMinEEEEE10hipError_tPvRmT0_T1_jT2_SQ_T4_T3_P12ihipStream_tbEUlT_E_NS1_11comp_targetILNS1_3genE5ELNS1_11target_archE942ELNS1_3gpuE9ELNS1_3repE0EEENS1_30default_config_static_selectorELNS0_4arch9wavefront6targetE1EEEvSP_,"axG",@progbits,_ZN7rocprim17ROCPRIM_400000_NS6detail17trampoline_kernelINS0_14default_configENS1_32segmented_reduce_config_selectorIfEEZNS1_21segmented_reduce_implIS3_PKfPfPKifN6hipcub16HIPCUB_304000_NS6detail27convert_result_type_wrapperIS8_S9_N2at6native12_GLOBAL__N_19CustomMinEEEEE10hipError_tPvRmT0_T1_jT2_SQ_T4_T3_P12ihipStream_tbEUlT_E_NS1_11comp_targetILNS1_3genE5ELNS1_11target_archE942ELNS1_3gpuE9ELNS1_3repE0EEENS1_30default_config_static_selectorELNS0_4arch9wavefront6targetE1EEEvSP_,comdat
	.globl	_ZN7rocprim17ROCPRIM_400000_NS6detail17trampoline_kernelINS0_14default_configENS1_32segmented_reduce_config_selectorIfEEZNS1_21segmented_reduce_implIS3_PKfPfPKifN6hipcub16HIPCUB_304000_NS6detail27convert_result_type_wrapperIS8_S9_N2at6native12_GLOBAL__N_19CustomMinEEEEE10hipError_tPvRmT0_T1_jT2_SQ_T4_T3_P12ihipStream_tbEUlT_E_NS1_11comp_targetILNS1_3genE5ELNS1_11target_archE942ELNS1_3gpuE9ELNS1_3repE0EEENS1_30default_config_static_selectorELNS0_4arch9wavefront6targetE1EEEvSP_ ; -- Begin function _ZN7rocprim17ROCPRIM_400000_NS6detail17trampoline_kernelINS0_14default_configENS1_32segmented_reduce_config_selectorIfEEZNS1_21segmented_reduce_implIS3_PKfPfPKifN6hipcub16HIPCUB_304000_NS6detail27convert_result_type_wrapperIS8_S9_N2at6native12_GLOBAL__N_19CustomMinEEEEE10hipError_tPvRmT0_T1_jT2_SQ_T4_T3_P12ihipStream_tbEUlT_E_NS1_11comp_targetILNS1_3genE5ELNS1_11target_archE942ELNS1_3gpuE9ELNS1_3repE0EEENS1_30default_config_static_selectorELNS0_4arch9wavefront6targetE1EEEvSP_
	.p2align	8
	.type	_ZN7rocprim17ROCPRIM_400000_NS6detail17trampoline_kernelINS0_14default_configENS1_32segmented_reduce_config_selectorIfEEZNS1_21segmented_reduce_implIS3_PKfPfPKifN6hipcub16HIPCUB_304000_NS6detail27convert_result_type_wrapperIS8_S9_N2at6native12_GLOBAL__N_19CustomMinEEEEE10hipError_tPvRmT0_T1_jT2_SQ_T4_T3_P12ihipStream_tbEUlT_E_NS1_11comp_targetILNS1_3genE5ELNS1_11target_archE942ELNS1_3gpuE9ELNS1_3repE0EEENS1_30default_config_static_selectorELNS0_4arch9wavefront6targetE1EEEvSP_,@function
_ZN7rocprim17ROCPRIM_400000_NS6detail17trampoline_kernelINS0_14default_configENS1_32segmented_reduce_config_selectorIfEEZNS1_21segmented_reduce_implIS3_PKfPfPKifN6hipcub16HIPCUB_304000_NS6detail27convert_result_type_wrapperIS8_S9_N2at6native12_GLOBAL__N_19CustomMinEEEEE10hipError_tPvRmT0_T1_jT2_SQ_T4_T3_P12ihipStream_tbEUlT_E_NS1_11comp_targetILNS1_3genE5ELNS1_11target_archE942ELNS1_3gpuE9ELNS1_3repE0EEENS1_30default_config_static_selectorELNS0_4arch9wavefront6targetE1EEEvSP_: ; @_ZN7rocprim17ROCPRIM_400000_NS6detail17trampoline_kernelINS0_14default_configENS1_32segmented_reduce_config_selectorIfEEZNS1_21segmented_reduce_implIS3_PKfPfPKifN6hipcub16HIPCUB_304000_NS6detail27convert_result_type_wrapperIS8_S9_N2at6native12_GLOBAL__N_19CustomMinEEEEE10hipError_tPvRmT0_T1_jT2_SQ_T4_T3_P12ihipStream_tbEUlT_E_NS1_11comp_targetILNS1_3genE5ELNS1_11target_archE942ELNS1_3gpuE9ELNS1_3repE0EEENS1_30default_config_static_selectorELNS0_4arch9wavefront6targetE1EEEvSP_
; %bb.0:
	.section	.rodata,"a",@progbits
	.p2align	6, 0x0
	.amdhsa_kernel _ZN7rocprim17ROCPRIM_400000_NS6detail17trampoline_kernelINS0_14default_configENS1_32segmented_reduce_config_selectorIfEEZNS1_21segmented_reduce_implIS3_PKfPfPKifN6hipcub16HIPCUB_304000_NS6detail27convert_result_type_wrapperIS8_S9_N2at6native12_GLOBAL__N_19CustomMinEEEEE10hipError_tPvRmT0_T1_jT2_SQ_T4_T3_P12ihipStream_tbEUlT_E_NS1_11comp_targetILNS1_3genE5ELNS1_11target_archE942ELNS1_3gpuE9ELNS1_3repE0EEENS1_30default_config_static_selectorELNS0_4arch9wavefront6targetE1EEEvSP_
		.amdhsa_group_segment_fixed_size 0
		.amdhsa_private_segment_fixed_size 0
		.amdhsa_kernarg_size 48
		.amdhsa_user_sgpr_count 6
		.amdhsa_user_sgpr_private_segment_buffer 1
		.amdhsa_user_sgpr_dispatch_ptr 0
		.amdhsa_user_sgpr_queue_ptr 0
		.amdhsa_user_sgpr_kernarg_segment_ptr 1
		.amdhsa_user_sgpr_dispatch_id 0
		.amdhsa_user_sgpr_flat_scratch_init 0
		.amdhsa_user_sgpr_private_segment_size 0
		.amdhsa_uses_dynamic_stack 0
		.amdhsa_system_sgpr_private_segment_wavefront_offset 0
		.amdhsa_system_sgpr_workgroup_id_x 1
		.amdhsa_system_sgpr_workgroup_id_y 0
		.amdhsa_system_sgpr_workgroup_id_z 0
		.amdhsa_system_sgpr_workgroup_info 0
		.amdhsa_system_vgpr_workitem_id 0
		.amdhsa_next_free_vgpr 1
		.amdhsa_next_free_sgpr 0
		.amdhsa_reserve_vcc 0
		.amdhsa_reserve_flat_scratch 0
		.amdhsa_float_round_mode_32 0
		.amdhsa_float_round_mode_16_64 0
		.amdhsa_float_denorm_mode_32 3
		.amdhsa_float_denorm_mode_16_64 3
		.amdhsa_dx10_clamp 1
		.amdhsa_ieee_mode 1
		.amdhsa_fp16_overflow 0
		.amdhsa_exception_fp_ieee_invalid_op 0
		.amdhsa_exception_fp_denorm_src 0
		.amdhsa_exception_fp_ieee_div_zero 0
		.amdhsa_exception_fp_ieee_overflow 0
		.amdhsa_exception_fp_ieee_underflow 0
		.amdhsa_exception_fp_ieee_inexact 0
		.amdhsa_exception_int_div_zero 0
	.end_amdhsa_kernel
	.section	.text._ZN7rocprim17ROCPRIM_400000_NS6detail17trampoline_kernelINS0_14default_configENS1_32segmented_reduce_config_selectorIfEEZNS1_21segmented_reduce_implIS3_PKfPfPKifN6hipcub16HIPCUB_304000_NS6detail27convert_result_type_wrapperIS8_S9_N2at6native12_GLOBAL__N_19CustomMinEEEEE10hipError_tPvRmT0_T1_jT2_SQ_T4_T3_P12ihipStream_tbEUlT_E_NS1_11comp_targetILNS1_3genE5ELNS1_11target_archE942ELNS1_3gpuE9ELNS1_3repE0EEENS1_30default_config_static_selectorELNS0_4arch9wavefront6targetE1EEEvSP_,"axG",@progbits,_ZN7rocprim17ROCPRIM_400000_NS6detail17trampoline_kernelINS0_14default_configENS1_32segmented_reduce_config_selectorIfEEZNS1_21segmented_reduce_implIS3_PKfPfPKifN6hipcub16HIPCUB_304000_NS6detail27convert_result_type_wrapperIS8_S9_N2at6native12_GLOBAL__N_19CustomMinEEEEE10hipError_tPvRmT0_T1_jT2_SQ_T4_T3_P12ihipStream_tbEUlT_E_NS1_11comp_targetILNS1_3genE5ELNS1_11target_archE942ELNS1_3gpuE9ELNS1_3repE0EEENS1_30default_config_static_selectorELNS0_4arch9wavefront6targetE1EEEvSP_,comdat
.Lfunc_end61:
	.size	_ZN7rocprim17ROCPRIM_400000_NS6detail17trampoline_kernelINS0_14default_configENS1_32segmented_reduce_config_selectorIfEEZNS1_21segmented_reduce_implIS3_PKfPfPKifN6hipcub16HIPCUB_304000_NS6detail27convert_result_type_wrapperIS8_S9_N2at6native12_GLOBAL__N_19CustomMinEEEEE10hipError_tPvRmT0_T1_jT2_SQ_T4_T3_P12ihipStream_tbEUlT_E_NS1_11comp_targetILNS1_3genE5ELNS1_11target_archE942ELNS1_3gpuE9ELNS1_3repE0EEENS1_30default_config_static_selectorELNS0_4arch9wavefront6targetE1EEEvSP_, .Lfunc_end61-_ZN7rocprim17ROCPRIM_400000_NS6detail17trampoline_kernelINS0_14default_configENS1_32segmented_reduce_config_selectorIfEEZNS1_21segmented_reduce_implIS3_PKfPfPKifN6hipcub16HIPCUB_304000_NS6detail27convert_result_type_wrapperIS8_S9_N2at6native12_GLOBAL__N_19CustomMinEEEEE10hipError_tPvRmT0_T1_jT2_SQ_T4_T3_P12ihipStream_tbEUlT_E_NS1_11comp_targetILNS1_3genE5ELNS1_11target_archE942ELNS1_3gpuE9ELNS1_3repE0EEENS1_30default_config_static_selectorELNS0_4arch9wavefront6targetE1EEEvSP_
                                        ; -- End function
	.set _ZN7rocprim17ROCPRIM_400000_NS6detail17trampoline_kernelINS0_14default_configENS1_32segmented_reduce_config_selectorIfEEZNS1_21segmented_reduce_implIS3_PKfPfPKifN6hipcub16HIPCUB_304000_NS6detail27convert_result_type_wrapperIS8_S9_N2at6native12_GLOBAL__N_19CustomMinEEEEE10hipError_tPvRmT0_T1_jT2_SQ_T4_T3_P12ihipStream_tbEUlT_E_NS1_11comp_targetILNS1_3genE5ELNS1_11target_archE942ELNS1_3gpuE9ELNS1_3repE0EEENS1_30default_config_static_selectorELNS0_4arch9wavefront6targetE1EEEvSP_.num_vgpr, 0
	.set _ZN7rocprim17ROCPRIM_400000_NS6detail17trampoline_kernelINS0_14default_configENS1_32segmented_reduce_config_selectorIfEEZNS1_21segmented_reduce_implIS3_PKfPfPKifN6hipcub16HIPCUB_304000_NS6detail27convert_result_type_wrapperIS8_S9_N2at6native12_GLOBAL__N_19CustomMinEEEEE10hipError_tPvRmT0_T1_jT2_SQ_T4_T3_P12ihipStream_tbEUlT_E_NS1_11comp_targetILNS1_3genE5ELNS1_11target_archE942ELNS1_3gpuE9ELNS1_3repE0EEENS1_30default_config_static_selectorELNS0_4arch9wavefront6targetE1EEEvSP_.num_agpr, 0
	.set _ZN7rocprim17ROCPRIM_400000_NS6detail17trampoline_kernelINS0_14default_configENS1_32segmented_reduce_config_selectorIfEEZNS1_21segmented_reduce_implIS3_PKfPfPKifN6hipcub16HIPCUB_304000_NS6detail27convert_result_type_wrapperIS8_S9_N2at6native12_GLOBAL__N_19CustomMinEEEEE10hipError_tPvRmT0_T1_jT2_SQ_T4_T3_P12ihipStream_tbEUlT_E_NS1_11comp_targetILNS1_3genE5ELNS1_11target_archE942ELNS1_3gpuE9ELNS1_3repE0EEENS1_30default_config_static_selectorELNS0_4arch9wavefront6targetE1EEEvSP_.numbered_sgpr, 0
	.set _ZN7rocprim17ROCPRIM_400000_NS6detail17trampoline_kernelINS0_14default_configENS1_32segmented_reduce_config_selectorIfEEZNS1_21segmented_reduce_implIS3_PKfPfPKifN6hipcub16HIPCUB_304000_NS6detail27convert_result_type_wrapperIS8_S9_N2at6native12_GLOBAL__N_19CustomMinEEEEE10hipError_tPvRmT0_T1_jT2_SQ_T4_T3_P12ihipStream_tbEUlT_E_NS1_11comp_targetILNS1_3genE5ELNS1_11target_archE942ELNS1_3gpuE9ELNS1_3repE0EEENS1_30default_config_static_selectorELNS0_4arch9wavefront6targetE1EEEvSP_.num_named_barrier, 0
	.set _ZN7rocprim17ROCPRIM_400000_NS6detail17trampoline_kernelINS0_14default_configENS1_32segmented_reduce_config_selectorIfEEZNS1_21segmented_reduce_implIS3_PKfPfPKifN6hipcub16HIPCUB_304000_NS6detail27convert_result_type_wrapperIS8_S9_N2at6native12_GLOBAL__N_19CustomMinEEEEE10hipError_tPvRmT0_T1_jT2_SQ_T4_T3_P12ihipStream_tbEUlT_E_NS1_11comp_targetILNS1_3genE5ELNS1_11target_archE942ELNS1_3gpuE9ELNS1_3repE0EEENS1_30default_config_static_selectorELNS0_4arch9wavefront6targetE1EEEvSP_.private_seg_size, 0
	.set _ZN7rocprim17ROCPRIM_400000_NS6detail17trampoline_kernelINS0_14default_configENS1_32segmented_reduce_config_selectorIfEEZNS1_21segmented_reduce_implIS3_PKfPfPKifN6hipcub16HIPCUB_304000_NS6detail27convert_result_type_wrapperIS8_S9_N2at6native12_GLOBAL__N_19CustomMinEEEEE10hipError_tPvRmT0_T1_jT2_SQ_T4_T3_P12ihipStream_tbEUlT_E_NS1_11comp_targetILNS1_3genE5ELNS1_11target_archE942ELNS1_3gpuE9ELNS1_3repE0EEENS1_30default_config_static_selectorELNS0_4arch9wavefront6targetE1EEEvSP_.uses_vcc, 0
	.set _ZN7rocprim17ROCPRIM_400000_NS6detail17trampoline_kernelINS0_14default_configENS1_32segmented_reduce_config_selectorIfEEZNS1_21segmented_reduce_implIS3_PKfPfPKifN6hipcub16HIPCUB_304000_NS6detail27convert_result_type_wrapperIS8_S9_N2at6native12_GLOBAL__N_19CustomMinEEEEE10hipError_tPvRmT0_T1_jT2_SQ_T4_T3_P12ihipStream_tbEUlT_E_NS1_11comp_targetILNS1_3genE5ELNS1_11target_archE942ELNS1_3gpuE9ELNS1_3repE0EEENS1_30default_config_static_selectorELNS0_4arch9wavefront6targetE1EEEvSP_.uses_flat_scratch, 0
	.set _ZN7rocprim17ROCPRIM_400000_NS6detail17trampoline_kernelINS0_14default_configENS1_32segmented_reduce_config_selectorIfEEZNS1_21segmented_reduce_implIS3_PKfPfPKifN6hipcub16HIPCUB_304000_NS6detail27convert_result_type_wrapperIS8_S9_N2at6native12_GLOBAL__N_19CustomMinEEEEE10hipError_tPvRmT0_T1_jT2_SQ_T4_T3_P12ihipStream_tbEUlT_E_NS1_11comp_targetILNS1_3genE5ELNS1_11target_archE942ELNS1_3gpuE9ELNS1_3repE0EEENS1_30default_config_static_selectorELNS0_4arch9wavefront6targetE1EEEvSP_.has_dyn_sized_stack, 0
	.set _ZN7rocprim17ROCPRIM_400000_NS6detail17trampoline_kernelINS0_14default_configENS1_32segmented_reduce_config_selectorIfEEZNS1_21segmented_reduce_implIS3_PKfPfPKifN6hipcub16HIPCUB_304000_NS6detail27convert_result_type_wrapperIS8_S9_N2at6native12_GLOBAL__N_19CustomMinEEEEE10hipError_tPvRmT0_T1_jT2_SQ_T4_T3_P12ihipStream_tbEUlT_E_NS1_11comp_targetILNS1_3genE5ELNS1_11target_archE942ELNS1_3gpuE9ELNS1_3repE0EEENS1_30default_config_static_selectorELNS0_4arch9wavefront6targetE1EEEvSP_.has_recursion, 0
	.set _ZN7rocprim17ROCPRIM_400000_NS6detail17trampoline_kernelINS0_14default_configENS1_32segmented_reduce_config_selectorIfEEZNS1_21segmented_reduce_implIS3_PKfPfPKifN6hipcub16HIPCUB_304000_NS6detail27convert_result_type_wrapperIS8_S9_N2at6native12_GLOBAL__N_19CustomMinEEEEE10hipError_tPvRmT0_T1_jT2_SQ_T4_T3_P12ihipStream_tbEUlT_E_NS1_11comp_targetILNS1_3genE5ELNS1_11target_archE942ELNS1_3gpuE9ELNS1_3repE0EEENS1_30default_config_static_selectorELNS0_4arch9wavefront6targetE1EEEvSP_.has_indirect_call, 0
	.section	.AMDGPU.csdata,"",@progbits
; Kernel info:
; codeLenInByte = 0
; TotalNumSgprs: 4
; NumVgprs: 0
; ScratchSize: 0
; MemoryBound: 0
; FloatMode: 240
; IeeeMode: 1
; LDSByteSize: 0 bytes/workgroup (compile time only)
; SGPRBlocks: 0
; VGPRBlocks: 0
; NumSGPRsForWavesPerEU: 4
; NumVGPRsForWavesPerEU: 1
; Occupancy: 10
; WaveLimiterHint : 0
; COMPUTE_PGM_RSRC2:SCRATCH_EN: 0
; COMPUTE_PGM_RSRC2:USER_SGPR: 6
; COMPUTE_PGM_RSRC2:TRAP_HANDLER: 0
; COMPUTE_PGM_RSRC2:TGID_X_EN: 1
; COMPUTE_PGM_RSRC2:TGID_Y_EN: 0
; COMPUTE_PGM_RSRC2:TGID_Z_EN: 0
; COMPUTE_PGM_RSRC2:TIDIG_COMP_CNT: 0
	.section	.text._ZN7rocprim17ROCPRIM_400000_NS6detail17trampoline_kernelINS0_14default_configENS1_32segmented_reduce_config_selectorIfEEZNS1_21segmented_reduce_implIS3_PKfPfPKifN6hipcub16HIPCUB_304000_NS6detail27convert_result_type_wrapperIS8_S9_N2at6native12_GLOBAL__N_19CustomMinEEEEE10hipError_tPvRmT0_T1_jT2_SQ_T4_T3_P12ihipStream_tbEUlT_E_NS1_11comp_targetILNS1_3genE10ELNS1_11target_archE1201ELNS1_3gpuE5ELNS1_3repE0EEENS1_30default_config_static_selectorELNS0_4arch9wavefront6targetE1EEEvSP_,"axG",@progbits,_ZN7rocprim17ROCPRIM_400000_NS6detail17trampoline_kernelINS0_14default_configENS1_32segmented_reduce_config_selectorIfEEZNS1_21segmented_reduce_implIS3_PKfPfPKifN6hipcub16HIPCUB_304000_NS6detail27convert_result_type_wrapperIS8_S9_N2at6native12_GLOBAL__N_19CustomMinEEEEE10hipError_tPvRmT0_T1_jT2_SQ_T4_T3_P12ihipStream_tbEUlT_E_NS1_11comp_targetILNS1_3genE10ELNS1_11target_archE1201ELNS1_3gpuE5ELNS1_3repE0EEENS1_30default_config_static_selectorELNS0_4arch9wavefront6targetE1EEEvSP_,comdat
	.globl	_ZN7rocprim17ROCPRIM_400000_NS6detail17trampoline_kernelINS0_14default_configENS1_32segmented_reduce_config_selectorIfEEZNS1_21segmented_reduce_implIS3_PKfPfPKifN6hipcub16HIPCUB_304000_NS6detail27convert_result_type_wrapperIS8_S9_N2at6native12_GLOBAL__N_19CustomMinEEEEE10hipError_tPvRmT0_T1_jT2_SQ_T4_T3_P12ihipStream_tbEUlT_E_NS1_11comp_targetILNS1_3genE10ELNS1_11target_archE1201ELNS1_3gpuE5ELNS1_3repE0EEENS1_30default_config_static_selectorELNS0_4arch9wavefront6targetE1EEEvSP_ ; -- Begin function _ZN7rocprim17ROCPRIM_400000_NS6detail17trampoline_kernelINS0_14default_configENS1_32segmented_reduce_config_selectorIfEEZNS1_21segmented_reduce_implIS3_PKfPfPKifN6hipcub16HIPCUB_304000_NS6detail27convert_result_type_wrapperIS8_S9_N2at6native12_GLOBAL__N_19CustomMinEEEEE10hipError_tPvRmT0_T1_jT2_SQ_T4_T3_P12ihipStream_tbEUlT_E_NS1_11comp_targetILNS1_3genE10ELNS1_11target_archE1201ELNS1_3gpuE5ELNS1_3repE0EEENS1_30default_config_static_selectorELNS0_4arch9wavefront6targetE1EEEvSP_
	.p2align	8
	.type	_ZN7rocprim17ROCPRIM_400000_NS6detail17trampoline_kernelINS0_14default_configENS1_32segmented_reduce_config_selectorIfEEZNS1_21segmented_reduce_implIS3_PKfPfPKifN6hipcub16HIPCUB_304000_NS6detail27convert_result_type_wrapperIS8_S9_N2at6native12_GLOBAL__N_19CustomMinEEEEE10hipError_tPvRmT0_T1_jT2_SQ_T4_T3_P12ihipStream_tbEUlT_E_NS1_11comp_targetILNS1_3genE10ELNS1_11target_archE1201ELNS1_3gpuE5ELNS1_3repE0EEENS1_30default_config_static_selectorELNS0_4arch9wavefront6targetE1EEEvSP_,@function
_ZN7rocprim17ROCPRIM_400000_NS6detail17trampoline_kernelINS0_14default_configENS1_32segmented_reduce_config_selectorIfEEZNS1_21segmented_reduce_implIS3_PKfPfPKifN6hipcub16HIPCUB_304000_NS6detail27convert_result_type_wrapperIS8_S9_N2at6native12_GLOBAL__N_19CustomMinEEEEE10hipError_tPvRmT0_T1_jT2_SQ_T4_T3_P12ihipStream_tbEUlT_E_NS1_11comp_targetILNS1_3genE10ELNS1_11target_archE1201ELNS1_3gpuE5ELNS1_3repE0EEENS1_30default_config_static_selectorELNS0_4arch9wavefront6targetE1EEEvSP_: ; @_ZN7rocprim17ROCPRIM_400000_NS6detail17trampoline_kernelINS0_14default_configENS1_32segmented_reduce_config_selectorIfEEZNS1_21segmented_reduce_implIS3_PKfPfPKifN6hipcub16HIPCUB_304000_NS6detail27convert_result_type_wrapperIS8_S9_N2at6native12_GLOBAL__N_19CustomMinEEEEE10hipError_tPvRmT0_T1_jT2_SQ_T4_T3_P12ihipStream_tbEUlT_E_NS1_11comp_targetILNS1_3genE10ELNS1_11target_archE1201ELNS1_3gpuE5ELNS1_3repE0EEENS1_30default_config_static_selectorELNS0_4arch9wavefront6targetE1EEEvSP_
; %bb.0:
	.section	.rodata,"a",@progbits
	.p2align	6, 0x0
	.amdhsa_kernel _ZN7rocprim17ROCPRIM_400000_NS6detail17trampoline_kernelINS0_14default_configENS1_32segmented_reduce_config_selectorIfEEZNS1_21segmented_reduce_implIS3_PKfPfPKifN6hipcub16HIPCUB_304000_NS6detail27convert_result_type_wrapperIS8_S9_N2at6native12_GLOBAL__N_19CustomMinEEEEE10hipError_tPvRmT0_T1_jT2_SQ_T4_T3_P12ihipStream_tbEUlT_E_NS1_11comp_targetILNS1_3genE10ELNS1_11target_archE1201ELNS1_3gpuE5ELNS1_3repE0EEENS1_30default_config_static_selectorELNS0_4arch9wavefront6targetE1EEEvSP_
		.amdhsa_group_segment_fixed_size 0
		.amdhsa_private_segment_fixed_size 0
		.amdhsa_kernarg_size 48
		.amdhsa_user_sgpr_count 6
		.amdhsa_user_sgpr_private_segment_buffer 1
		.amdhsa_user_sgpr_dispatch_ptr 0
		.amdhsa_user_sgpr_queue_ptr 0
		.amdhsa_user_sgpr_kernarg_segment_ptr 1
		.amdhsa_user_sgpr_dispatch_id 0
		.amdhsa_user_sgpr_flat_scratch_init 0
		.amdhsa_user_sgpr_private_segment_size 0
		.amdhsa_uses_dynamic_stack 0
		.amdhsa_system_sgpr_private_segment_wavefront_offset 0
		.amdhsa_system_sgpr_workgroup_id_x 1
		.amdhsa_system_sgpr_workgroup_id_y 0
		.amdhsa_system_sgpr_workgroup_id_z 0
		.amdhsa_system_sgpr_workgroup_info 0
		.amdhsa_system_vgpr_workitem_id 0
		.amdhsa_next_free_vgpr 1
		.amdhsa_next_free_sgpr 0
		.amdhsa_reserve_vcc 0
		.amdhsa_reserve_flat_scratch 0
		.amdhsa_float_round_mode_32 0
		.amdhsa_float_round_mode_16_64 0
		.amdhsa_float_denorm_mode_32 3
		.amdhsa_float_denorm_mode_16_64 3
		.amdhsa_dx10_clamp 1
		.amdhsa_ieee_mode 1
		.amdhsa_fp16_overflow 0
		.amdhsa_exception_fp_ieee_invalid_op 0
		.amdhsa_exception_fp_denorm_src 0
		.amdhsa_exception_fp_ieee_div_zero 0
		.amdhsa_exception_fp_ieee_overflow 0
		.amdhsa_exception_fp_ieee_underflow 0
		.amdhsa_exception_fp_ieee_inexact 0
		.amdhsa_exception_int_div_zero 0
	.end_amdhsa_kernel
	.section	.text._ZN7rocprim17ROCPRIM_400000_NS6detail17trampoline_kernelINS0_14default_configENS1_32segmented_reduce_config_selectorIfEEZNS1_21segmented_reduce_implIS3_PKfPfPKifN6hipcub16HIPCUB_304000_NS6detail27convert_result_type_wrapperIS8_S9_N2at6native12_GLOBAL__N_19CustomMinEEEEE10hipError_tPvRmT0_T1_jT2_SQ_T4_T3_P12ihipStream_tbEUlT_E_NS1_11comp_targetILNS1_3genE10ELNS1_11target_archE1201ELNS1_3gpuE5ELNS1_3repE0EEENS1_30default_config_static_selectorELNS0_4arch9wavefront6targetE1EEEvSP_,"axG",@progbits,_ZN7rocprim17ROCPRIM_400000_NS6detail17trampoline_kernelINS0_14default_configENS1_32segmented_reduce_config_selectorIfEEZNS1_21segmented_reduce_implIS3_PKfPfPKifN6hipcub16HIPCUB_304000_NS6detail27convert_result_type_wrapperIS8_S9_N2at6native12_GLOBAL__N_19CustomMinEEEEE10hipError_tPvRmT0_T1_jT2_SQ_T4_T3_P12ihipStream_tbEUlT_E_NS1_11comp_targetILNS1_3genE10ELNS1_11target_archE1201ELNS1_3gpuE5ELNS1_3repE0EEENS1_30default_config_static_selectorELNS0_4arch9wavefront6targetE1EEEvSP_,comdat
.Lfunc_end62:
	.size	_ZN7rocprim17ROCPRIM_400000_NS6detail17trampoline_kernelINS0_14default_configENS1_32segmented_reduce_config_selectorIfEEZNS1_21segmented_reduce_implIS3_PKfPfPKifN6hipcub16HIPCUB_304000_NS6detail27convert_result_type_wrapperIS8_S9_N2at6native12_GLOBAL__N_19CustomMinEEEEE10hipError_tPvRmT0_T1_jT2_SQ_T4_T3_P12ihipStream_tbEUlT_E_NS1_11comp_targetILNS1_3genE10ELNS1_11target_archE1201ELNS1_3gpuE5ELNS1_3repE0EEENS1_30default_config_static_selectorELNS0_4arch9wavefront6targetE1EEEvSP_, .Lfunc_end62-_ZN7rocprim17ROCPRIM_400000_NS6detail17trampoline_kernelINS0_14default_configENS1_32segmented_reduce_config_selectorIfEEZNS1_21segmented_reduce_implIS3_PKfPfPKifN6hipcub16HIPCUB_304000_NS6detail27convert_result_type_wrapperIS8_S9_N2at6native12_GLOBAL__N_19CustomMinEEEEE10hipError_tPvRmT0_T1_jT2_SQ_T4_T3_P12ihipStream_tbEUlT_E_NS1_11comp_targetILNS1_3genE10ELNS1_11target_archE1201ELNS1_3gpuE5ELNS1_3repE0EEENS1_30default_config_static_selectorELNS0_4arch9wavefront6targetE1EEEvSP_
                                        ; -- End function
	.set _ZN7rocprim17ROCPRIM_400000_NS6detail17trampoline_kernelINS0_14default_configENS1_32segmented_reduce_config_selectorIfEEZNS1_21segmented_reduce_implIS3_PKfPfPKifN6hipcub16HIPCUB_304000_NS6detail27convert_result_type_wrapperIS8_S9_N2at6native12_GLOBAL__N_19CustomMinEEEEE10hipError_tPvRmT0_T1_jT2_SQ_T4_T3_P12ihipStream_tbEUlT_E_NS1_11comp_targetILNS1_3genE10ELNS1_11target_archE1201ELNS1_3gpuE5ELNS1_3repE0EEENS1_30default_config_static_selectorELNS0_4arch9wavefront6targetE1EEEvSP_.num_vgpr, 0
	.set _ZN7rocprim17ROCPRIM_400000_NS6detail17trampoline_kernelINS0_14default_configENS1_32segmented_reduce_config_selectorIfEEZNS1_21segmented_reduce_implIS3_PKfPfPKifN6hipcub16HIPCUB_304000_NS6detail27convert_result_type_wrapperIS8_S9_N2at6native12_GLOBAL__N_19CustomMinEEEEE10hipError_tPvRmT0_T1_jT2_SQ_T4_T3_P12ihipStream_tbEUlT_E_NS1_11comp_targetILNS1_3genE10ELNS1_11target_archE1201ELNS1_3gpuE5ELNS1_3repE0EEENS1_30default_config_static_selectorELNS0_4arch9wavefront6targetE1EEEvSP_.num_agpr, 0
	.set _ZN7rocprim17ROCPRIM_400000_NS6detail17trampoline_kernelINS0_14default_configENS1_32segmented_reduce_config_selectorIfEEZNS1_21segmented_reduce_implIS3_PKfPfPKifN6hipcub16HIPCUB_304000_NS6detail27convert_result_type_wrapperIS8_S9_N2at6native12_GLOBAL__N_19CustomMinEEEEE10hipError_tPvRmT0_T1_jT2_SQ_T4_T3_P12ihipStream_tbEUlT_E_NS1_11comp_targetILNS1_3genE10ELNS1_11target_archE1201ELNS1_3gpuE5ELNS1_3repE0EEENS1_30default_config_static_selectorELNS0_4arch9wavefront6targetE1EEEvSP_.numbered_sgpr, 0
	.set _ZN7rocprim17ROCPRIM_400000_NS6detail17trampoline_kernelINS0_14default_configENS1_32segmented_reduce_config_selectorIfEEZNS1_21segmented_reduce_implIS3_PKfPfPKifN6hipcub16HIPCUB_304000_NS6detail27convert_result_type_wrapperIS8_S9_N2at6native12_GLOBAL__N_19CustomMinEEEEE10hipError_tPvRmT0_T1_jT2_SQ_T4_T3_P12ihipStream_tbEUlT_E_NS1_11comp_targetILNS1_3genE10ELNS1_11target_archE1201ELNS1_3gpuE5ELNS1_3repE0EEENS1_30default_config_static_selectorELNS0_4arch9wavefront6targetE1EEEvSP_.num_named_barrier, 0
	.set _ZN7rocprim17ROCPRIM_400000_NS6detail17trampoline_kernelINS0_14default_configENS1_32segmented_reduce_config_selectorIfEEZNS1_21segmented_reduce_implIS3_PKfPfPKifN6hipcub16HIPCUB_304000_NS6detail27convert_result_type_wrapperIS8_S9_N2at6native12_GLOBAL__N_19CustomMinEEEEE10hipError_tPvRmT0_T1_jT2_SQ_T4_T3_P12ihipStream_tbEUlT_E_NS1_11comp_targetILNS1_3genE10ELNS1_11target_archE1201ELNS1_3gpuE5ELNS1_3repE0EEENS1_30default_config_static_selectorELNS0_4arch9wavefront6targetE1EEEvSP_.private_seg_size, 0
	.set _ZN7rocprim17ROCPRIM_400000_NS6detail17trampoline_kernelINS0_14default_configENS1_32segmented_reduce_config_selectorIfEEZNS1_21segmented_reduce_implIS3_PKfPfPKifN6hipcub16HIPCUB_304000_NS6detail27convert_result_type_wrapperIS8_S9_N2at6native12_GLOBAL__N_19CustomMinEEEEE10hipError_tPvRmT0_T1_jT2_SQ_T4_T3_P12ihipStream_tbEUlT_E_NS1_11comp_targetILNS1_3genE10ELNS1_11target_archE1201ELNS1_3gpuE5ELNS1_3repE0EEENS1_30default_config_static_selectorELNS0_4arch9wavefront6targetE1EEEvSP_.uses_vcc, 0
	.set _ZN7rocprim17ROCPRIM_400000_NS6detail17trampoline_kernelINS0_14default_configENS1_32segmented_reduce_config_selectorIfEEZNS1_21segmented_reduce_implIS3_PKfPfPKifN6hipcub16HIPCUB_304000_NS6detail27convert_result_type_wrapperIS8_S9_N2at6native12_GLOBAL__N_19CustomMinEEEEE10hipError_tPvRmT0_T1_jT2_SQ_T4_T3_P12ihipStream_tbEUlT_E_NS1_11comp_targetILNS1_3genE10ELNS1_11target_archE1201ELNS1_3gpuE5ELNS1_3repE0EEENS1_30default_config_static_selectorELNS0_4arch9wavefront6targetE1EEEvSP_.uses_flat_scratch, 0
	.set _ZN7rocprim17ROCPRIM_400000_NS6detail17trampoline_kernelINS0_14default_configENS1_32segmented_reduce_config_selectorIfEEZNS1_21segmented_reduce_implIS3_PKfPfPKifN6hipcub16HIPCUB_304000_NS6detail27convert_result_type_wrapperIS8_S9_N2at6native12_GLOBAL__N_19CustomMinEEEEE10hipError_tPvRmT0_T1_jT2_SQ_T4_T3_P12ihipStream_tbEUlT_E_NS1_11comp_targetILNS1_3genE10ELNS1_11target_archE1201ELNS1_3gpuE5ELNS1_3repE0EEENS1_30default_config_static_selectorELNS0_4arch9wavefront6targetE1EEEvSP_.has_dyn_sized_stack, 0
	.set _ZN7rocprim17ROCPRIM_400000_NS6detail17trampoline_kernelINS0_14default_configENS1_32segmented_reduce_config_selectorIfEEZNS1_21segmented_reduce_implIS3_PKfPfPKifN6hipcub16HIPCUB_304000_NS6detail27convert_result_type_wrapperIS8_S9_N2at6native12_GLOBAL__N_19CustomMinEEEEE10hipError_tPvRmT0_T1_jT2_SQ_T4_T3_P12ihipStream_tbEUlT_E_NS1_11comp_targetILNS1_3genE10ELNS1_11target_archE1201ELNS1_3gpuE5ELNS1_3repE0EEENS1_30default_config_static_selectorELNS0_4arch9wavefront6targetE1EEEvSP_.has_recursion, 0
	.set _ZN7rocprim17ROCPRIM_400000_NS6detail17trampoline_kernelINS0_14default_configENS1_32segmented_reduce_config_selectorIfEEZNS1_21segmented_reduce_implIS3_PKfPfPKifN6hipcub16HIPCUB_304000_NS6detail27convert_result_type_wrapperIS8_S9_N2at6native12_GLOBAL__N_19CustomMinEEEEE10hipError_tPvRmT0_T1_jT2_SQ_T4_T3_P12ihipStream_tbEUlT_E_NS1_11comp_targetILNS1_3genE10ELNS1_11target_archE1201ELNS1_3gpuE5ELNS1_3repE0EEENS1_30default_config_static_selectorELNS0_4arch9wavefront6targetE1EEEvSP_.has_indirect_call, 0
	.section	.AMDGPU.csdata,"",@progbits
; Kernel info:
; codeLenInByte = 0
; TotalNumSgprs: 4
; NumVgprs: 0
; ScratchSize: 0
; MemoryBound: 0
; FloatMode: 240
; IeeeMode: 1
; LDSByteSize: 0 bytes/workgroup (compile time only)
; SGPRBlocks: 0
; VGPRBlocks: 0
; NumSGPRsForWavesPerEU: 4
; NumVGPRsForWavesPerEU: 1
; Occupancy: 10
; WaveLimiterHint : 0
; COMPUTE_PGM_RSRC2:SCRATCH_EN: 0
; COMPUTE_PGM_RSRC2:USER_SGPR: 6
; COMPUTE_PGM_RSRC2:TRAP_HANDLER: 0
; COMPUTE_PGM_RSRC2:TGID_X_EN: 1
; COMPUTE_PGM_RSRC2:TGID_Y_EN: 0
; COMPUTE_PGM_RSRC2:TGID_Z_EN: 0
; COMPUTE_PGM_RSRC2:TIDIG_COMP_CNT: 0
	.section	.text._ZN7rocprim17ROCPRIM_400000_NS6detail17trampoline_kernelINS0_14default_configENS1_32segmented_reduce_config_selectorIfEEZNS1_21segmented_reduce_implIS3_PKfPfPKifN6hipcub16HIPCUB_304000_NS6detail27convert_result_type_wrapperIS8_S9_N2at6native12_GLOBAL__N_19CustomMinEEEEE10hipError_tPvRmT0_T1_jT2_SQ_T4_T3_P12ihipStream_tbEUlT_E_NS1_11comp_targetILNS1_3genE4ELNS1_11target_archE910ELNS1_3gpuE8ELNS1_3repE0EEENS1_30default_config_static_selectorELNS0_4arch9wavefront6targetE1EEEvSP_,"axG",@progbits,_ZN7rocprim17ROCPRIM_400000_NS6detail17trampoline_kernelINS0_14default_configENS1_32segmented_reduce_config_selectorIfEEZNS1_21segmented_reduce_implIS3_PKfPfPKifN6hipcub16HIPCUB_304000_NS6detail27convert_result_type_wrapperIS8_S9_N2at6native12_GLOBAL__N_19CustomMinEEEEE10hipError_tPvRmT0_T1_jT2_SQ_T4_T3_P12ihipStream_tbEUlT_E_NS1_11comp_targetILNS1_3genE4ELNS1_11target_archE910ELNS1_3gpuE8ELNS1_3repE0EEENS1_30default_config_static_selectorELNS0_4arch9wavefront6targetE1EEEvSP_,comdat
	.globl	_ZN7rocprim17ROCPRIM_400000_NS6detail17trampoline_kernelINS0_14default_configENS1_32segmented_reduce_config_selectorIfEEZNS1_21segmented_reduce_implIS3_PKfPfPKifN6hipcub16HIPCUB_304000_NS6detail27convert_result_type_wrapperIS8_S9_N2at6native12_GLOBAL__N_19CustomMinEEEEE10hipError_tPvRmT0_T1_jT2_SQ_T4_T3_P12ihipStream_tbEUlT_E_NS1_11comp_targetILNS1_3genE4ELNS1_11target_archE910ELNS1_3gpuE8ELNS1_3repE0EEENS1_30default_config_static_selectorELNS0_4arch9wavefront6targetE1EEEvSP_ ; -- Begin function _ZN7rocprim17ROCPRIM_400000_NS6detail17trampoline_kernelINS0_14default_configENS1_32segmented_reduce_config_selectorIfEEZNS1_21segmented_reduce_implIS3_PKfPfPKifN6hipcub16HIPCUB_304000_NS6detail27convert_result_type_wrapperIS8_S9_N2at6native12_GLOBAL__N_19CustomMinEEEEE10hipError_tPvRmT0_T1_jT2_SQ_T4_T3_P12ihipStream_tbEUlT_E_NS1_11comp_targetILNS1_3genE4ELNS1_11target_archE910ELNS1_3gpuE8ELNS1_3repE0EEENS1_30default_config_static_selectorELNS0_4arch9wavefront6targetE1EEEvSP_
	.p2align	8
	.type	_ZN7rocprim17ROCPRIM_400000_NS6detail17trampoline_kernelINS0_14default_configENS1_32segmented_reduce_config_selectorIfEEZNS1_21segmented_reduce_implIS3_PKfPfPKifN6hipcub16HIPCUB_304000_NS6detail27convert_result_type_wrapperIS8_S9_N2at6native12_GLOBAL__N_19CustomMinEEEEE10hipError_tPvRmT0_T1_jT2_SQ_T4_T3_P12ihipStream_tbEUlT_E_NS1_11comp_targetILNS1_3genE4ELNS1_11target_archE910ELNS1_3gpuE8ELNS1_3repE0EEENS1_30default_config_static_selectorELNS0_4arch9wavefront6targetE1EEEvSP_,@function
_ZN7rocprim17ROCPRIM_400000_NS6detail17trampoline_kernelINS0_14default_configENS1_32segmented_reduce_config_selectorIfEEZNS1_21segmented_reduce_implIS3_PKfPfPKifN6hipcub16HIPCUB_304000_NS6detail27convert_result_type_wrapperIS8_S9_N2at6native12_GLOBAL__N_19CustomMinEEEEE10hipError_tPvRmT0_T1_jT2_SQ_T4_T3_P12ihipStream_tbEUlT_E_NS1_11comp_targetILNS1_3genE4ELNS1_11target_archE910ELNS1_3gpuE8ELNS1_3repE0EEENS1_30default_config_static_selectorELNS0_4arch9wavefront6targetE1EEEvSP_: ; @_ZN7rocprim17ROCPRIM_400000_NS6detail17trampoline_kernelINS0_14default_configENS1_32segmented_reduce_config_selectorIfEEZNS1_21segmented_reduce_implIS3_PKfPfPKifN6hipcub16HIPCUB_304000_NS6detail27convert_result_type_wrapperIS8_S9_N2at6native12_GLOBAL__N_19CustomMinEEEEE10hipError_tPvRmT0_T1_jT2_SQ_T4_T3_P12ihipStream_tbEUlT_E_NS1_11comp_targetILNS1_3genE4ELNS1_11target_archE910ELNS1_3gpuE8ELNS1_3repE0EEENS1_30default_config_static_selectorELNS0_4arch9wavefront6targetE1EEEvSP_
; %bb.0:
	.section	.rodata,"a",@progbits
	.p2align	6, 0x0
	.amdhsa_kernel _ZN7rocprim17ROCPRIM_400000_NS6detail17trampoline_kernelINS0_14default_configENS1_32segmented_reduce_config_selectorIfEEZNS1_21segmented_reduce_implIS3_PKfPfPKifN6hipcub16HIPCUB_304000_NS6detail27convert_result_type_wrapperIS8_S9_N2at6native12_GLOBAL__N_19CustomMinEEEEE10hipError_tPvRmT0_T1_jT2_SQ_T4_T3_P12ihipStream_tbEUlT_E_NS1_11comp_targetILNS1_3genE4ELNS1_11target_archE910ELNS1_3gpuE8ELNS1_3repE0EEENS1_30default_config_static_selectorELNS0_4arch9wavefront6targetE1EEEvSP_
		.amdhsa_group_segment_fixed_size 0
		.amdhsa_private_segment_fixed_size 0
		.amdhsa_kernarg_size 48
		.amdhsa_user_sgpr_count 6
		.amdhsa_user_sgpr_private_segment_buffer 1
		.amdhsa_user_sgpr_dispatch_ptr 0
		.amdhsa_user_sgpr_queue_ptr 0
		.amdhsa_user_sgpr_kernarg_segment_ptr 1
		.amdhsa_user_sgpr_dispatch_id 0
		.amdhsa_user_sgpr_flat_scratch_init 0
		.amdhsa_user_sgpr_private_segment_size 0
		.amdhsa_uses_dynamic_stack 0
		.amdhsa_system_sgpr_private_segment_wavefront_offset 0
		.amdhsa_system_sgpr_workgroup_id_x 1
		.amdhsa_system_sgpr_workgroup_id_y 0
		.amdhsa_system_sgpr_workgroup_id_z 0
		.amdhsa_system_sgpr_workgroup_info 0
		.amdhsa_system_vgpr_workitem_id 0
		.amdhsa_next_free_vgpr 1
		.amdhsa_next_free_sgpr 0
		.amdhsa_reserve_vcc 0
		.amdhsa_reserve_flat_scratch 0
		.amdhsa_float_round_mode_32 0
		.amdhsa_float_round_mode_16_64 0
		.amdhsa_float_denorm_mode_32 3
		.amdhsa_float_denorm_mode_16_64 3
		.amdhsa_dx10_clamp 1
		.amdhsa_ieee_mode 1
		.amdhsa_fp16_overflow 0
		.amdhsa_exception_fp_ieee_invalid_op 0
		.amdhsa_exception_fp_denorm_src 0
		.amdhsa_exception_fp_ieee_div_zero 0
		.amdhsa_exception_fp_ieee_overflow 0
		.amdhsa_exception_fp_ieee_underflow 0
		.amdhsa_exception_fp_ieee_inexact 0
		.amdhsa_exception_int_div_zero 0
	.end_amdhsa_kernel
	.section	.text._ZN7rocprim17ROCPRIM_400000_NS6detail17trampoline_kernelINS0_14default_configENS1_32segmented_reduce_config_selectorIfEEZNS1_21segmented_reduce_implIS3_PKfPfPKifN6hipcub16HIPCUB_304000_NS6detail27convert_result_type_wrapperIS8_S9_N2at6native12_GLOBAL__N_19CustomMinEEEEE10hipError_tPvRmT0_T1_jT2_SQ_T4_T3_P12ihipStream_tbEUlT_E_NS1_11comp_targetILNS1_3genE4ELNS1_11target_archE910ELNS1_3gpuE8ELNS1_3repE0EEENS1_30default_config_static_selectorELNS0_4arch9wavefront6targetE1EEEvSP_,"axG",@progbits,_ZN7rocprim17ROCPRIM_400000_NS6detail17trampoline_kernelINS0_14default_configENS1_32segmented_reduce_config_selectorIfEEZNS1_21segmented_reduce_implIS3_PKfPfPKifN6hipcub16HIPCUB_304000_NS6detail27convert_result_type_wrapperIS8_S9_N2at6native12_GLOBAL__N_19CustomMinEEEEE10hipError_tPvRmT0_T1_jT2_SQ_T4_T3_P12ihipStream_tbEUlT_E_NS1_11comp_targetILNS1_3genE4ELNS1_11target_archE910ELNS1_3gpuE8ELNS1_3repE0EEENS1_30default_config_static_selectorELNS0_4arch9wavefront6targetE1EEEvSP_,comdat
.Lfunc_end63:
	.size	_ZN7rocprim17ROCPRIM_400000_NS6detail17trampoline_kernelINS0_14default_configENS1_32segmented_reduce_config_selectorIfEEZNS1_21segmented_reduce_implIS3_PKfPfPKifN6hipcub16HIPCUB_304000_NS6detail27convert_result_type_wrapperIS8_S9_N2at6native12_GLOBAL__N_19CustomMinEEEEE10hipError_tPvRmT0_T1_jT2_SQ_T4_T3_P12ihipStream_tbEUlT_E_NS1_11comp_targetILNS1_3genE4ELNS1_11target_archE910ELNS1_3gpuE8ELNS1_3repE0EEENS1_30default_config_static_selectorELNS0_4arch9wavefront6targetE1EEEvSP_, .Lfunc_end63-_ZN7rocprim17ROCPRIM_400000_NS6detail17trampoline_kernelINS0_14default_configENS1_32segmented_reduce_config_selectorIfEEZNS1_21segmented_reduce_implIS3_PKfPfPKifN6hipcub16HIPCUB_304000_NS6detail27convert_result_type_wrapperIS8_S9_N2at6native12_GLOBAL__N_19CustomMinEEEEE10hipError_tPvRmT0_T1_jT2_SQ_T4_T3_P12ihipStream_tbEUlT_E_NS1_11comp_targetILNS1_3genE4ELNS1_11target_archE910ELNS1_3gpuE8ELNS1_3repE0EEENS1_30default_config_static_selectorELNS0_4arch9wavefront6targetE1EEEvSP_
                                        ; -- End function
	.set _ZN7rocprim17ROCPRIM_400000_NS6detail17trampoline_kernelINS0_14default_configENS1_32segmented_reduce_config_selectorIfEEZNS1_21segmented_reduce_implIS3_PKfPfPKifN6hipcub16HIPCUB_304000_NS6detail27convert_result_type_wrapperIS8_S9_N2at6native12_GLOBAL__N_19CustomMinEEEEE10hipError_tPvRmT0_T1_jT2_SQ_T4_T3_P12ihipStream_tbEUlT_E_NS1_11comp_targetILNS1_3genE4ELNS1_11target_archE910ELNS1_3gpuE8ELNS1_3repE0EEENS1_30default_config_static_selectorELNS0_4arch9wavefront6targetE1EEEvSP_.num_vgpr, 0
	.set _ZN7rocprim17ROCPRIM_400000_NS6detail17trampoline_kernelINS0_14default_configENS1_32segmented_reduce_config_selectorIfEEZNS1_21segmented_reduce_implIS3_PKfPfPKifN6hipcub16HIPCUB_304000_NS6detail27convert_result_type_wrapperIS8_S9_N2at6native12_GLOBAL__N_19CustomMinEEEEE10hipError_tPvRmT0_T1_jT2_SQ_T4_T3_P12ihipStream_tbEUlT_E_NS1_11comp_targetILNS1_3genE4ELNS1_11target_archE910ELNS1_3gpuE8ELNS1_3repE0EEENS1_30default_config_static_selectorELNS0_4arch9wavefront6targetE1EEEvSP_.num_agpr, 0
	.set _ZN7rocprim17ROCPRIM_400000_NS6detail17trampoline_kernelINS0_14default_configENS1_32segmented_reduce_config_selectorIfEEZNS1_21segmented_reduce_implIS3_PKfPfPKifN6hipcub16HIPCUB_304000_NS6detail27convert_result_type_wrapperIS8_S9_N2at6native12_GLOBAL__N_19CustomMinEEEEE10hipError_tPvRmT0_T1_jT2_SQ_T4_T3_P12ihipStream_tbEUlT_E_NS1_11comp_targetILNS1_3genE4ELNS1_11target_archE910ELNS1_3gpuE8ELNS1_3repE0EEENS1_30default_config_static_selectorELNS0_4arch9wavefront6targetE1EEEvSP_.numbered_sgpr, 0
	.set _ZN7rocprim17ROCPRIM_400000_NS6detail17trampoline_kernelINS0_14default_configENS1_32segmented_reduce_config_selectorIfEEZNS1_21segmented_reduce_implIS3_PKfPfPKifN6hipcub16HIPCUB_304000_NS6detail27convert_result_type_wrapperIS8_S9_N2at6native12_GLOBAL__N_19CustomMinEEEEE10hipError_tPvRmT0_T1_jT2_SQ_T4_T3_P12ihipStream_tbEUlT_E_NS1_11comp_targetILNS1_3genE4ELNS1_11target_archE910ELNS1_3gpuE8ELNS1_3repE0EEENS1_30default_config_static_selectorELNS0_4arch9wavefront6targetE1EEEvSP_.num_named_barrier, 0
	.set _ZN7rocprim17ROCPRIM_400000_NS6detail17trampoline_kernelINS0_14default_configENS1_32segmented_reduce_config_selectorIfEEZNS1_21segmented_reduce_implIS3_PKfPfPKifN6hipcub16HIPCUB_304000_NS6detail27convert_result_type_wrapperIS8_S9_N2at6native12_GLOBAL__N_19CustomMinEEEEE10hipError_tPvRmT0_T1_jT2_SQ_T4_T3_P12ihipStream_tbEUlT_E_NS1_11comp_targetILNS1_3genE4ELNS1_11target_archE910ELNS1_3gpuE8ELNS1_3repE0EEENS1_30default_config_static_selectorELNS0_4arch9wavefront6targetE1EEEvSP_.private_seg_size, 0
	.set _ZN7rocprim17ROCPRIM_400000_NS6detail17trampoline_kernelINS0_14default_configENS1_32segmented_reduce_config_selectorIfEEZNS1_21segmented_reduce_implIS3_PKfPfPKifN6hipcub16HIPCUB_304000_NS6detail27convert_result_type_wrapperIS8_S9_N2at6native12_GLOBAL__N_19CustomMinEEEEE10hipError_tPvRmT0_T1_jT2_SQ_T4_T3_P12ihipStream_tbEUlT_E_NS1_11comp_targetILNS1_3genE4ELNS1_11target_archE910ELNS1_3gpuE8ELNS1_3repE0EEENS1_30default_config_static_selectorELNS0_4arch9wavefront6targetE1EEEvSP_.uses_vcc, 0
	.set _ZN7rocprim17ROCPRIM_400000_NS6detail17trampoline_kernelINS0_14default_configENS1_32segmented_reduce_config_selectorIfEEZNS1_21segmented_reduce_implIS3_PKfPfPKifN6hipcub16HIPCUB_304000_NS6detail27convert_result_type_wrapperIS8_S9_N2at6native12_GLOBAL__N_19CustomMinEEEEE10hipError_tPvRmT0_T1_jT2_SQ_T4_T3_P12ihipStream_tbEUlT_E_NS1_11comp_targetILNS1_3genE4ELNS1_11target_archE910ELNS1_3gpuE8ELNS1_3repE0EEENS1_30default_config_static_selectorELNS0_4arch9wavefront6targetE1EEEvSP_.uses_flat_scratch, 0
	.set _ZN7rocprim17ROCPRIM_400000_NS6detail17trampoline_kernelINS0_14default_configENS1_32segmented_reduce_config_selectorIfEEZNS1_21segmented_reduce_implIS3_PKfPfPKifN6hipcub16HIPCUB_304000_NS6detail27convert_result_type_wrapperIS8_S9_N2at6native12_GLOBAL__N_19CustomMinEEEEE10hipError_tPvRmT0_T1_jT2_SQ_T4_T3_P12ihipStream_tbEUlT_E_NS1_11comp_targetILNS1_3genE4ELNS1_11target_archE910ELNS1_3gpuE8ELNS1_3repE0EEENS1_30default_config_static_selectorELNS0_4arch9wavefront6targetE1EEEvSP_.has_dyn_sized_stack, 0
	.set _ZN7rocprim17ROCPRIM_400000_NS6detail17trampoline_kernelINS0_14default_configENS1_32segmented_reduce_config_selectorIfEEZNS1_21segmented_reduce_implIS3_PKfPfPKifN6hipcub16HIPCUB_304000_NS6detail27convert_result_type_wrapperIS8_S9_N2at6native12_GLOBAL__N_19CustomMinEEEEE10hipError_tPvRmT0_T1_jT2_SQ_T4_T3_P12ihipStream_tbEUlT_E_NS1_11comp_targetILNS1_3genE4ELNS1_11target_archE910ELNS1_3gpuE8ELNS1_3repE0EEENS1_30default_config_static_selectorELNS0_4arch9wavefront6targetE1EEEvSP_.has_recursion, 0
	.set _ZN7rocprim17ROCPRIM_400000_NS6detail17trampoline_kernelINS0_14default_configENS1_32segmented_reduce_config_selectorIfEEZNS1_21segmented_reduce_implIS3_PKfPfPKifN6hipcub16HIPCUB_304000_NS6detail27convert_result_type_wrapperIS8_S9_N2at6native12_GLOBAL__N_19CustomMinEEEEE10hipError_tPvRmT0_T1_jT2_SQ_T4_T3_P12ihipStream_tbEUlT_E_NS1_11comp_targetILNS1_3genE4ELNS1_11target_archE910ELNS1_3gpuE8ELNS1_3repE0EEENS1_30default_config_static_selectorELNS0_4arch9wavefront6targetE1EEEvSP_.has_indirect_call, 0
	.section	.AMDGPU.csdata,"",@progbits
; Kernel info:
; codeLenInByte = 0
; TotalNumSgprs: 4
; NumVgprs: 0
; ScratchSize: 0
; MemoryBound: 0
; FloatMode: 240
; IeeeMode: 1
; LDSByteSize: 0 bytes/workgroup (compile time only)
; SGPRBlocks: 0
; VGPRBlocks: 0
; NumSGPRsForWavesPerEU: 4
; NumVGPRsForWavesPerEU: 1
; Occupancy: 10
; WaveLimiterHint : 0
; COMPUTE_PGM_RSRC2:SCRATCH_EN: 0
; COMPUTE_PGM_RSRC2:USER_SGPR: 6
; COMPUTE_PGM_RSRC2:TRAP_HANDLER: 0
; COMPUTE_PGM_RSRC2:TGID_X_EN: 1
; COMPUTE_PGM_RSRC2:TGID_Y_EN: 0
; COMPUTE_PGM_RSRC2:TGID_Z_EN: 0
; COMPUTE_PGM_RSRC2:TIDIG_COMP_CNT: 0
	.section	.text._ZN7rocprim17ROCPRIM_400000_NS6detail17trampoline_kernelINS0_14default_configENS1_32segmented_reduce_config_selectorIfEEZNS1_21segmented_reduce_implIS3_PKfPfPKifN6hipcub16HIPCUB_304000_NS6detail27convert_result_type_wrapperIS8_S9_N2at6native12_GLOBAL__N_19CustomMinEEEEE10hipError_tPvRmT0_T1_jT2_SQ_T4_T3_P12ihipStream_tbEUlT_E_NS1_11comp_targetILNS1_3genE3ELNS1_11target_archE908ELNS1_3gpuE7ELNS1_3repE0EEENS1_30default_config_static_selectorELNS0_4arch9wavefront6targetE1EEEvSP_,"axG",@progbits,_ZN7rocprim17ROCPRIM_400000_NS6detail17trampoline_kernelINS0_14default_configENS1_32segmented_reduce_config_selectorIfEEZNS1_21segmented_reduce_implIS3_PKfPfPKifN6hipcub16HIPCUB_304000_NS6detail27convert_result_type_wrapperIS8_S9_N2at6native12_GLOBAL__N_19CustomMinEEEEE10hipError_tPvRmT0_T1_jT2_SQ_T4_T3_P12ihipStream_tbEUlT_E_NS1_11comp_targetILNS1_3genE3ELNS1_11target_archE908ELNS1_3gpuE7ELNS1_3repE0EEENS1_30default_config_static_selectorELNS0_4arch9wavefront6targetE1EEEvSP_,comdat
	.globl	_ZN7rocprim17ROCPRIM_400000_NS6detail17trampoline_kernelINS0_14default_configENS1_32segmented_reduce_config_selectorIfEEZNS1_21segmented_reduce_implIS3_PKfPfPKifN6hipcub16HIPCUB_304000_NS6detail27convert_result_type_wrapperIS8_S9_N2at6native12_GLOBAL__N_19CustomMinEEEEE10hipError_tPvRmT0_T1_jT2_SQ_T4_T3_P12ihipStream_tbEUlT_E_NS1_11comp_targetILNS1_3genE3ELNS1_11target_archE908ELNS1_3gpuE7ELNS1_3repE0EEENS1_30default_config_static_selectorELNS0_4arch9wavefront6targetE1EEEvSP_ ; -- Begin function _ZN7rocprim17ROCPRIM_400000_NS6detail17trampoline_kernelINS0_14default_configENS1_32segmented_reduce_config_selectorIfEEZNS1_21segmented_reduce_implIS3_PKfPfPKifN6hipcub16HIPCUB_304000_NS6detail27convert_result_type_wrapperIS8_S9_N2at6native12_GLOBAL__N_19CustomMinEEEEE10hipError_tPvRmT0_T1_jT2_SQ_T4_T3_P12ihipStream_tbEUlT_E_NS1_11comp_targetILNS1_3genE3ELNS1_11target_archE908ELNS1_3gpuE7ELNS1_3repE0EEENS1_30default_config_static_selectorELNS0_4arch9wavefront6targetE1EEEvSP_
	.p2align	8
	.type	_ZN7rocprim17ROCPRIM_400000_NS6detail17trampoline_kernelINS0_14default_configENS1_32segmented_reduce_config_selectorIfEEZNS1_21segmented_reduce_implIS3_PKfPfPKifN6hipcub16HIPCUB_304000_NS6detail27convert_result_type_wrapperIS8_S9_N2at6native12_GLOBAL__N_19CustomMinEEEEE10hipError_tPvRmT0_T1_jT2_SQ_T4_T3_P12ihipStream_tbEUlT_E_NS1_11comp_targetILNS1_3genE3ELNS1_11target_archE908ELNS1_3gpuE7ELNS1_3repE0EEENS1_30default_config_static_selectorELNS0_4arch9wavefront6targetE1EEEvSP_,@function
_ZN7rocprim17ROCPRIM_400000_NS6detail17trampoline_kernelINS0_14default_configENS1_32segmented_reduce_config_selectorIfEEZNS1_21segmented_reduce_implIS3_PKfPfPKifN6hipcub16HIPCUB_304000_NS6detail27convert_result_type_wrapperIS8_S9_N2at6native12_GLOBAL__N_19CustomMinEEEEE10hipError_tPvRmT0_T1_jT2_SQ_T4_T3_P12ihipStream_tbEUlT_E_NS1_11comp_targetILNS1_3genE3ELNS1_11target_archE908ELNS1_3gpuE7ELNS1_3repE0EEENS1_30default_config_static_selectorELNS0_4arch9wavefront6targetE1EEEvSP_: ; @_ZN7rocprim17ROCPRIM_400000_NS6detail17trampoline_kernelINS0_14default_configENS1_32segmented_reduce_config_selectorIfEEZNS1_21segmented_reduce_implIS3_PKfPfPKifN6hipcub16HIPCUB_304000_NS6detail27convert_result_type_wrapperIS8_S9_N2at6native12_GLOBAL__N_19CustomMinEEEEE10hipError_tPvRmT0_T1_jT2_SQ_T4_T3_P12ihipStream_tbEUlT_E_NS1_11comp_targetILNS1_3genE3ELNS1_11target_archE908ELNS1_3gpuE7ELNS1_3repE0EEENS1_30default_config_static_selectorELNS0_4arch9wavefront6targetE1EEEvSP_
; %bb.0:
	.section	.rodata,"a",@progbits
	.p2align	6, 0x0
	.amdhsa_kernel _ZN7rocprim17ROCPRIM_400000_NS6detail17trampoline_kernelINS0_14default_configENS1_32segmented_reduce_config_selectorIfEEZNS1_21segmented_reduce_implIS3_PKfPfPKifN6hipcub16HIPCUB_304000_NS6detail27convert_result_type_wrapperIS8_S9_N2at6native12_GLOBAL__N_19CustomMinEEEEE10hipError_tPvRmT0_T1_jT2_SQ_T4_T3_P12ihipStream_tbEUlT_E_NS1_11comp_targetILNS1_3genE3ELNS1_11target_archE908ELNS1_3gpuE7ELNS1_3repE0EEENS1_30default_config_static_selectorELNS0_4arch9wavefront6targetE1EEEvSP_
		.amdhsa_group_segment_fixed_size 0
		.amdhsa_private_segment_fixed_size 0
		.amdhsa_kernarg_size 48
		.amdhsa_user_sgpr_count 6
		.amdhsa_user_sgpr_private_segment_buffer 1
		.amdhsa_user_sgpr_dispatch_ptr 0
		.amdhsa_user_sgpr_queue_ptr 0
		.amdhsa_user_sgpr_kernarg_segment_ptr 1
		.amdhsa_user_sgpr_dispatch_id 0
		.amdhsa_user_sgpr_flat_scratch_init 0
		.amdhsa_user_sgpr_private_segment_size 0
		.amdhsa_uses_dynamic_stack 0
		.amdhsa_system_sgpr_private_segment_wavefront_offset 0
		.amdhsa_system_sgpr_workgroup_id_x 1
		.amdhsa_system_sgpr_workgroup_id_y 0
		.amdhsa_system_sgpr_workgroup_id_z 0
		.amdhsa_system_sgpr_workgroup_info 0
		.amdhsa_system_vgpr_workitem_id 0
		.amdhsa_next_free_vgpr 1
		.amdhsa_next_free_sgpr 0
		.amdhsa_reserve_vcc 0
		.amdhsa_reserve_flat_scratch 0
		.amdhsa_float_round_mode_32 0
		.amdhsa_float_round_mode_16_64 0
		.amdhsa_float_denorm_mode_32 3
		.amdhsa_float_denorm_mode_16_64 3
		.amdhsa_dx10_clamp 1
		.amdhsa_ieee_mode 1
		.amdhsa_fp16_overflow 0
		.amdhsa_exception_fp_ieee_invalid_op 0
		.amdhsa_exception_fp_denorm_src 0
		.amdhsa_exception_fp_ieee_div_zero 0
		.amdhsa_exception_fp_ieee_overflow 0
		.amdhsa_exception_fp_ieee_underflow 0
		.amdhsa_exception_fp_ieee_inexact 0
		.amdhsa_exception_int_div_zero 0
	.end_amdhsa_kernel
	.section	.text._ZN7rocprim17ROCPRIM_400000_NS6detail17trampoline_kernelINS0_14default_configENS1_32segmented_reduce_config_selectorIfEEZNS1_21segmented_reduce_implIS3_PKfPfPKifN6hipcub16HIPCUB_304000_NS6detail27convert_result_type_wrapperIS8_S9_N2at6native12_GLOBAL__N_19CustomMinEEEEE10hipError_tPvRmT0_T1_jT2_SQ_T4_T3_P12ihipStream_tbEUlT_E_NS1_11comp_targetILNS1_3genE3ELNS1_11target_archE908ELNS1_3gpuE7ELNS1_3repE0EEENS1_30default_config_static_selectorELNS0_4arch9wavefront6targetE1EEEvSP_,"axG",@progbits,_ZN7rocprim17ROCPRIM_400000_NS6detail17trampoline_kernelINS0_14default_configENS1_32segmented_reduce_config_selectorIfEEZNS1_21segmented_reduce_implIS3_PKfPfPKifN6hipcub16HIPCUB_304000_NS6detail27convert_result_type_wrapperIS8_S9_N2at6native12_GLOBAL__N_19CustomMinEEEEE10hipError_tPvRmT0_T1_jT2_SQ_T4_T3_P12ihipStream_tbEUlT_E_NS1_11comp_targetILNS1_3genE3ELNS1_11target_archE908ELNS1_3gpuE7ELNS1_3repE0EEENS1_30default_config_static_selectorELNS0_4arch9wavefront6targetE1EEEvSP_,comdat
.Lfunc_end64:
	.size	_ZN7rocprim17ROCPRIM_400000_NS6detail17trampoline_kernelINS0_14default_configENS1_32segmented_reduce_config_selectorIfEEZNS1_21segmented_reduce_implIS3_PKfPfPKifN6hipcub16HIPCUB_304000_NS6detail27convert_result_type_wrapperIS8_S9_N2at6native12_GLOBAL__N_19CustomMinEEEEE10hipError_tPvRmT0_T1_jT2_SQ_T4_T3_P12ihipStream_tbEUlT_E_NS1_11comp_targetILNS1_3genE3ELNS1_11target_archE908ELNS1_3gpuE7ELNS1_3repE0EEENS1_30default_config_static_selectorELNS0_4arch9wavefront6targetE1EEEvSP_, .Lfunc_end64-_ZN7rocprim17ROCPRIM_400000_NS6detail17trampoline_kernelINS0_14default_configENS1_32segmented_reduce_config_selectorIfEEZNS1_21segmented_reduce_implIS3_PKfPfPKifN6hipcub16HIPCUB_304000_NS6detail27convert_result_type_wrapperIS8_S9_N2at6native12_GLOBAL__N_19CustomMinEEEEE10hipError_tPvRmT0_T1_jT2_SQ_T4_T3_P12ihipStream_tbEUlT_E_NS1_11comp_targetILNS1_3genE3ELNS1_11target_archE908ELNS1_3gpuE7ELNS1_3repE0EEENS1_30default_config_static_selectorELNS0_4arch9wavefront6targetE1EEEvSP_
                                        ; -- End function
	.set _ZN7rocprim17ROCPRIM_400000_NS6detail17trampoline_kernelINS0_14default_configENS1_32segmented_reduce_config_selectorIfEEZNS1_21segmented_reduce_implIS3_PKfPfPKifN6hipcub16HIPCUB_304000_NS6detail27convert_result_type_wrapperIS8_S9_N2at6native12_GLOBAL__N_19CustomMinEEEEE10hipError_tPvRmT0_T1_jT2_SQ_T4_T3_P12ihipStream_tbEUlT_E_NS1_11comp_targetILNS1_3genE3ELNS1_11target_archE908ELNS1_3gpuE7ELNS1_3repE0EEENS1_30default_config_static_selectorELNS0_4arch9wavefront6targetE1EEEvSP_.num_vgpr, 0
	.set _ZN7rocprim17ROCPRIM_400000_NS6detail17trampoline_kernelINS0_14default_configENS1_32segmented_reduce_config_selectorIfEEZNS1_21segmented_reduce_implIS3_PKfPfPKifN6hipcub16HIPCUB_304000_NS6detail27convert_result_type_wrapperIS8_S9_N2at6native12_GLOBAL__N_19CustomMinEEEEE10hipError_tPvRmT0_T1_jT2_SQ_T4_T3_P12ihipStream_tbEUlT_E_NS1_11comp_targetILNS1_3genE3ELNS1_11target_archE908ELNS1_3gpuE7ELNS1_3repE0EEENS1_30default_config_static_selectorELNS0_4arch9wavefront6targetE1EEEvSP_.num_agpr, 0
	.set _ZN7rocprim17ROCPRIM_400000_NS6detail17trampoline_kernelINS0_14default_configENS1_32segmented_reduce_config_selectorIfEEZNS1_21segmented_reduce_implIS3_PKfPfPKifN6hipcub16HIPCUB_304000_NS6detail27convert_result_type_wrapperIS8_S9_N2at6native12_GLOBAL__N_19CustomMinEEEEE10hipError_tPvRmT0_T1_jT2_SQ_T4_T3_P12ihipStream_tbEUlT_E_NS1_11comp_targetILNS1_3genE3ELNS1_11target_archE908ELNS1_3gpuE7ELNS1_3repE0EEENS1_30default_config_static_selectorELNS0_4arch9wavefront6targetE1EEEvSP_.numbered_sgpr, 0
	.set _ZN7rocprim17ROCPRIM_400000_NS6detail17trampoline_kernelINS0_14default_configENS1_32segmented_reduce_config_selectorIfEEZNS1_21segmented_reduce_implIS3_PKfPfPKifN6hipcub16HIPCUB_304000_NS6detail27convert_result_type_wrapperIS8_S9_N2at6native12_GLOBAL__N_19CustomMinEEEEE10hipError_tPvRmT0_T1_jT2_SQ_T4_T3_P12ihipStream_tbEUlT_E_NS1_11comp_targetILNS1_3genE3ELNS1_11target_archE908ELNS1_3gpuE7ELNS1_3repE0EEENS1_30default_config_static_selectorELNS0_4arch9wavefront6targetE1EEEvSP_.num_named_barrier, 0
	.set _ZN7rocprim17ROCPRIM_400000_NS6detail17trampoline_kernelINS0_14default_configENS1_32segmented_reduce_config_selectorIfEEZNS1_21segmented_reduce_implIS3_PKfPfPKifN6hipcub16HIPCUB_304000_NS6detail27convert_result_type_wrapperIS8_S9_N2at6native12_GLOBAL__N_19CustomMinEEEEE10hipError_tPvRmT0_T1_jT2_SQ_T4_T3_P12ihipStream_tbEUlT_E_NS1_11comp_targetILNS1_3genE3ELNS1_11target_archE908ELNS1_3gpuE7ELNS1_3repE0EEENS1_30default_config_static_selectorELNS0_4arch9wavefront6targetE1EEEvSP_.private_seg_size, 0
	.set _ZN7rocprim17ROCPRIM_400000_NS6detail17trampoline_kernelINS0_14default_configENS1_32segmented_reduce_config_selectorIfEEZNS1_21segmented_reduce_implIS3_PKfPfPKifN6hipcub16HIPCUB_304000_NS6detail27convert_result_type_wrapperIS8_S9_N2at6native12_GLOBAL__N_19CustomMinEEEEE10hipError_tPvRmT0_T1_jT2_SQ_T4_T3_P12ihipStream_tbEUlT_E_NS1_11comp_targetILNS1_3genE3ELNS1_11target_archE908ELNS1_3gpuE7ELNS1_3repE0EEENS1_30default_config_static_selectorELNS0_4arch9wavefront6targetE1EEEvSP_.uses_vcc, 0
	.set _ZN7rocprim17ROCPRIM_400000_NS6detail17trampoline_kernelINS0_14default_configENS1_32segmented_reduce_config_selectorIfEEZNS1_21segmented_reduce_implIS3_PKfPfPKifN6hipcub16HIPCUB_304000_NS6detail27convert_result_type_wrapperIS8_S9_N2at6native12_GLOBAL__N_19CustomMinEEEEE10hipError_tPvRmT0_T1_jT2_SQ_T4_T3_P12ihipStream_tbEUlT_E_NS1_11comp_targetILNS1_3genE3ELNS1_11target_archE908ELNS1_3gpuE7ELNS1_3repE0EEENS1_30default_config_static_selectorELNS0_4arch9wavefront6targetE1EEEvSP_.uses_flat_scratch, 0
	.set _ZN7rocprim17ROCPRIM_400000_NS6detail17trampoline_kernelINS0_14default_configENS1_32segmented_reduce_config_selectorIfEEZNS1_21segmented_reduce_implIS3_PKfPfPKifN6hipcub16HIPCUB_304000_NS6detail27convert_result_type_wrapperIS8_S9_N2at6native12_GLOBAL__N_19CustomMinEEEEE10hipError_tPvRmT0_T1_jT2_SQ_T4_T3_P12ihipStream_tbEUlT_E_NS1_11comp_targetILNS1_3genE3ELNS1_11target_archE908ELNS1_3gpuE7ELNS1_3repE0EEENS1_30default_config_static_selectorELNS0_4arch9wavefront6targetE1EEEvSP_.has_dyn_sized_stack, 0
	.set _ZN7rocprim17ROCPRIM_400000_NS6detail17trampoline_kernelINS0_14default_configENS1_32segmented_reduce_config_selectorIfEEZNS1_21segmented_reduce_implIS3_PKfPfPKifN6hipcub16HIPCUB_304000_NS6detail27convert_result_type_wrapperIS8_S9_N2at6native12_GLOBAL__N_19CustomMinEEEEE10hipError_tPvRmT0_T1_jT2_SQ_T4_T3_P12ihipStream_tbEUlT_E_NS1_11comp_targetILNS1_3genE3ELNS1_11target_archE908ELNS1_3gpuE7ELNS1_3repE0EEENS1_30default_config_static_selectorELNS0_4arch9wavefront6targetE1EEEvSP_.has_recursion, 0
	.set _ZN7rocprim17ROCPRIM_400000_NS6detail17trampoline_kernelINS0_14default_configENS1_32segmented_reduce_config_selectorIfEEZNS1_21segmented_reduce_implIS3_PKfPfPKifN6hipcub16HIPCUB_304000_NS6detail27convert_result_type_wrapperIS8_S9_N2at6native12_GLOBAL__N_19CustomMinEEEEE10hipError_tPvRmT0_T1_jT2_SQ_T4_T3_P12ihipStream_tbEUlT_E_NS1_11comp_targetILNS1_3genE3ELNS1_11target_archE908ELNS1_3gpuE7ELNS1_3repE0EEENS1_30default_config_static_selectorELNS0_4arch9wavefront6targetE1EEEvSP_.has_indirect_call, 0
	.section	.AMDGPU.csdata,"",@progbits
; Kernel info:
; codeLenInByte = 0
; TotalNumSgprs: 4
; NumVgprs: 0
; ScratchSize: 0
; MemoryBound: 0
; FloatMode: 240
; IeeeMode: 1
; LDSByteSize: 0 bytes/workgroup (compile time only)
; SGPRBlocks: 0
; VGPRBlocks: 0
; NumSGPRsForWavesPerEU: 4
; NumVGPRsForWavesPerEU: 1
; Occupancy: 10
; WaveLimiterHint : 0
; COMPUTE_PGM_RSRC2:SCRATCH_EN: 0
; COMPUTE_PGM_RSRC2:USER_SGPR: 6
; COMPUTE_PGM_RSRC2:TRAP_HANDLER: 0
; COMPUTE_PGM_RSRC2:TGID_X_EN: 1
; COMPUTE_PGM_RSRC2:TGID_Y_EN: 0
; COMPUTE_PGM_RSRC2:TGID_Z_EN: 0
; COMPUTE_PGM_RSRC2:TIDIG_COMP_CNT: 0
	.section	.text._ZN7rocprim17ROCPRIM_400000_NS6detail17trampoline_kernelINS0_14default_configENS1_32segmented_reduce_config_selectorIfEEZNS1_21segmented_reduce_implIS3_PKfPfPKifN6hipcub16HIPCUB_304000_NS6detail27convert_result_type_wrapperIS8_S9_N2at6native12_GLOBAL__N_19CustomMinEEEEE10hipError_tPvRmT0_T1_jT2_SQ_T4_T3_P12ihipStream_tbEUlT_E_NS1_11comp_targetILNS1_3genE2ELNS1_11target_archE906ELNS1_3gpuE6ELNS1_3repE0EEENS1_30default_config_static_selectorELNS0_4arch9wavefront6targetE1EEEvSP_,"axG",@progbits,_ZN7rocprim17ROCPRIM_400000_NS6detail17trampoline_kernelINS0_14default_configENS1_32segmented_reduce_config_selectorIfEEZNS1_21segmented_reduce_implIS3_PKfPfPKifN6hipcub16HIPCUB_304000_NS6detail27convert_result_type_wrapperIS8_S9_N2at6native12_GLOBAL__N_19CustomMinEEEEE10hipError_tPvRmT0_T1_jT2_SQ_T4_T3_P12ihipStream_tbEUlT_E_NS1_11comp_targetILNS1_3genE2ELNS1_11target_archE906ELNS1_3gpuE6ELNS1_3repE0EEENS1_30default_config_static_selectorELNS0_4arch9wavefront6targetE1EEEvSP_,comdat
	.globl	_ZN7rocprim17ROCPRIM_400000_NS6detail17trampoline_kernelINS0_14default_configENS1_32segmented_reduce_config_selectorIfEEZNS1_21segmented_reduce_implIS3_PKfPfPKifN6hipcub16HIPCUB_304000_NS6detail27convert_result_type_wrapperIS8_S9_N2at6native12_GLOBAL__N_19CustomMinEEEEE10hipError_tPvRmT0_T1_jT2_SQ_T4_T3_P12ihipStream_tbEUlT_E_NS1_11comp_targetILNS1_3genE2ELNS1_11target_archE906ELNS1_3gpuE6ELNS1_3repE0EEENS1_30default_config_static_selectorELNS0_4arch9wavefront6targetE1EEEvSP_ ; -- Begin function _ZN7rocprim17ROCPRIM_400000_NS6detail17trampoline_kernelINS0_14default_configENS1_32segmented_reduce_config_selectorIfEEZNS1_21segmented_reduce_implIS3_PKfPfPKifN6hipcub16HIPCUB_304000_NS6detail27convert_result_type_wrapperIS8_S9_N2at6native12_GLOBAL__N_19CustomMinEEEEE10hipError_tPvRmT0_T1_jT2_SQ_T4_T3_P12ihipStream_tbEUlT_E_NS1_11comp_targetILNS1_3genE2ELNS1_11target_archE906ELNS1_3gpuE6ELNS1_3repE0EEENS1_30default_config_static_selectorELNS0_4arch9wavefront6targetE1EEEvSP_
	.p2align	8
	.type	_ZN7rocprim17ROCPRIM_400000_NS6detail17trampoline_kernelINS0_14default_configENS1_32segmented_reduce_config_selectorIfEEZNS1_21segmented_reduce_implIS3_PKfPfPKifN6hipcub16HIPCUB_304000_NS6detail27convert_result_type_wrapperIS8_S9_N2at6native12_GLOBAL__N_19CustomMinEEEEE10hipError_tPvRmT0_T1_jT2_SQ_T4_T3_P12ihipStream_tbEUlT_E_NS1_11comp_targetILNS1_3genE2ELNS1_11target_archE906ELNS1_3gpuE6ELNS1_3repE0EEENS1_30default_config_static_selectorELNS0_4arch9wavefront6targetE1EEEvSP_,@function
_ZN7rocprim17ROCPRIM_400000_NS6detail17trampoline_kernelINS0_14default_configENS1_32segmented_reduce_config_selectorIfEEZNS1_21segmented_reduce_implIS3_PKfPfPKifN6hipcub16HIPCUB_304000_NS6detail27convert_result_type_wrapperIS8_S9_N2at6native12_GLOBAL__N_19CustomMinEEEEE10hipError_tPvRmT0_T1_jT2_SQ_T4_T3_P12ihipStream_tbEUlT_E_NS1_11comp_targetILNS1_3genE2ELNS1_11target_archE906ELNS1_3gpuE6ELNS1_3repE0EEENS1_30default_config_static_selectorELNS0_4arch9wavefront6targetE1EEEvSP_: ; @_ZN7rocprim17ROCPRIM_400000_NS6detail17trampoline_kernelINS0_14default_configENS1_32segmented_reduce_config_selectorIfEEZNS1_21segmented_reduce_implIS3_PKfPfPKifN6hipcub16HIPCUB_304000_NS6detail27convert_result_type_wrapperIS8_S9_N2at6native12_GLOBAL__N_19CustomMinEEEEE10hipError_tPvRmT0_T1_jT2_SQ_T4_T3_P12ihipStream_tbEUlT_E_NS1_11comp_targetILNS1_3genE2ELNS1_11target_archE906ELNS1_3gpuE6ELNS1_3repE0EEENS1_30default_config_static_selectorELNS0_4arch9wavefront6targetE1EEEvSP_
; %bb.0:
	s_load_dwordx8 s[8:15], s[4:5], 0x0
	s_load_dwordx2 s[0:1], s[4:5], 0x20
	s_load_dword s20, s[4:5], 0x2c
	s_mov_b32 s7, 0
	v_cmp_eq_u32_e32 vcc, 0, v0
	s_waitcnt lgkmcnt(0)
	s_lshl_b64 s[2:3], s[12:13], 2
	s_add_u32 s12, s14, s2
	s_addc_u32 s13, s15, s3
	s_add_u32 s14, s0, s2
	s_addc_u32 s15, s1, s3
	s_lshl_b64 s[4:5], s[6:7], 2
	s_add_u32 s0, s12, s4
	s_addc_u32 s1, s13, s5
	s_load_dword s12, s[0:1], 0x0
	s_add_u32 s0, s14, s4
	s_addc_u32 s1, s15, s5
	s_load_dword s21, s[0:1], 0x0
	s_waitcnt lgkmcnt(0)
	s_cmp_gt_i32 s21, s12
	s_cbranch_scc1 .LBB65_3
; %bb.1:
	s_and_b64 s[6:7], vcc, exec
	s_cbranch_execz .LBB65_4
; %bb.2:
	v_mov_b32_e32 v1, s20
	s_and_saveexec_b64 s[0:1], s[6:7]
	s_cbranch_execnz .LBB65_373
	s_branch .LBB65_374
.LBB65_3:
	s_mov_b64 s[6:7], 0
.LBB65_4:
	s_add_i32 s0, s12, 0x1000
	s_cmp_le_i32 s0, s21
	s_movk_i32 s1, 0x1000
	s_cbranch_scc0 .LBB65_20
; %bb.5:
	s_ashr_i32 s13, s12, 31
	s_lshl_b64 s[14:15], s[12:13], 2
	s_add_u32 s14, s8, s14
	s_addc_u32 s15, s9, s15
	v_lshlrev_b32_e32 v18, 2, v0
	v_mov_b32_e32 v1, s15
	v_add_co_u32_e32 v2, vcc, s14, v18
	v_addc_co_u32_e32 v1, vcc, 0, v1, vcc
	v_add_co_u32_e32 v19, vcc, s1, v2
	v_addc_co_u32_e32 v20, vcc, 0, v1, vcc
	s_movk_i32 s1, 0x2000
	v_add_co_u32_e32 v21, vcc, s1, v2
	v_addc_co_u32_e32 v22, vcc, 0, v1, vcc
	v_add_co_u32_e32 v23, vcc, 0x3000, v2
	v_addc_co_u32_e32 v24, vcc, 0, v1, vcc
	global_load_dword v17, v18, s[14:15]
	global_load_dword v16, v18, s[14:15] offset:1024
	global_load_dword v15, v18, s[14:15] offset:2048
	global_load_dword v14, v18, s[14:15] offset:3072
	global_load_dword v12, v[19:20], off offset:1024
	global_load_dword v11, v[19:20], off offset:2048
	global_load_dword v10, v[19:20], off offset:3072
	global_load_dword v4, v[23:24], off
	global_load_dword v13, v[21:22], off offset:-4096
	global_load_dword v9, v[21:22], off
	global_load_dword v8, v[21:22], off offset:1024
	global_load_dword v6, v[21:22], off offset:2048
	;; [unrolled: 1-line block ×5, first 2 shown]
                                        ; kill: killed $vgpr21 killed $vgpr22
                                        ; kill: killed $sgpr14 killed $sgpr15
                                        ; kill: killed $vgpr19 killed $vgpr20
	global_load_dword v1, v[23:24], off offset:3072
	s_waitcnt vmcnt(15)
	v_cmp_o_f32_e32 vcc, v17, v17
	v_mov_b32_e32 v7, v17
	s_and_saveexec_b64 s[14:15], vcc
	s_cbranch_execnz .LBB65_21
; %bb.6:
	s_or_b64 exec, exec, s[14:15]
	v_cmp_o_f32_e32 vcc, v7, v7
	s_and_saveexec_b64 s[14:15], vcc
	s_cbranch_execnz .LBB65_24
.LBB65_7:
	s_or_b64 exec, exec, s[14:15]
	v_cmp_o_f32_e32 vcc, v7, v7
	s_and_saveexec_b64 s[14:15], vcc
	s_cbranch_execnz .LBB65_27
.LBB65_8:
	s_or_b64 exec, exec, s[14:15]
	v_cmp_o_f32_e32 vcc, v7, v7
	s_and_saveexec_b64 s[14:15], vcc
	s_cbranch_execnz .LBB65_30
.LBB65_9:
	s_or_b64 exec, exec, s[14:15]
	v_cmp_o_f32_e32 vcc, v7, v7
	s_and_saveexec_b64 s[14:15], vcc
	s_cbranch_execnz .LBB65_33
.LBB65_10:
	s_or_b64 exec, exec, s[14:15]
	v_cmp_o_f32_e32 vcc, v7, v7
	s_and_saveexec_b64 s[14:15], vcc
	s_cbranch_execnz .LBB65_36
.LBB65_11:
	s_or_b64 exec, exec, s[14:15]
	v_cmp_o_f32_e32 vcc, v7, v7
	s_and_saveexec_b64 s[14:15], vcc
	s_cbranch_execnz .LBB65_39
.LBB65_12:
	s_or_b64 exec, exec, s[14:15]
	v_cmp_o_f32_e32 vcc, v7, v7
	s_and_saveexec_b64 s[14:15], vcc
	s_cbranch_execnz .LBB65_42
.LBB65_13:
	s_or_b64 exec, exec, s[14:15]
	v_cmp_o_f32_e32 vcc, v7, v7
	s_and_saveexec_b64 s[14:15], vcc
	s_cbranch_execnz .LBB65_45
.LBB65_14:
	s_or_b64 exec, exec, s[14:15]
	v_cmp_o_f32_e32 vcc, v7, v7
	s_and_saveexec_b64 s[14:15], vcc
	s_cbranch_execnz .LBB65_48
.LBB65_15:
	s_or_b64 exec, exec, s[14:15]
	v_cmp_o_f32_e32 vcc, v7, v7
	s_and_saveexec_b64 s[14:15], vcc
	s_cbranch_execnz .LBB65_51
.LBB65_16:
	s_or_b64 exec, exec, s[14:15]
	v_cmp_o_f32_e32 vcc, v7, v7
	s_and_saveexec_b64 s[14:15], vcc
	s_cbranch_execnz .LBB65_54
.LBB65_17:
	s_or_b64 exec, exec, s[14:15]
	v_cmp_o_f32_e32 vcc, v7, v7
	s_and_saveexec_b64 s[14:15], vcc
	s_cbranch_execnz .LBB65_57
.LBB65_18:
	s_or_b64 exec, exec, s[14:15]
	v_cmp_o_f32_e32 vcc, v7, v7
	s_and_saveexec_b64 s[14:15], vcc
	s_cbranch_execnz .LBB65_60
.LBB65_19:
	s_or_b64 exec, exec, s[14:15]
	v_cmp_o_f32_e32 vcc, v7, v7
	s_and_saveexec_b64 s[14:15], vcc
	s_cbranch_execnz .LBB65_63
	s_branch .LBB65_66
.LBB65_20:
                                        ; implicit-def: $vgpr3
	s_cbranch_execnz .LBB65_268
	s_branch .LBB65_366
.LBB65_21:
	s_waitcnt vmcnt(14)
	v_cmp_o_f32_e32 vcc, v16, v16
	v_mov_b32_e32 v7, v16
	s_and_saveexec_b64 s[16:17], vcc
; %bb.22:
	v_cmp_lt_f32_e32 vcc, v16, v17
	v_cndmask_b32_e32 v7, v17, v16, vcc
; %bb.23:
	s_or_b64 exec, exec, s[16:17]
	s_or_b64 exec, exec, s[14:15]
	v_cmp_o_f32_e32 vcc, v7, v7
	s_and_saveexec_b64 s[14:15], vcc
	s_cbranch_execz .LBB65_7
.LBB65_24:
	s_waitcnt vmcnt(13)
	v_cmp_o_f32_e32 vcc, v15, v15
	v_mov_b32_e32 v19, v15
	s_and_saveexec_b64 s[16:17], vcc
; %bb.25:
	v_cmp_lt_f32_e32 vcc, v15, v7
	v_cndmask_b32_e32 v19, v7, v15, vcc
; %bb.26:
	s_or_b64 exec, exec, s[16:17]
	v_mov_b32_e32 v7, v19
	s_or_b64 exec, exec, s[14:15]
	v_cmp_o_f32_e32 vcc, v7, v7
	s_and_saveexec_b64 s[14:15], vcc
	s_cbranch_execz .LBB65_8
.LBB65_27:
	s_waitcnt vmcnt(12)
	v_cmp_o_f32_e32 vcc, v14, v14
	v_mov_b32_e32 v19, v14
	s_and_saveexec_b64 s[16:17], vcc
; %bb.28:
	v_cmp_lt_f32_e32 vcc, v14, v7
	v_cndmask_b32_e32 v19, v7, v14, vcc
; %bb.29:
	s_or_b64 exec, exec, s[16:17]
	v_mov_b32_e32 v7, v19
	s_or_b64 exec, exec, s[14:15]
	v_cmp_o_f32_e32 vcc, v7, v7
	s_and_saveexec_b64 s[14:15], vcc
	s_cbranch_execz .LBB65_9
.LBB65_30:
	s_waitcnt vmcnt(7)
	v_cmp_o_f32_e32 vcc, v13, v13
	v_mov_b32_e32 v19, v13
	s_and_saveexec_b64 s[16:17], vcc
; %bb.31:
	v_cmp_lt_f32_e32 vcc, v13, v7
	v_cndmask_b32_e32 v19, v7, v13, vcc
; %bb.32:
	s_or_b64 exec, exec, s[16:17]
	v_mov_b32_e32 v7, v19
	s_or_b64 exec, exec, s[14:15]
	v_cmp_o_f32_e32 vcc, v7, v7
	s_and_saveexec_b64 s[14:15], vcc
	s_cbranch_execz .LBB65_10
.LBB65_33:
	s_waitcnt vmcnt(11)
	v_cmp_o_f32_e32 vcc, v12, v12
	v_mov_b32_e32 v19, v12
	s_and_saveexec_b64 s[16:17], vcc
; %bb.34:
	v_cmp_lt_f32_e32 vcc, v12, v7
	v_cndmask_b32_e32 v19, v7, v12, vcc
; %bb.35:
	s_or_b64 exec, exec, s[16:17]
	v_mov_b32_e32 v7, v19
	s_or_b64 exec, exec, s[14:15]
	v_cmp_o_f32_e32 vcc, v7, v7
	s_and_saveexec_b64 s[14:15], vcc
	s_cbranch_execz .LBB65_11
.LBB65_36:
	s_waitcnt vmcnt(10)
	v_cmp_o_f32_e32 vcc, v11, v11
	v_mov_b32_e32 v19, v11
	s_and_saveexec_b64 s[16:17], vcc
; %bb.37:
	v_cmp_lt_f32_e32 vcc, v11, v7
	v_cndmask_b32_e32 v19, v7, v11, vcc
; %bb.38:
	s_or_b64 exec, exec, s[16:17]
	v_mov_b32_e32 v7, v19
	s_or_b64 exec, exec, s[14:15]
	v_cmp_o_f32_e32 vcc, v7, v7
	s_and_saveexec_b64 s[14:15], vcc
	s_cbranch_execz .LBB65_12
.LBB65_39:
	s_waitcnt vmcnt(9)
	v_cmp_o_f32_e32 vcc, v10, v10
	v_mov_b32_e32 v19, v10
	s_and_saveexec_b64 s[16:17], vcc
; %bb.40:
	v_cmp_lt_f32_e32 vcc, v10, v7
	v_cndmask_b32_e32 v19, v7, v10, vcc
; %bb.41:
	s_or_b64 exec, exec, s[16:17]
	v_mov_b32_e32 v7, v19
	s_or_b64 exec, exec, s[14:15]
	v_cmp_o_f32_e32 vcc, v7, v7
	s_and_saveexec_b64 s[14:15], vcc
	s_cbranch_execz .LBB65_13
.LBB65_42:
	s_waitcnt vmcnt(6)
	v_cmp_o_f32_e32 vcc, v9, v9
	v_mov_b32_e32 v19, v9
	s_and_saveexec_b64 s[16:17], vcc
; %bb.43:
	v_cmp_lt_f32_e32 vcc, v9, v7
	v_cndmask_b32_e32 v19, v7, v9, vcc
; %bb.44:
	s_or_b64 exec, exec, s[16:17]
	v_mov_b32_e32 v7, v19
	s_or_b64 exec, exec, s[14:15]
	v_cmp_o_f32_e32 vcc, v7, v7
	s_and_saveexec_b64 s[14:15], vcc
	s_cbranch_execz .LBB65_14
.LBB65_45:
	s_waitcnt vmcnt(5)
	v_cmp_o_f32_e32 vcc, v8, v8
	v_mov_b32_e32 v19, v8
	s_and_saveexec_b64 s[16:17], vcc
; %bb.46:
	v_cmp_lt_f32_e32 vcc, v8, v7
	v_cndmask_b32_e32 v19, v7, v8, vcc
; %bb.47:
	s_or_b64 exec, exec, s[16:17]
	v_mov_b32_e32 v7, v19
	s_or_b64 exec, exec, s[14:15]
	v_cmp_o_f32_e32 vcc, v7, v7
	s_and_saveexec_b64 s[14:15], vcc
	s_cbranch_execz .LBB65_15
.LBB65_48:
	s_waitcnt vmcnt(4)
	v_cmp_o_f32_e32 vcc, v6, v6
	v_mov_b32_e32 v19, v6
	s_and_saveexec_b64 s[16:17], vcc
; %bb.49:
	v_cmp_lt_f32_e32 vcc, v6, v7
	v_cndmask_b32_e32 v19, v7, v6, vcc
; %bb.50:
	s_or_b64 exec, exec, s[16:17]
	v_mov_b32_e32 v7, v19
	s_or_b64 exec, exec, s[14:15]
	v_cmp_o_f32_e32 vcc, v7, v7
	s_and_saveexec_b64 s[14:15], vcc
	s_cbranch_execz .LBB65_16
.LBB65_51:
	s_waitcnt vmcnt(3)
	v_cmp_o_f32_e32 vcc, v5, v5
	v_mov_b32_e32 v19, v5
	s_and_saveexec_b64 s[16:17], vcc
; %bb.52:
	v_cmp_lt_f32_e32 vcc, v5, v7
	v_cndmask_b32_e32 v19, v7, v5, vcc
; %bb.53:
	s_or_b64 exec, exec, s[16:17]
	v_mov_b32_e32 v7, v19
	s_or_b64 exec, exec, s[14:15]
	v_cmp_o_f32_e32 vcc, v7, v7
	s_and_saveexec_b64 s[14:15], vcc
	s_cbranch_execz .LBB65_17
.LBB65_54:
	s_waitcnt vmcnt(8)
	v_cmp_o_f32_e32 vcc, v4, v4
	v_mov_b32_e32 v19, v4
	s_and_saveexec_b64 s[16:17], vcc
; %bb.55:
	v_cmp_lt_f32_e32 vcc, v4, v7
	v_cndmask_b32_e32 v19, v7, v4, vcc
; %bb.56:
	s_or_b64 exec, exec, s[16:17]
	v_mov_b32_e32 v7, v19
	s_or_b64 exec, exec, s[14:15]
	v_cmp_o_f32_e32 vcc, v7, v7
	s_and_saveexec_b64 s[14:15], vcc
	s_cbranch_execz .LBB65_18
.LBB65_57:
	s_waitcnt vmcnt(2)
	v_cmp_o_f32_e32 vcc, v3, v3
	v_mov_b32_e32 v19, v3
	s_and_saveexec_b64 s[16:17], vcc
; %bb.58:
	v_cmp_lt_f32_e32 vcc, v3, v7
	v_cndmask_b32_e32 v19, v7, v3, vcc
; %bb.59:
	s_or_b64 exec, exec, s[16:17]
	v_mov_b32_e32 v7, v19
	s_or_b64 exec, exec, s[14:15]
	v_cmp_o_f32_e32 vcc, v7, v7
	s_and_saveexec_b64 s[14:15], vcc
	s_cbranch_execz .LBB65_19
.LBB65_60:
	s_waitcnt vmcnt(1)
	v_cmp_o_f32_e32 vcc, v2, v2
	v_mov_b32_e32 v19, v2
	s_and_saveexec_b64 s[16:17], vcc
; %bb.61:
	v_cmp_lt_f32_e32 vcc, v2, v7
	v_cndmask_b32_e32 v19, v7, v2, vcc
; %bb.62:
	s_or_b64 exec, exec, s[16:17]
	v_mov_b32_e32 v7, v19
	s_or_b64 exec, exec, s[14:15]
	v_cmp_o_f32_e32 vcc, v7, v7
	s_and_saveexec_b64 s[14:15], vcc
	s_cbranch_execz .LBB65_66
.LBB65_63:
	s_waitcnt vmcnt(0)
	v_cmp_o_f32_e32 vcc, v1, v1
	v_mov_b32_e32 v19, v1
	s_and_saveexec_b64 s[16:17], vcc
; %bb.64:
	v_cmp_lt_f32_e32 vcc, v1, v7
	v_cndmask_b32_e32 v19, v7, v1, vcc
; %bb.65:
	s_or_b64 exec, exec, s[16:17]
	v_mov_b32_e32 v7, v19
.LBB65_66:
	s_or_b64 exec, exec, s[14:15]
	s_add_i32 s1, s12, 0x2000
	s_cmp_ge_i32 s1, s21
	s_movk_i32 s13, 0x2000
	s_cbranch_scc1 .LBB65_134
; %bb.67:
	s_waitcnt vmcnt(0)
	v_mov_b32_e32 v1, s9
	v_add_co_u32_e32 v19, vcc, s8, v18
	v_addc_co_u32_e32 v20, vcc, 0, v1, vcc
	s_movk_i32 s18, 0x1000
.LBB65_68:                              ; =>This Inner Loop Header: Depth=1
	s_ashr_i32 s1, s0, 31
	s_lshl_b64 s[14:15], s[0:1], 2
	s_waitcnt vmcnt(0)
	v_mov_b32_e32 v1, s15
	v_add_co_u32_e32 v21, vcc, s14, v19
	v_addc_co_u32_e32 v22, vcc, v20, v1, vcc
	v_add_co_u32_e32 v23, vcc, s18, v21
	v_addc_co_u32_e32 v24, vcc, 0, v22, vcc
	;; [unrolled: 2-line block ×4, first 2 shown]
	global_load_dword v17, v[21:22], off
	global_load_dword v16, v[21:22], off offset:1024
	global_load_dword v15, v[21:22], off offset:2048
	;; [unrolled: 1-line block ×6, first 2 shown]
	global_load_dword v4, v[27:28], off
	global_load_dword v13, v[25:26], off offset:-4096
	global_load_dword v9, v[25:26], off
	global_load_dword v8, v[25:26], off offset:1024
	global_load_dword v6, v[25:26], off offset:2048
	;; [unrolled: 1-line block ×5, first 2 shown]
                                        ; kill: killed $vgpr21 killed $vgpr22
                                        ; kill: killed $vgpr25 killed $vgpr26
                                        ; kill: killed $vgpr23 killed $vgpr24
	global_load_dword v1, v[27:28], off offset:3072
	v_cmp_o_f32_e32 vcc, v7, v7
	s_and_saveexec_b64 s[14:15], vcc
	s_cbranch_execnz .LBB65_84
; %bb.69:                               ;   in Loop: Header=BB65_68 Depth=1
	s_or_b64 exec, exec, s[14:15]
	v_cmp_o_f32_e32 vcc, v7, v7
	s_and_saveexec_b64 s[14:15], vcc
	s_cbranch_execnz .LBB65_87
.LBB65_70:                              ;   in Loop: Header=BB65_68 Depth=1
	s_or_b64 exec, exec, s[14:15]
	v_cmp_o_f32_e32 vcc, v7, v7
	s_and_saveexec_b64 s[14:15], vcc
	s_cbranch_execnz .LBB65_90
.LBB65_71:                              ;   in Loop: Header=BB65_68 Depth=1
	s_or_b64 exec, exec, s[14:15]
	v_cmp_o_f32_e32 vcc, v7, v7
	s_and_saveexec_b64 s[14:15], vcc
	s_cbranch_execnz .LBB65_93
.LBB65_72:                              ;   in Loop: Header=BB65_68 Depth=1
	s_or_b64 exec, exec, s[14:15]
	v_cmp_o_f32_e32 vcc, v7, v7
	s_and_saveexec_b64 s[14:15], vcc
	s_cbranch_execnz .LBB65_96
.LBB65_73:                              ;   in Loop: Header=BB65_68 Depth=1
	s_or_b64 exec, exec, s[14:15]
	v_cmp_o_f32_e32 vcc, v7, v7
	s_and_saveexec_b64 s[14:15], vcc
	s_cbranch_execnz .LBB65_99
.LBB65_74:                              ;   in Loop: Header=BB65_68 Depth=1
	s_or_b64 exec, exec, s[14:15]
	v_cmp_o_f32_e32 vcc, v7, v7
	s_and_saveexec_b64 s[14:15], vcc
	s_cbranch_execnz .LBB65_102
.LBB65_75:                              ;   in Loop: Header=BB65_68 Depth=1
	s_or_b64 exec, exec, s[14:15]
	v_cmp_o_f32_e32 vcc, v7, v7
	s_and_saveexec_b64 s[14:15], vcc
	s_cbranch_execnz .LBB65_105
.LBB65_76:                              ;   in Loop: Header=BB65_68 Depth=1
	s_or_b64 exec, exec, s[14:15]
	v_cmp_o_f32_e32 vcc, v7, v7
	s_and_saveexec_b64 s[14:15], vcc
	s_cbranch_execnz .LBB65_108
.LBB65_77:                              ;   in Loop: Header=BB65_68 Depth=1
	s_or_b64 exec, exec, s[14:15]
	v_cmp_o_f32_e32 vcc, v7, v7
	s_and_saveexec_b64 s[14:15], vcc
	s_cbranch_execnz .LBB65_111
.LBB65_78:                              ;   in Loop: Header=BB65_68 Depth=1
	s_or_b64 exec, exec, s[14:15]
	v_cmp_o_f32_e32 vcc, v7, v7
	s_and_saveexec_b64 s[14:15], vcc
	s_cbranch_execnz .LBB65_114
.LBB65_79:                              ;   in Loop: Header=BB65_68 Depth=1
	s_or_b64 exec, exec, s[14:15]
	v_cmp_o_f32_e32 vcc, v7, v7
	s_and_saveexec_b64 s[14:15], vcc
	s_cbranch_execnz .LBB65_117
.LBB65_80:                              ;   in Loop: Header=BB65_68 Depth=1
	s_or_b64 exec, exec, s[14:15]
	v_cmp_o_f32_e32 vcc, v7, v7
	s_and_saveexec_b64 s[14:15], vcc
	s_cbranch_execnz .LBB65_120
.LBB65_81:                              ;   in Loop: Header=BB65_68 Depth=1
	s_or_b64 exec, exec, s[14:15]
	v_cmp_o_f32_e32 vcc, v7, v7
	s_and_saveexec_b64 s[14:15], vcc
	s_cbranch_execnz .LBB65_123
.LBB65_82:                              ;   in Loop: Header=BB65_68 Depth=1
	s_or_b64 exec, exec, s[14:15]
	v_cmp_o_f32_e32 vcc, v7, v7
	s_and_saveexec_b64 s[14:15], vcc
	s_cbranch_execnz .LBB65_126
.LBB65_83:                              ;   in Loop: Header=BB65_68 Depth=1
	s_or_b64 exec, exec, s[14:15]
	v_cmp_o_f32_e32 vcc, v7, v7
	s_and_saveexec_b64 s[14:15], vcc
	s_cbranch_execnz .LBB65_129
	s_branch .LBB65_132
.LBB65_84:                              ;   in Loop: Header=BB65_68 Depth=1
	s_waitcnt vmcnt(15)
	v_cmp_o_f32_e32 vcc, v17, v17
	v_mov_b32_e32 v21, v17
	s_and_saveexec_b64 s[16:17], vcc
; %bb.85:                               ;   in Loop: Header=BB65_68 Depth=1
	v_cmp_lt_f32_e32 vcc, v17, v7
	v_cndmask_b32_e32 v21, v7, v17, vcc
; %bb.86:                               ;   in Loop: Header=BB65_68 Depth=1
	s_or_b64 exec, exec, s[16:17]
	v_mov_b32_e32 v7, v21
	s_or_b64 exec, exec, s[14:15]
	v_cmp_o_f32_e32 vcc, v7, v7
	s_and_saveexec_b64 s[14:15], vcc
	s_cbranch_execz .LBB65_70
.LBB65_87:                              ;   in Loop: Header=BB65_68 Depth=1
	s_waitcnt vmcnt(14)
	v_cmp_o_f32_e32 vcc, v16, v16
	v_mov_b32_e32 v21, v16
	s_and_saveexec_b64 s[16:17], vcc
; %bb.88:                               ;   in Loop: Header=BB65_68 Depth=1
	v_cmp_lt_f32_e32 vcc, v16, v7
	v_cndmask_b32_e32 v21, v7, v16, vcc
; %bb.89:                               ;   in Loop: Header=BB65_68 Depth=1
	s_or_b64 exec, exec, s[16:17]
	v_mov_b32_e32 v7, v21
	s_or_b64 exec, exec, s[14:15]
	v_cmp_o_f32_e32 vcc, v7, v7
	s_and_saveexec_b64 s[14:15], vcc
	s_cbranch_execz .LBB65_71
.LBB65_90:                              ;   in Loop: Header=BB65_68 Depth=1
	s_waitcnt vmcnt(13)
	v_cmp_o_f32_e32 vcc, v15, v15
	v_mov_b32_e32 v21, v15
	s_and_saveexec_b64 s[16:17], vcc
; %bb.91:                               ;   in Loop: Header=BB65_68 Depth=1
	v_cmp_lt_f32_e32 vcc, v15, v7
	v_cndmask_b32_e32 v21, v7, v15, vcc
; %bb.92:                               ;   in Loop: Header=BB65_68 Depth=1
	s_or_b64 exec, exec, s[16:17]
	v_mov_b32_e32 v7, v21
	s_or_b64 exec, exec, s[14:15]
	v_cmp_o_f32_e32 vcc, v7, v7
	s_and_saveexec_b64 s[14:15], vcc
	s_cbranch_execz .LBB65_72
.LBB65_93:                              ;   in Loop: Header=BB65_68 Depth=1
	s_waitcnt vmcnt(12)
	v_cmp_o_f32_e32 vcc, v14, v14
	v_mov_b32_e32 v21, v14
	s_and_saveexec_b64 s[16:17], vcc
; %bb.94:                               ;   in Loop: Header=BB65_68 Depth=1
	v_cmp_lt_f32_e32 vcc, v14, v7
	v_cndmask_b32_e32 v21, v7, v14, vcc
; %bb.95:                               ;   in Loop: Header=BB65_68 Depth=1
	s_or_b64 exec, exec, s[16:17]
	v_mov_b32_e32 v7, v21
	s_or_b64 exec, exec, s[14:15]
	v_cmp_o_f32_e32 vcc, v7, v7
	s_and_saveexec_b64 s[14:15], vcc
	s_cbranch_execz .LBB65_73
.LBB65_96:                              ;   in Loop: Header=BB65_68 Depth=1
	s_waitcnt vmcnt(7)
	v_cmp_o_f32_e32 vcc, v13, v13
	v_mov_b32_e32 v21, v13
	s_and_saveexec_b64 s[16:17], vcc
; %bb.97:                               ;   in Loop: Header=BB65_68 Depth=1
	v_cmp_lt_f32_e32 vcc, v13, v7
	v_cndmask_b32_e32 v21, v7, v13, vcc
; %bb.98:                               ;   in Loop: Header=BB65_68 Depth=1
	s_or_b64 exec, exec, s[16:17]
	v_mov_b32_e32 v7, v21
	s_or_b64 exec, exec, s[14:15]
	v_cmp_o_f32_e32 vcc, v7, v7
	s_and_saveexec_b64 s[14:15], vcc
	s_cbranch_execz .LBB65_74
.LBB65_99:                              ;   in Loop: Header=BB65_68 Depth=1
	s_waitcnt vmcnt(11)
	v_cmp_o_f32_e32 vcc, v12, v12
	v_mov_b32_e32 v21, v12
	s_and_saveexec_b64 s[16:17], vcc
; %bb.100:                              ;   in Loop: Header=BB65_68 Depth=1
	v_cmp_lt_f32_e32 vcc, v12, v7
	v_cndmask_b32_e32 v21, v7, v12, vcc
; %bb.101:                              ;   in Loop: Header=BB65_68 Depth=1
	s_or_b64 exec, exec, s[16:17]
	v_mov_b32_e32 v7, v21
	s_or_b64 exec, exec, s[14:15]
	v_cmp_o_f32_e32 vcc, v7, v7
	s_and_saveexec_b64 s[14:15], vcc
	s_cbranch_execz .LBB65_75
.LBB65_102:                             ;   in Loop: Header=BB65_68 Depth=1
	s_waitcnt vmcnt(10)
	v_cmp_o_f32_e32 vcc, v11, v11
	v_mov_b32_e32 v21, v11
	s_and_saveexec_b64 s[16:17], vcc
; %bb.103:                              ;   in Loop: Header=BB65_68 Depth=1
	v_cmp_lt_f32_e32 vcc, v11, v7
	v_cndmask_b32_e32 v21, v7, v11, vcc
; %bb.104:                              ;   in Loop: Header=BB65_68 Depth=1
	s_or_b64 exec, exec, s[16:17]
	v_mov_b32_e32 v7, v21
	s_or_b64 exec, exec, s[14:15]
	v_cmp_o_f32_e32 vcc, v7, v7
	s_and_saveexec_b64 s[14:15], vcc
	s_cbranch_execz .LBB65_76
.LBB65_105:                             ;   in Loop: Header=BB65_68 Depth=1
	s_waitcnt vmcnt(9)
	v_cmp_o_f32_e32 vcc, v10, v10
	v_mov_b32_e32 v21, v10
	s_and_saveexec_b64 s[16:17], vcc
; %bb.106:                              ;   in Loop: Header=BB65_68 Depth=1
	v_cmp_lt_f32_e32 vcc, v10, v7
	v_cndmask_b32_e32 v21, v7, v10, vcc
; %bb.107:                              ;   in Loop: Header=BB65_68 Depth=1
	s_or_b64 exec, exec, s[16:17]
	v_mov_b32_e32 v7, v21
	s_or_b64 exec, exec, s[14:15]
	v_cmp_o_f32_e32 vcc, v7, v7
	s_and_saveexec_b64 s[14:15], vcc
	s_cbranch_execz .LBB65_77
.LBB65_108:                             ;   in Loop: Header=BB65_68 Depth=1
	s_waitcnt vmcnt(6)
	v_cmp_o_f32_e32 vcc, v9, v9
	v_mov_b32_e32 v21, v9
	s_and_saveexec_b64 s[16:17], vcc
; %bb.109:                              ;   in Loop: Header=BB65_68 Depth=1
	v_cmp_lt_f32_e32 vcc, v9, v7
	v_cndmask_b32_e32 v21, v7, v9, vcc
; %bb.110:                              ;   in Loop: Header=BB65_68 Depth=1
	s_or_b64 exec, exec, s[16:17]
	v_mov_b32_e32 v7, v21
	s_or_b64 exec, exec, s[14:15]
	v_cmp_o_f32_e32 vcc, v7, v7
	s_and_saveexec_b64 s[14:15], vcc
	s_cbranch_execz .LBB65_78
.LBB65_111:                             ;   in Loop: Header=BB65_68 Depth=1
	s_waitcnt vmcnt(5)
	v_cmp_o_f32_e32 vcc, v8, v8
	v_mov_b32_e32 v21, v8
	s_and_saveexec_b64 s[16:17], vcc
; %bb.112:                              ;   in Loop: Header=BB65_68 Depth=1
	v_cmp_lt_f32_e32 vcc, v8, v7
	v_cndmask_b32_e32 v21, v7, v8, vcc
; %bb.113:                              ;   in Loop: Header=BB65_68 Depth=1
	s_or_b64 exec, exec, s[16:17]
	v_mov_b32_e32 v7, v21
	s_or_b64 exec, exec, s[14:15]
	v_cmp_o_f32_e32 vcc, v7, v7
	s_and_saveexec_b64 s[14:15], vcc
	s_cbranch_execz .LBB65_79
.LBB65_114:                             ;   in Loop: Header=BB65_68 Depth=1
	s_waitcnt vmcnt(4)
	v_cmp_o_f32_e32 vcc, v6, v6
	v_mov_b32_e32 v21, v6
	s_and_saveexec_b64 s[16:17], vcc
; %bb.115:                              ;   in Loop: Header=BB65_68 Depth=1
	v_cmp_lt_f32_e32 vcc, v6, v7
	v_cndmask_b32_e32 v21, v7, v6, vcc
; %bb.116:                              ;   in Loop: Header=BB65_68 Depth=1
	s_or_b64 exec, exec, s[16:17]
	v_mov_b32_e32 v7, v21
	s_or_b64 exec, exec, s[14:15]
	v_cmp_o_f32_e32 vcc, v7, v7
	s_and_saveexec_b64 s[14:15], vcc
	s_cbranch_execz .LBB65_80
.LBB65_117:                             ;   in Loop: Header=BB65_68 Depth=1
	s_waitcnt vmcnt(3)
	v_cmp_o_f32_e32 vcc, v5, v5
	v_mov_b32_e32 v21, v5
	s_and_saveexec_b64 s[16:17], vcc
; %bb.118:                              ;   in Loop: Header=BB65_68 Depth=1
	v_cmp_lt_f32_e32 vcc, v5, v7
	v_cndmask_b32_e32 v21, v7, v5, vcc
; %bb.119:                              ;   in Loop: Header=BB65_68 Depth=1
	s_or_b64 exec, exec, s[16:17]
	v_mov_b32_e32 v7, v21
	s_or_b64 exec, exec, s[14:15]
	v_cmp_o_f32_e32 vcc, v7, v7
	s_and_saveexec_b64 s[14:15], vcc
	s_cbranch_execz .LBB65_81
.LBB65_120:                             ;   in Loop: Header=BB65_68 Depth=1
	s_waitcnt vmcnt(8)
	v_cmp_o_f32_e32 vcc, v4, v4
	v_mov_b32_e32 v21, v4
	s_and_saveexec_b64 s[16:17], vcc
; %bb.121:                              ;   in Loop: Header=BB65_68 Depth=1
	v_cmp_lt_f32_e32 vcc, v4, v7
	v_cndmask_b32_e32 v21, v7, v4, vcc
; %bb.122:                              ;   in Loop: Header=BB65_68 Depth=1
	s_or_b64 exec, exec, s[16:17]
	v_mov_b32_e32 v7, v21
	s_or_b64 exec, exec, s[14:15]
	v_cmp_o_f32_e32 vcc, v7, v7
	s_and_saveexec_b64 s[14:15], vcc
	s_cbranch_execz .LBB65_82
.LBB65_123:                             ;   in Loop: Header=BB65_68 Depth=1
	s_waitcnt vmcnt(2)
	v_cmp_o_f32_e32 vcc, v3, v3
	v_mov_b32_e32 v21, v3
	s_and_saveexec_b64 s[16:17], vcc
; %bb.124:                              ;   in Loop: Header=BB65_68 Depth=1
	v_cmp_lt_f32_e32 vcc, v3, v7
	v_cndmask_b32_e32 v21, v7, v3, vcc
; %bb.125:                              ;   in Loop: Header=BB65_68 Depth=1
	s_or_b64 exec, exec, s[16:17]
	v_mov_b32_e32 v7, v21
	s_or_b64 exec, exec, s[14:15]
	v_cmp_o_f32_e32 vcc, v7, v7
	s_and_saveexec_b64 s[14:15], vcc
	s_cbranch_execz .LBB65_83
.LBB65_126:                             ;   in Loop: Header=BB65_68 Depth=1
	s_waitcnt vmcnt(1)
	v_cmp_o_f32_e32 vcc, v2, v2
	v_mov_b32_e32 v21, v2
	s_and_saveexec_b64 s[16:17], vcc
; %bb.127:                              ;   in Loop: Header=BB65_68 Depth=1
	v_cmp_lt_f32_e32 vcc, v2, v7
	v_cndmask_b32_e32 v21, v7, v2, vcc
; %bb.128:                              ;   in Loop: Header=BB65_68 Depth=1
	s_or_b64 exec, exec, s[16:17]
	v_mov_b32_e32 v7, v21
	s_or_b64 exec, exec, s[14:15]
	v_cmp_o_f32_e32 vcc, v7, v7
	s_and_saveexec_b64 s[14:15], vcc
	s_cbranch_execz .LBB65_132
.LBB65_129:                             ;   in Loop: Header=BB65_68 Depth=1
	s_waitcnt vmcnt(0)
	v_cmp_o_f32_e32 vcc, v1, v1
	v_mov_b32_e32 v21, v1
	s_and_saveexec_b64 s[16:17], vcc
; %bb.130:                              ;   in Loop: Header=BB65_68 Depth=1
	v_cmp_lt_f32_e32 vcc, v1, v7
	v_cndmask_b32_e32 v21, v7, v1, vcc
; %bb.131:                              ;   in Loop: Header=BB65_68 Depth=1
	s_or_b64 exec, exec, s[16:17]
	v_mov_b32_e32 v7, v21
.LBB65_132:                             ;   in Loop: Header=BB65_68 Depth=1
	s_or_b64 exec, exec, s[14:15]
	s_add_i32 s14, s0, 0x1000
	s_addk_i32 s0, 0x2000
	s_cmp_lt_i32 s0, s21
	s_cbranch_scc0 .LBB65_135
; %bb.133:                              ;   in Loop: Header=BB65_68 Depth=1
	s_mov_b32 s0, s14
	s_branch .LBB65_68
.LBB65_134:
	s_mov_b32 s14, s0
.LBB65_135:
	s_ashr_i32 s15, s14, 31
	s_sub_i32 s13, s21, s14
	s_lshl_b64 s[0:1], s[14:15], 2
	s_add_u32 s0, s8, s0
	s_addc_u32 s1, s9, s1
	v_cmp_gt_u32_e32 vcc, s13, v0
	s_and_saveexec_b64 s[14:15], vcc
	s_cbranch_execz .LBB65_137
; %bb.136:
	global_load_dword v17, v18, s[0:1]
.LBB65_137:
	s_or_b64 exec, exec, s[14:15]
	v_or_b32_e32 v32, 0x100, v0
	v_cmp_gt_u32_e32 vcc, s13, v32
	s_and_saveexec_b64 s[14:15], vcc
	s_cbranch_execz .LBB65_139
; %bb.138:
	global_load_dword v16, v18, s[0:1] offset:1024
.LBB65_139:
	s_or_b64 exec, exec, s[14:15]
	v_or_b32_e32 v31, 0x200, v0
	v_cmp_gt_u32_e32 vcc, s13, v31
	s_and_saveexec_b64 s[14:15], vcc
	s_cbranch_execz .LBB65_141
; %bb.140:
	global_load_dword v15, v18, s[0:1] offset:2048
.LBB65_141:
	;; [unrolled: 8-line block ×3, first 2 shown]
	s_or_b64 exec, exec, s[14:15]
	v_or_b32_e32 v29, 0x400, v0
	v_cmp_gt_u32_e32 vcc, s13, v29
	s_and_saveexec_b64 s[14:15], vcc
	s_cbranch_execz .LBB65_145
; %bb.144:
	s_waitcnt vmcnt(7)
	v_lshlrev_b32_e32 v13, 2, v29
	global_load_dword v13, v13, s[0:1]
.LBB65_145:
	s_or_b64 exec, exec, s[14:15]
	v_or_b32_e32 v28, 0x500, v0
	v_cmp_gt_u32_e32 vcc, s13, v28
	s_and_saveexec_b64 s[14:15], vcc
	s_cbranch_execz .LBB65_147
; %bb.146:
	s_waitcnt vmcnt(11)
	v_lshlrev_b32_e32 v12, 2, v28
	global_load_dword v12, v12, s[0:1]
.LBB65_147:
	;; [unrolled: 10-line block ×12, first 2 shown]
	s_or_b64 exec, exec, s[14:15]
	v_cmp_gt_u32_e32 vcc, s13, v0
	v_cmp_o_f32_e64 s[0:1], v7, v7
	s_and_b64 s[14:15], vcc, s[0:1]
	s_and_saveexec_b64 s[0:1], s[14:15]
	s_cbranch_execz .LBB65_171
; %bb.168:
	s_waitcnt vmcnt(0)
	v_cmp_o_f32_e32 vcc, v17, v17
	s_and_saveexec_b64 s[14:15], vcc
; %bb.169:
	v_cmp_lt_f32_e32 vcc, v17, v7
	v_cndmask_b32_e32 v17, v7, v17, vcc
; %bb.170:
	s_or_b64 exec, exec, s[14:15]
	v_mov_b32_e32 v7, v17
.LBB65_171:
	s_or_b64 exec, exec, s[0:1]
	v_cmp_gt_u32_e32 vcc, s13, v32
	v_cmp_o_f32_e64 s[0:1], v7, v7
	s_and_b64 s[14:15], vcc, s[0:1]
	s_and_saveexec_b64 s[0:1], s[14:15]
	s_cbranch_execz .LBB65_175
; %bb.172:
	s_waitcnt vmcnt(0)
	v_cmp_o_f32_e32 vcc, v16, v16
	s_and_saveexec_b64 s[14:15], vcc
; %bb.173:
	v_cmp_lt_f32_e32 vcc, v16, v7
	v_cndmask_b32_e32 v16, v7, v16, vcc
; %bb.174:
	s_or_b64 exec, exec, s[14:15]
	v_mov_b32_e32 v7, v16
.LBB65_175:
	;; [unrolled: 17-line block ×16, first 2 shown]
	s_or_b64 exec, exec, s[0:1]
	s_waitcnt vmcnt(0)
	v_mov_b32_dpp v1, v7 quad_perm:[1,0,3,2] row_mask:0xf bank_mask:0xf bound_ctrl:1
	v_cmp_o_f32_e32 vcc, v1, v1
	s_and_saveexec_b64 s[0:1], vcc
	s_xor_b64 s[0:1], exec, s[0:1]
	s_cbranch_execz .LBB65_235
; %bb.232:
	v_cmp_o_f32_e32 vcc, v7, v7
	s_and_saveexec_b64 s[14:15], vcc
; %bb.233:
	v_cmp_lt_f32_e32 vcc, v7, v1
	v_cndmask_b32_e32 v7, v1, v7, vcc
; %bb.234:
	s_or_b64 exec, exec, s[14:15]
	v_mov_b32_e32 v1, v7
.LBB65_235:
	s_or_b64 exec, exec, s[0:1]
	s_nop 0
	v_mov_b32_dpp v2, v1 quad_perm:[2,3,0,1] row_mask:0xf bank_mask:0xf bound_ctrl:1
	v_cmp_o_f32_e32 vcc, v2, v2
	s_and_saveexec_b64 s[0:1], vcc
	s_cbranch_execz .LBB65_239
; %bb.236:
	v_cmp_o_f32_e32 vcc, v1, v1
	s_and_saveexec_b64 s[14:15], vcc
; %bb.237:
	v_cmp_lt_f32_e32 vcc, v1, v2
	v_cndmask_b32_e32 v1, v2, v1, vcc
; %bb.238:
	s_or_b64 exec, exec, s[14:15]
	v_mov_b32_e32 v2, v1
.LBB65_239:
	s_or_b64 exec, exec, s[0:1]
	s_nop 0
	v_mov_b32_dpp v1, v2 row_ror:4 row_mask:0xf bank_mask:0xf bound_ctrl:1
	v_cmp_o_f32_e32 vcc, v1, v1
	s_and_saveexec_b64 s[0:1], vcc
	s_cbranch_execz .LBB65_243
; %bb.240:
	v_cmp_o_f32_e32 vcc, v2, v2
	s_and_saveexec_b64 s[14:15], vcc
; %bb.241:
	v_cmp_lt_f32_e32 vcc, v2, v1
	v_cndmask_b32_e32 v2, v1, v2, vcc
; %bb.242:
	s_or_b64 exec, exec, s[14:15]
	v_mov_b32_e32 v1, v2
.LBB65_243:
	s_or_b64 exec, exec, s[0:1]
	s_nop 0
	v_mov_b32_dpp v2, v1 row_ror:8 row_mask:0xf bank_mask:0xf bound_ctrl:1
	v_cmp_o_f32_e32 vcc, v2, v2
	s_and_saveexec_b64 s[0:1], vcc
	s_cbranch_execz .LBB65_247
; %bb.244:
	v_cmp_o_f32_e32 vcc, v1, v1
	s_and_saveexec_b64 s[14:15], vcc
; %bb.245:
	v_cmp_lt_f32_e32 vcc, v1, v2
	v_cndmask_b32_e32 v1, v2, v1, vcc
; %bb.246:
	s_or_b64 exec, exec, s[14:15]
	v_mov_b32_e32 v2, v1
.LBB65_247:
	s_or_b64 exec, exec, s[0:1]
	s_nop 0
	v_mov_b32_dpp v1, v2 row_bcast:15 row_mask:0xf bank_mask:0xf bound_ctrl:1
	v_cmp_o_f32_e32 vcc, v1, v1
	s_and_saveexec_b64 s[0:1], vcc
	s_cbranch_execz .LBB65_251
; %bb.248:
	v_cmp_o_f32_e32 vcc, v2, v2
	s_and_saveexec_b64 s[14:15], vcc
; %bb.249:
	v_cmp_lt_f32_e32 vcc, v2, v1
	v_cndmask_b32_e32 v2, v1, v2, vcc
; %bb.250:
	s_or_b64 exec, exec, s[14:15]
	v_mov_b32_e32 v1, v2
.LBB65_251:
	s_or_b64 exec, exec, s[0:1]
	s_nop 0
	v_mov_b32_dpp v3, v1 row_bcast:31 row_mask:0xf bank_mask:0xf bound_ctrl:1
	v_cmp_o_f32_e32 vcc, v3, v3
	s_and_saveexec_b64 s[0:1], vcc
	s_cbranch_execz .LBB65_255
; %bb.252:
	v_cmp_o_f32_e32 vcc, v1, v1
	s_and_saveexec_b64 s[14:15], vcc
; %bb.253:
	v_cmp_lt_f32_e32 vcc, v1, v3
	v_cndmask_b32_e32 v1, v3, v1, vcc
; %bb.254:
	s_or_b64 exec, exec, s[14:15]
	v_mov_b32_e32 v3, v1
.LBB65_255:
	s_or_b64 exec, exec, s[0:1]
	v_mbcnt_lo_u32_b32 v1, -1, 0
	v_mbcnt_hi_u32_b32 v2, -1, v1
	v_lshlrev_b32_e32 v1, 2, v2
	v_or_b32_e32 v4, 0xfc, v1
	ds_bpermute_b32 v3, v4, v3
	v_cmp_eq_u32_e32 vcc, 0, v2
	s_and_saveexec_b64 s[0:1], vcc
	s_cbranch_execz .LBB65_257
; %bb.256:
	v_lshrrev_b32_e32 v4, 4, v0
	v_and_b32_e32 v4, 12, v4
	s_waitcnt lgkmcnt(0)
	ds_write_b32 v4, v3
.LBB65_257:
	s_or_b64 exec, exec, s[0:1]
	v_cmp_gt_u32_e32 vcc, 64, v0
	s_waitcnt lgkmcnt(0)
	s_barrier
	s_and_saveexec_b64 s[0:1], vcc
	s_cbranch_execz .LBB65_267
; %bb.258:
	v_and_b32_e32 v4, 3, v2
	v_lshlrev_b32_e32 v3, 2, v4
	ds_read_b32 v3, v3
	v_cmp_ne_u32_e32 vcc, 3, v4
	v_addc_co_u32_e32 v2, vcc, 0, v2, vcc
	v_lshlrev_b32_e32 v2, 2, v2
	s_waitcnt lgkmcnt(0)
	ds_bpermute_b32 v2, v2, v3
	v_cmp_o_f32_e32 vcc, v3, v3
	s_and_saveexec_b64 s[14:15], vcc
	s_cbranch_execz .LBB65_262
; %bb.259:
	s_waitcnt lgkmcnt(0)
	v_cmp_o_f32_e32 vcc, v2, v2
	s_and_saveexec_b64 s[16:17], vcc
; %bb.260:
	v_cmp_gt_f32_e32 vcc, v3, v2
	v_cndmask_b32_e32 v2, v3, v2, vcc
; %bb.261:
	s_or_b64 exec, exec, s[16:17]
	v_mov_b32_e32 v3, v2
.LBB65_262:
	s_or_b64 exec, exec, s[14:15]
	v_or_b32_e32 v1, 8, v1
	ds_bpermute_b32 v1, v1, v3
	v_cmp_o_f32_e32 vcc, v3, v3
	s_and_saveexec_b64 s[14:15], vcc
	s_cbranch_execz .LBB65_266
; %bb.263:
	s_waitcnt lgkmcnt(0)
	v_cmp_o_f32_e32 vcc, v1, v1
	s_and_saveexec_b64 s[16:17], vcc
; %bb.264:
	v_cmp_gt_f32_e32 vcc, v3, v1
	v_cndmask_b32_e32 v1, v3, v1, vcc
; %bb.265:
	s_or_b64 exec, exec, s[16:17]
	v_mov_b32_e32 v3, v1
.LBB65_266:
	s_or_b64 exec, exec, s[14:15]
.LBB65_267:
	s_or_b64 exec, exec, s[0:1]
	s_branch .LBB65_366
.LBB65_268:
	s_sub_i32 s22, s21, s12
	v_cmp_gt_u32_e32 vcc, s22, v0
                                        ; implicit-def: $vgpr4
	s_and_saveexec_b64 s[0:1], vcc
	s_cbranch_execz .LBB65_278
; %bb.269:
	s_waitcnt lgkmcnt(0)
	v_add_u32_e32 v1, s12, v0
	v_ashrrev_i32_e32 v2, 31, v1
	v_lshlrev_b64 v[2:3], 2, v[1:2]
	v_mov_b32_e32 v4, s9
	v_add_co_u32_e32 v2, vcc, s8, v2
	v_addc_co_u32_e32 v3, vcc, v4, v3, vcc
	global_load_dword v4, v[2:3], off
	v_add_u32_e32 v1, 0x100, v1
	v_cmp_gt_i32_e32 vcc, s21, v1
	s_and_saveexec_b64 s[12:13], vcc
	s_cbranch_execz .LBB65_277
; %bb.270:
	s_mov_b64 s[14:15], 0
	s_branch .LBB65_273
.LBB65_271:                             ;   in Loop: Header=BB65_273 Depth=1
	s_or_b64 exec, exec, s[18:19]
	v_mov_b32_e32 v4, v2
.LBB65_272:                             ;   in Loop: Header=BB65_273 Depth=1
	s_or_b64 exec, exec, s[16:17]
	v_add_u32_e32 v1, 0x100, v1
	v_cmp_le_i32_e32 vcc, s21, v1
	s_or_b64 s[14:15], vcc, s[14:15]
	s_andn2_b64 exec, exec, s[14:15]
	s_cbranch_execz .LBB65_276
.LBB65_273:                             ; =>This Inner Loop Header: Depth=1
	s_waitcnt vmcnt(0)
	v_cmp_o_f32_e32 vcc, v4, v4
	s_and_saveexec_b64 s[16:17], vcc
	s_cbranch_execz .LBB65_272
; %bb.274:                              ;   in Loop: Header=BB65_273 Depth=1
	v_ashrrev_i32_e32 v2, 31, v1
	v_lshlrev_b64 v[2:3], 2, v[1:2]
	v_mov_b32_e32 v5, s9
	v_add_co_u32_e32 v2, vcc, s8, v2
	v_addc_co_u32_e32 v3, vcc, v5, v3, vcc
	global_load_dword v2, v[2:3], off
	s_waitcnt vmcnt(0)
	v_cmp_o_f32_e32 vcc, v2, v2
	s_and_saveexec_b64 s[18:19], vcc
	s_cbranch_execz .LBB65_271
; %bb.275:                              ;   in Loop: Header=BB65_273 Depth=1
	v_cmp_lt_f32_e32 vcc, v2, v4
	v_cndmask_b32_e32 v2, v4, v2, vcc
	s_branch .LBB65_271
.LBB65_276:
	s_or_b64 exec, exec, s[14:15]
.LBB65_277:
	s_or_b64 exec, exec, s[12:13]
.LBB65_278:
	s_or_b64 exec, exec, s[0:1]
	s_waitcnt lgkmcnt(0)
	v_mbcnt_lo_u32_b32 v1, -1, 0
	s_cmpk_lt_u32 s22, 0x100
	v_lshrrev_b32_e32 v2, 6, v0
	v_mbcnt_hi_u32_b32 v1, -1, v1
	s_cbranch_scc0 .LBB65_328
; %bb.279:
	v_and_b32_e32 v5, 63, v1
	v_cmp_ne_u32_e32 vcc, 63, v5
	v_addc_co_u32_e32 v6, vcc, 0, v1, vcc
	v_lshlrev_b32_e32 v6, 2, v6
	s_waitcnt vmcnt(0)
	ds_bpermute_b32 v7, v6, v4
	v_and_b32_e32 v3, 0xc0, v0
	v_sub_u32_e64 v6, s22, v3 clamp
	v_add_u32_e32 v3, 1, v5
	v_cmp_lt_u32_e32 vcc, v3, v6
	v_mov_b32_e32 v3, v4
	s_and_saveexec_b64 s[0:1], vcc
	s_cbranch_execz .LBB65_285
; %bb.280:
	v_cmp_o_f32_e32 vcc, v4, v4
	v_mov_b32_e32 v3, v4
	s_and_saveexec_b64 s[8:9], vcc
	s_cbranch_execz .LBB65_284
; %bb.281:
	s_waitcnt lgkmcnt(0)
	v_cmp_o_f32_e32 vcc, v7, v7
	s_and_saveexec_b64 s[12:13], vcc
; %bb.282:
	v_cmp_gt_f32_e32 vcc, v4, v7
	v_cndmask_b32_e32 v7, v4, v7, vcc
; %bb.283:
	s_or_b64 exec, exec, s[12:13]
	v_mov_b32_e32 v3, v7
.LBB65_284:
	s_or_b64 exec, exec, s[8:9]
.LBB65_285:
	s_or_b64 exec, exec, s[0:1]
	v_cmp_gt_u32_e32 vcc, 62, v5
	s_waitcnt lgkmcnt(0)
	v_cndmask_b32_e64 v7, 0, 2, vcc
	v_add_lshl_u32 v7, v7, v1, 2
	ds_bpermute_b32 v7, v7, v3
	v_add_u32_e32 v8, 2, v5
	v_cmp_lt_u32_e32 vcc, v8, v6
	s_and_saveexec_b64 s[0:1], vcc
	s_cbranch_execz .LBB65_291
; %bb.286:
	v_cmp_o_f32_e32 vcc, v3, v3
	s_and_saveexec_b64 s[8:9], vcc
	s_cbranch_execz .LBB65_290
; %bb.287:
	s_waitcnt lgkmcnt(0)
	v_cmp_o_f32_e32 vcc, v7, v7
	s_and_saveexec_b64 s[12:13], vcc
; %bb.288:
	v_cmp_gt_f32_e32 vcc, v3, v7
	v_cndmask_b32_e32 v7, v3, v7, vcc
; %bb.289:
	s_or_b64 exec, exec, s[12:13]
	v_mov_b32_e32 v3, v7
.LBB65_290:
	s_or_b64 exec, exec, s[8:9]
.LBB65_291:
	s_or_b64 exec, exec, s[0:1]
	v_cmp_gt_u32_e32 vcc, 60, v5
	s_waitcnt lgkmcnt(0)
	v_cndmask_b32_e64 v7, 0, 4, vcc
	v_add_lshl_u32 v7, v7, v1, 2
	ds_bpermute_b32 v7, v7, v3
	v_add_u32_e32 v8, 4, v5
	v_cmp_lt_u32_e32 vcc, v8, v6
	s_and_saveexec_b64 s[0:1], vcc
	s_cbranch_execz .LBB65_297
; %bb.292:
	v_cmp_o_f32_e32 vcc, v3, v3
	s_and_saveexec_b64 s[8:9], vcc
	s_cbranch_execz .LBB65_296
; %bb.293:
	s_waitcnt lgkmcnt(0)
	v_cmp_o_f32_e32 vcc, v7, v7
	s_and_saveexec_b64 s[12:13], vcc
; %bb.294:
	v_cmp_gt_f32_e32 vcc, v3, v7
	v_cndmask_b32_e32 v7, v3, v7, vcc
; %bb.295:
	s_or_b64 exec, exec, s[12:13]
	v_mov_b32_e32 v3, v7
.LBB65_296:
	s_or_b64 exec, exec, s[8:9]
.LBB65_297:
	;; [unrolled: 27-line block ×4, first 2 shown]
	s_or_b64 exec, exec, s[0:1]
	s_waitcnt lgkmcnt(0)
	v_lshlrev_b32_e32 v7, 2, v1
	v_or_b32_e32 v8, 0x80, v7
	ds_bpermute_b32 v8, v8, v3
	v_add_u32_e32 v5, 32, v5
	v_cmp_lt_u32_e32 vcc, v5, v6
	v_cmp_o_f32_e64 s[0:1], v3, v3
	s_and_b64 s[8:9], vcc, s[0:1]
	s_and_saveexec_b64 s[0:1], s[8:9]
	s_cbranch_execz .LBB65_313
; %bb.310:
	s_waitcnt lgkmcnt(0)
	v_cmp_o_f32_e32 vcc, v8, v8
	s_and_saveexec_b64 s[8:9], vcc
; %bb.311:
	v_cmp_gt_f32_e32 vcc, v3, v8
	v_cndmask_b32_e32 v8, v3, v8, vcc
; %bb.312:
	s_or_b64 exec, exec, s[8:9]
	v_mov_b32_e32 v3, v8
.LBB65_313:
	s_or_b64 exec, exec, s[0:1]
	v_cmp_eq_u32_e32 vcc, 0, v1
	s_and_saveexec_b64 s[0:1], vcc
; %bb.314:
	v_lshlrev_b32_e32 v5, 2, v2
	ds_write_b32 v5, v3
; %bb.315:
	s_or_b64 exec, exec, s[0:1]
	v_cmp_gt_u32_e32 vcc, 4, v0
	s_waitcnt lgkmcnt(0)
	s_barrier
	s_and_saveexec_b64 s[8:9], vcc
	s_cbranch_execz .LBB65_327
; %bb.316:
	ds_read_b32 v3, v7
	v_and_b32_e32 v5, 3, v1
	v_cmp_ne_u32_e32 vcc, 3, v5
	v_addc_co_u32_e32 v6, vcc, 0, v1, vcc
	v_lshlrev_b32_e32 v6, 2, v6
	s_waitcnt lgkmcnt(0)
	ds_bpermute_b32 v6, v6, v3
	s_add_i32 s22, s22, 63
	s_lshr_b32 s16, s22, 6
	v_add_u32_e32 v8, 1, v5
	v_cmp_gt_u32_e32 vcc, s16, v8
	s_and_saveexec_b64 s[0:1], vcc
	s_cbranch_execz .LBB65_322
; %bb.317:
	v_cmp_o_f32_e32 vcc, v3, v3
	s_and_saveexec_b64 s[12:13], vcc
	s_cbranch_execz .LBB65_321
; %bb.318:
	s_waitcnt lgkmcnt(0)
	v_cmp_o_f32_e32 vcc, v6, v6
	s_and_saveexec_b64 s[14:15], vcc
; %bb.319:
	v_cmp_gt_f32_e32 vcc, v3, v6
	v_cndmask_b32_e32 v6, v3, v6, vcc
; %bb.320:
	s_or_b64 exec, exec, s[14:15]
	v_mov_b32_e32 v3, v6
.LBB65_321:
	s_or_b64 exec, exec, s[12:13]
.LBB65_322:
	s_or_b64 exec, exec, s[0:1]
	s_waitcnt lgkmcnt(0)
	v_or_b32_e32 v6, 8, v7
	ds_bpermute_b32 v6, v6, v3
	v_add_u32_e32 v5, 2, v5
	v_cmp_gt_u32_e32 vcc, s16, v5
	v_cmp_o_f32_e64 s[0:1], v3, v3
	s_and_b64 s[12:13], vcc, s[0:1]
	s_and_saveexec_b64 s[0:1], s[12:13]
	s_cbranch_execz .LBB65_326
; %bb.323:
	s_waitcnt lgkmcnt(0)
	v_cmp_o_f32_e32 vcc, v6, v6
	s_and_saveexec_b64 s[12:13], vcc
; %bb.324:
	v_cmp_gt_f32_e32 vcc, v3, v6
	v_cndmask_b32_e32 v6, v3, v6, vcc
; %bb.325:
	s_or_b64 exec, exec, s[12:13]
	v_mov_b32_e32 v3, v6
.LBB65_326:
	s_or_b64 exec, exec, s[0:1]
.LBB65_327:
	s_or_b64 exec, exec, s[8:9]
	s_branch .LBB65_366
.LBB65_328:
                                        ; implicit-def: $vgpr3
	s_cbranch_execz .LBB65_366
; %bb.329:
	s_waitcnt vmcnt(0)
	v_mov_b32_dpp v3, v4 quad_perm:[1,0,3,2] row_mask:0xf bank_mask:0xf bound_ctrl:1
	v_cmp_o_f32_e32 vcc, v3, v3
	s_and_saveexec_b64 s[0:1], vcc
	s_cbranch_execz .LBB65_333
; %bb.330:
	v_cmp_o_f32_e32 vcc, v4, v4
	s_and_saveexec_b64 s[8:9], vcc
; %bb.331:
	v_cmp_lt_f32_e32 vcc, v4, v3
	v_cndmask_b32_e32 v4, v3, v4, vcc
; %bb.332:
	s_or_b64 exec, exec, s[8:9]
	v_mov_b32_e32 v3, v4
.LBB65_333:
	s_or_b64 exec, exec, s[0:1]
	s_nop 0
	v_mov_b32_dpp v4, v3 quad_perm:[2,3,0,1] row_mask:0xf bank_mask:0xf bound_ctrl:1
	v_cmp_o_f32_e32 vcc, v4, v4
	s_and_saveexec_b64 s[0:1], vcc
	s_cbranch_execz .LBB65_337
; %bb.334:
	v_cmp_o_f32_e32 vcc, v3, v3
	s_and_saveexec_b64 s[8:9], vcc
; %bb.335:
	v_cmp_lt_f32_e32 vcc, v3, v4
	v_cndmask_b32_e32 v3, v4, v3, vcc
; %bb.336:
	s_or_b64 exec, exec, s[8:9]
	v_mov_b32_e32 v4, v3
.LBB65_337:
	s_or_b64 exec, exec, s[0:1]
	s_nop 0
	v_mov_b32_dpp v3, v4 row_ror:4 row_mask:0xf bank_mask:0xf bound_ctrl:1
	v_cmp_o_f32_e32 vcc, v3, v3
	s_and_saveexec_b64 s[0:1], vcc
	s_cbranch_execz .LBB65_341
; %bb.338:
	v_cmp_o_f32_e32 vcc, v4, v4
	s_and_saveexec_b64 s[8:9], vcc
; %bb.339:
	v_cmp_lt_f32_e32 vcc, v4, v3
	v_cndmask_b32_e32 v4, v3, v4, vcc
; %bb.340:
	s_or_b64 exec, exec, s[8:9]
	v_mov_b32_e32 v3, v4
.LBB65_341:
	s_or_b64 exec, exec, s[0:1]
	s_nop 0
	v_mov_b32_dpp v4, v3 row_ror:8 row_mask:0xf bank_mask:0xf bound_ctrl:1
	v_cmp_o_f32_e32 vcc, v4, v4
	s_and_saveexec_b64 s[0:1], vcc
	s_cbranch_execz .LBB65_345
; %bb.342:
	v_cmp_o_f32_e32 vcc, v3, v3
	s_and_saveexec_b64 s[8:9], vcc
; %bb.343:
	v_cmp_lt_f32_e32 vcc, v3, v4
	v_cndmask_b32_e32 v3, v4, v3, vcc
; %bb.344:
	s_or_b64 exec, exec, s[8:9]
	v_mov_b32_e32 v4, v3
.LBB65_345:
	s_or_b64 exec, exec, s[0:1]
	s_nop 0
	v_mov_b32_dpp v3, v4 row_bcast:15 row_mask:0xf bank_mask:0xf bound_ctrl:1
	v_cmp_o_f32_e32 vcc, v3, v3
	s_and_saveexec_b64 s[0:1], vcc
	s_cbranch_execz .LBB65_349
; %bb.346:
	v_cmp_o_f32_e32 vcc, v4, v4
	s_and_saveexec_b64 s[8:9], vcc
; %bb.347:
	v_cmp_lt_f32_e32 vcc, v4, v3
	v_cndmask_b32_e32 v4, v3, v4, vcc
; %bb.348:
	s_or_b64 exec, exec, s[8:9]
	v_mov_b32_e32 v3, v4
.LBB65_349:
	s_or_b64 exec, exec, s[0:1]
	s_nop 0
	v_mov_b32_dpp v5, v3 row_bcast:31 row_mask:0xf bank_mask:0xf bound_ctrl:1
	v_cmp_o_f32_e32 vcc, v5, v5
	s_and_saveexec_b64 s[0:1], vcc
	s_cbranch_execz .LBB65_353
; %bb.350:
	v_cmp_o_f32_e32 vcc, v3, v3
	s_and_saveexec_b64 s[8:9], vcc
; %bb.351:
	v_cmp_lt_f32_e32 vcc, v3, v5
	v_cndmask_b32_e32 v3, v5, v3, vcc
; %bb.352:
	s_or_b64 exec, exec, s[8:9]
	v_mov_b32_e32 v5, v3
.LBB65_353:
	s_or_b64 exec, exec, s[0:1]
	v_lshlrev_b32_e32 v4, 2, v1
	v_or_b32_e32 v3, 0xfc, v4
	ds_bpermute_b32 v3, v3, v5
	v_cmp_eq_u32_e32 vcc, 0, v1
	s_and_saveexec_b64 s[0:1], vcc
	s_cbranch_execz .LBB65_355
; %bb.354:
	v_lshlrev_b32_e32 v2, 2, v2
	s_waitcnt lgkmcnt(0)
	ds_write_b32 v2, v3
.LBB65_355:
	s_or_b64 exec, exec, s[0:1]
	v_cmp_gt_u32_e32 vcc, 64, v0
	s_waitcnt lgkmcnt(0)
	s_barrier
	s_and_saveexec_b64 s[0:1], vcc
	s_cbranch_execz .LBB65_365
; %bb.356:
	v_and_b32_e32 v2, 3, v1
	v_lshlrev_b32_e32 v3, 2, v2
	ds_read_b32 v3, v3
	v_cmp_ne_u32_e32 vcc, 3, v2
	v_addc_co_u32_e32 v1, vcc, 0, v1, vcc
	v_lshlrev_b32_e32 v1, 2, v1
	s_waitcnt lgkmcnt(0)
	ds_bpermute_b32 v1, v1, v3
	v_cmp_o_f32_e32 vcc, v3, v3
	s_and_saveexec_b64 s[8:9], vcc
	s_cbranch_execz .LBB65_360
; %bb.357:
	s_waitcnt lgkmcnt(0)
	v_cmp_o_f32_e32 vcc, v1, v1
	s_and_saveexec_b64 s[12:13], vcc
; %bb.358:
	v_cmp_gt_f32_e32 vcc, v3, v1
	v_cndmask_b32_e32 v1, v3, v1, vcc
; %bb.359:
	s_or_b64 exec, exec, s[12:13]
	v_mov_b32_e32 v3, v1
.LBB65_360:
	s_or_b64 exec, exec, s[8:9]
	s_waitcnt lgkmcnt(0)
	v_or_b32_e32 v1, 8, v4
	ds_bpermute_b32 v1, v1, v3
	v_cmp_o_f32_e32 vcc, v3, v3
	s_and_saveexec_b64 s[8:9], vcc
	s_cbranch_execz .LBB65_364
; %bb.361:
	s_waitcnt lgkmcnt(0)
	v_cmp_o_f32_e32 vcc, v1, v1
	s_and_saveexec_b64 s[12:13], vcc
; %bb.362:
	v_cmp_gt_f32_e32 vcc, v3, v1
	v_cndmask_b32_e32 v1, v3, v1, vcc
; %bb.363:
	s_or_b64 exec, exec, s[12:13]
	v_mov_b32_e32 v3, v1
.LBB65_364:
	s_or_b64 exec, exec, s[8:9]
.LBB65_365:
	s_or_b64 exec, exec, s[0:1]
.LBB65_366:
	v_cmp_eq_u32_e32 vcc, 0, v0
                                        ; implicit-def: $vgpr1
	s_and_saveexec_b64 s[0:1], vcc
	s_cbranch_execz .LBB65_372
; %bb.367:
	v_cmp_u_f32_e64 s[8:9], s20, s20
	s_and_b64 vcc, exec, s[8:9]
	s_waitcnt lgkmcnt(0)
	v_mov_b32_e32 v1, s20
	s_cbranch_vccnz .LBB65_371
; %bb.368:
	v_cmp_o_f32_e32 vcc, v3, v3
	s_and_saveexec_b64 s[8:9], vcc
; %bb.369:
	v_mov_b32_e32 v0, s20
	v_cmp_gt_f32_e32 vcc, s20, v3
	v_cndmask_b32_e32 v3, v0, v3, vcc
; %bb.370:
	s_or_b64 exec, exec, s[8:9]
	v_mov_b32_e32 v1, v3
.LBB65_371:
	s_or_b64 s[6:7], s[6:7], exec
.LBB65_372:
	s_or_b64 exec, exec, s[0:1]
	s_and_saveexec_b64 s[0:1], s[6:7]
	s_cbranch_execz .LBB65_374
.LBB65_373:
	s_add_u32 s0, s10, s2
	s_addc_u32 s1, s11, s3
	s_add_u32 s0, s0, s4
	s_addc_u32 s1, s1, s5
	v_mov_b32_e32 v0, 0
	s_waitcnt lgkmcnt(0)
	global_store_dword v0, v1, s[0:1]
.LBB65_374:
	s_endpgm
	.section	.rodata,"a",@progbits
	.p2align	6, 0x0
	.amdhsa_kernel _ZN7rocprim17ROCPRIM_400000_NS6detail17trampoline_kernelINS0_14default_configENS1_32segmented_reduce_config_selectorIfEEZNS1_21segmented_reduce_implIS3_PKfPfPKifN6hipcub16HIPCUB_304000_NS6detail27convert_result_type_wrapperIS8_S9_N2at6native12_GLOBAL__N_19CustomMinEEEEE10hipError_tPvRmT0_T1_jT2_SQ_T4_T3_P12ihipStream_tbEUlT_E_NS1_11comp_targetILNS1_3genE2ELNS1_11target_archE906ELNS1_3gpuE6ELNS1_3repE0EEENS1_30default_config_static_selectorELNS0_4arch9wavefront6targetE1EEEvSP_
		.amdhsa_group_segment_fixed_size 16
		.amdhsa_private_segment_fixed_size 0
		.amdhsa_kernarg_size 48
		.amdhsa_user_sgpr_count 6
		.amdhsa_user_sgpr_private_segment_buffer 1
		.amdhsa_user_sgpr_dispatch_ptr 0
		.amdhsa_user_sgpr_queue_ptr 0
		.amdhsa_user_sgpr_kernarg_segment_ptr 1
		.amdhsa_user_sgpr_dispatch_id 0
		.amdhsa_user_sgpr_flat_scratch_init 0
		.amdhsa_user_sgpr_private_segment_size 0
		.amdhsa_uses_dynamic_stack 0
		.amdhsa_system_sgpr_private_segment_wavefront_offset 0
		.amdhsa_system_sgpr_workgroup_id_x 1
		.amdhsa_system_sgpr_workgroup_id_y 0
		.amdhsa_system_sgpr_workgroup_id_z 0
		.amdhsa_system_sgpr_workgroup_info 0
		.amdhsa_system_vgpr_workitem_id 0
		.amdhsa_next_free_vgpr 33
		.amdhsa_next_free_sgpr 23
		.amdhsa_reserve_vcc 1
		.amdhsa_reserve_flat_scratch 0
		.amdhsa_float_round_mode_32 0
		.amdhsa_float_round_mode_16_64 0
		.amdhsa_float_denorm_mode_32 3
		.amdhsa_float_denorm_mode_16_64 3
		.amdhsa_dx10_clamp 1
		.amdhsa_ieee_mode 1
		.amdhsa_fp16_overflow 0
		.amdhsa_exception_fp_ieee_invalid_op 0
		.amdhsa_exception_fp_denorm_src 0
		.amdhsa_exception_fp_ieee_div_zero 0
		.amdhsa_exception_fp_ieee_overflow 0
		.amdhsa_exception_fp_ieee_underflow 0
		.amdhsa_exception_fp_ieee_inexact 0
		.amdhsa_exception_int_div_zero 0
	.end_amdhsa_kernel
	.section	.text._ZN7rocprim17ROCPRIM_400000_NS6detail17trampoline_kernelINS0_14default_configENS1_32segmented_reduce_config_selectorIfEEZNS1_21segmented_reduce_implIS3_PKfPfPKifN6hipcub16HIPCUB_304000_NS6detail27convert_result_type_wrapperIS8_S9_N2at6native12_GLOBAL__N_19CustomMinEEEEE10hipError_tPvRmT0_T1_jT2_SQ_T4_T3_P12ihipStream_tbEUlT_E_NS1_11comp_targetILNS1_3genE2ELNS1_11target_archE906ELNS1_3gpuE6ELNS1_3repE0EEENS1_30default_config_static_selectorELNS0_4arch9wavefront6targetE1EEEvSP_,"axG",@progbits,_ZN7rocprim17ROCPRIM_400000_NS6detail17trampoline_kernelINS0_14default_configENS1_32segmented_reduce_config_selectorIfEEZNS1_21segmented_reduce_implIS3_PKfPfPKifN6hipcub16HIPCUB_304000_NS6detail27convert_result_type_wrapperIS8_S9_N2at6native12_GLOBAL__N_19CustomMinEEEEE10hipError_tPvRmT0_T1_jT2_SQ_T4_T3_P12ihipStream_tbEUlT_E_NS1_11comp_targetILNS1_3genE2ELNS1_11target_archE906ELNS1_3gpuE6ELNS1_3repE0EEENS1_30default_config_static_selectorELNS0_4arch9wavefront6targetE1EEEvSP_,comdat
.Lfunc_end65:
	.size	_ZN7rocprim17ROCPRIM_400000_NS6detail17trampoline_kernelINS0_14default_configENS1_32segmented_reduce_config_selectorIfEEZNS1_21segmented_reduce_implIS3_PKfPfPKifN6hipcub16HIPCUB_304000_NS6detail27convert_result_type_wrapperIS8_S9_N2at6native12_GLOBAL__N_19CustomMinEEEEE10hipError_tPvRmT0_T1_jT2_SQ_T4_T3_P12ihipStream_tbEUlT_E_NS1_11comp_targetILNS1_3genE2ELNS1_11target_archE906ELNS1_3gpuE6ELNS1_3repE0EEENS1_30default_config_static_selectorELNS0_4arch9wavefront6targetE1EEEvSP_, .Lfunc_end65-_ZN7rocprim17ROCPRIM_400000_NS6detail17trampoline_kernelINS0_14default_configENS1_32segmented_reduce_config_selectorIfEEZNS1_21segmented_reduce_implIS3_PKfPfPKifN6hipcub16HIPCUB_304000_NS6detail27convert_result_type_wrapperIS8_S9_N2at6native12_GLOBAL__N_19CustomMinEEEEE10hipError_tPvRmT0_T1_jT2_SQ_T4_T3_P12ihipStream_tbEUlT_E_NS1_11comp_targetILNS1_3genE2ELNS1_11target_archE906ELNS1_3gpuE6ELNS1_3repE0EEENS1_30default_config_static_selectorELNS0_4arch9wavefront6targetE1EEEvSP_
                                        ; -- End function
	.set _ZN7rocprim17ROCPRIM_400000_NS6detail17trampoline_kernelINS0_14default_configENS1_32segmented_reduce_config_selectorIfEEZNS1_21segmented_reduce_implIS3_PKfPfPKifN6hipcub16HIPCUB_304000_NS6detail27convert_result_type_wrapperIS8_S9_N2at6native12_GLOBAL__N_19CustomMinEEEEE10hipError_tPvRmT0_T1_jT2_SQ_T4_T3_P12ihipStream_tbEUlT_E_NS1_11comp_targetILNS1_3genE2ELNS1_11target_archE906ELNS1_3gpuE6ELNS1_3repE0EEENS1_30default_config_static_selectorELNS0_4arch9wavefront6targetE1EEEvSP_.num_vgpr, 33
	.set _ZN7rocprim17ROCPRIM_400000_NS6detail17trampoline_kernelINS0_14default_configENS1_32segmented_reduce_config_selectorIfEEZNS1_21segmented_reduce_implIS3_PKfPfPKifN6hipcub16HIPCUB_304000_NS6detail27convert_result_type_wrapperIS8_S9_N2at6native12_GLOBAL__N_19CustomMinEEEEE10hipError_tPvRmT0_T1_jT2_SQ_T4_T3_P12ihipStream_tbEUlT_E_NS1_11comp_targetILNS1_3genE2ELNS1_11target_archE906ELNS1_3gpuE6ELNS1_3repE0EEENS1_30default_config_static_selectorELNS0_4arch9wavefront6targetE1EEEvSP_.num_agpr, 0
	.set _ZN7rocprim17ROCPRIM_400000_NS6detail17trampoline_kernelINS0_14default_configENS1_32segmented_reduce_config_selectorIfEEZNS1_21segmented_reduce_implIS3_PKfPfPKifN6hipcub16HIPCUB_304000_NS6detail27convert_result_type_wrapperIS8_S9_N2at6native12_GLOBAL__N_19CustomMinEEEEE10hipError_tPvRmT0_T1_jT2_SQ_T4_T3_P12ihipStream_tbEUlT_E_NS1_11comp_targetILNS1_3genE2ELNS1_11target_archE906ELNS1_3gpuE6ELNS1_3repE0EEENS1_30default_config_static_selectorELNS0_4arch9wavefront6targetE1EEEvSP_.numbered_sgpr, 23
	.set _ZN7rocprim17ROCPRIM_400000_NS6detail17trampoline_kernelINS0_14default_configENS1_32segmented_reduce_config_selectorIfEEZNS1_21segmented_reduce_implIS3_PKfPfPKifN6hipcub16HIPCUB_304000_NS6detail27convert_result_type_wrapperIS8_S9_N2at6native12_GLOBAL__N_19CustomMinEEEEE10hipError_tPvRmT0_T1_jT2_SQ_T4_T3_P12ihipStream_tbEUlT_E_NS1_11comp_targetILNS1_3genE2ELNS1_11target_archE906ELNS1_3gpuE6ELNS1_3repE0EEENS1_30default_config_static_selectorELNS0_4arch9wavefront6targetE1EEEvSP_.num_named_barrier, 0
	.set _ZN7rocprim17ROCPRIM_400000_NS6detail17trampoline_kernelINS0_14default_configENS1_32segmented_reduce_config_selectorIfEEZNS1_21segmented_reduce_implIS3_PKfPfPKifN6hipcub16HIPCUB_304000_NS6detail27convert_result_type_wrapperIS8_S9_N2at6native12_GLOBAL__N_19CustomMinEEEEE10hipError_tPvRmT0_T1_jT2_SQ_T4_T3_P12ihipStream_tbEUlT_E_NS1_11comp_targetILNS1_3genE2ELNS1_11target_archE906ELNS1_3gpuE6ELNS1_3repE0EEENS1_30default_config_static_selectorELNS0_4arch9wavefront6targetE1EEEvSP_.private_seg_size, 0
	.set _ZN7rocprim17ROCPRIM_400000_NS6detail17trampoline_kernelINS0_14default_configENS1_32segmented_reduce_config_selectorIfEEZNS1_21segmented_reduce_implIS3_PKfPfPKifN6hipcub16HIPCUB_304000_NS6detail27convert_result_type_wrapperIS8_S9_N2at6native12_GLOBAL__N_19CustomMinEEEEE10hipError_tPvRmT0_T1_jT2_SQ_T4_T3_P12ihipStream_tbEUlT_E_NS1_11comp_targetILNS1_3genE2ELNS1_11target_archE906ELNS1_3gpuE6ELNS1_3repE0EEENS1_30default_config_static_selectorELNS0_4arch9wavefront6targetE1EEEvSP_.uses_vcc, 1
	.set _ZN7rocprim17ROCPRIM_400000_NS6detail17trampoline_kernelINS0_14default_configENS1_32segmented_reduce_config_selectorIfEEZNS1_21segmented_reduce_implIS3_PKfPfPKifN6hipcub16HIPCUB_304000_NS6detail27convert_result_type_wrapperIS8_S9_N2at6native12_GLOBAL__N_19CustomMinEEEEE10hipError_tPvRmT0_T1_jT2_SQ_T4_T3_P12ihipStream_tbEUlT_E_NS1_11comp_targetILNS1_3genE2ELNS1_11target_archE906ELNS1_3gpuE6ELNS1_3repE0EEENS1_30default_config_static_selectorELNS0_4arch9wavefront6targetE1EEEvSP_.uses_flat_scratch, 0
	.set _ZN7rocprim17ROCPRIM_400000_NS6detail17trampoline_kernelINS0_14default_configENS1_32segmented_reduce_config_selectorIfEEZNS1_21segmented_reduce_implIS3_PKfPfPKifN6hipcub16HIPCUB_304000_NS6detail27convert_result_type_wrapperIS8_S9_N2at6native12_GLOBAL__N_19CustomMinEEEEE10hipError_tPvRmT0_T1_jT2_SQ_T4_T3_P12ihipStream_tbEUlT_E_NS1_11comp_targetILNS1_3genE2ELNS1_11target_archE906ELNS1_3gpuE6ELNS1_3repE0EEENS1_30default_config_static_selectorELNS0_4arch9wavefront6targetE1EEEvSP_.has_dyn_sized_stack, 0
	.set _ZN7rocprim17ROCPRIM_400000_NS6detail17trampoline_kernelINS0_14default_configENS1_32segmented_reduce_config_selectorIfEEZNS1_21segmented_reduce_implIS3_PKfPfPKifN6hipcub16HIPCUB_304000_NS6detail27convert_result_type_wrapperIS8_S9_N2at6native12_GLOBAL__N_19CustomMinEEEEE10hipError_tPvRmT0_T1_jT2_SQ_T4_T3_P12ihipStream_tbEUlT_E_NS1_11comp_targetILNS1_3genE2ELNS1_11target_archE906ELNS1_3gpuE6ELNS1_3repE0EEENS1_30default_config_static_selectorELNS0_4arch9wavefront6targetE1EEEvSP_.has_recursion, 0
	.set _ZN7rocprim17ROCPRIM_400000_NS6detail17trampoline_kernelINS0_14default_configENS1_32segmented_reduce_config_selectorIfEEZNS1_21segmented_reduce_implIS3_PKfPfPKifN6hipcub16HIPCUB_304000_NS6detail27convert_result_type_wrapperIS8_S9_N2at6native12_GLOBAL__N_19CustomMinEEEEE10hipError_tPvRmT0_T1_jT2_SQ_T4_T3_P12ihipStream_tbEUlT_E_NS1_11comp_targetILNS1_3genE2ELNS1_11target_archE906ELNS1_3gpuE6ELNS1_3repE0EEENS1_30default_config_static_selectorELNS0_4arch9wavefront6targetE1EEEvSP_.has_indirect_call, 0
	.section	.AMDGPU.csdata,"",@progbits
; Kernel info:
; codeLenInByte = 6352
; TotalNumSgprs: 27
; NumVgprs: 33
; ScratchSize: 0
; MemoryBound: 0
; FloatMode: 240
; IeeeMode: 1
; LDSByteSize: 16 bytes/workgroup (compile time only)
; SGPRBlocks: 3
; VGPRBlocks: 8
; NumSGPRsForWavesPerEU: 27
; NumVGPRsForWavesPerEU: 33
; Occupancy: 7
; WaveLimiterHint : 1
; COMPUTE_PGM_RSRC2:SCRATCH_EN: 0
; COMPUTE_PGM_RSRC2:USER_SGPR: 6
; COMPUTE_PGM_RSRC2:TRAP_HANDLER: 0
; COMPUTE_PGM_RSRC2:TGID_X_EN: 1
; COMPUTE_PGM_RSRC2:TGID_Y_EN: 0
; COMPUTE_PGM_RSRC2:TGID_Z_EN: 0
; COMPUTE_PGM_RSRC2:TIDIG_COMP_CNT: 0
	.section	.text._ZN7rocprim17ROCPRIM_400000_NS6detail17trampoline_kernelINS0_14default_configENS1_32segmented_reduce_config_selectorIfEEZNS1_21segmented_reduce_implIS3_PKfPfPKifN6hipcub16HIPCUB_304000_NS6detail27convert_result_type_wrapperIS8_S9_N2at6native12_GLOBAL__N_19CustomMinEEEEE10hipError_tPvRmT0_T1_jT2_SQ_T4_T3_P12ihipStream_tbEUlT_E_NS1_11comp_targetILNS1_3genE9ELNS1_11target_archE1100ELNS1_3gpuE3ELNS1_3repE0EEENS1_30default_config_static_selectorELNS0_4arch9wavefront6targetE1EEEvSP_,"axG",@progbits,_ZN7rocprim17ROCPRIM_400000_NS6detail17trampoline_kernelINS0_14default_configENS1_32segmented_reduce_config_selectorIfEEZNS1_21segmented_reduce_implIS3_PKfPfPKifN6hipcub16HIPCUB_304000_NS6detail27convert_result_type_wrapperIS8_S9_N2at6native12_GLOBAL__N_19CustomMinEEEEE10hipError_tPvRmT0_T1_jT2_SQ_T4_T3_P12ihipStream_tbEUlT_E_NS1_11comp_targetILNS1_3genE9ELNS1_11target_archE1100ELNS1_3gpuE3ELNS1_3repE0EEENS1_30default_config_static_selectorELNS0_4arch9wavefront6targetE1EEEvSP_,comdat
	.globl	_ZN7rocprim17ROCPRIM_400000_NS6detail17trampoline_kernelINS0_14default_configENS1_32segmented_reduce_config_selectorIfEEZNS1_21segmented_reduce_implIS3_PKfPfPKifN6hipcub16HIPCUB_304000_NS6detail27convert_result_type_wrapperIS8_S9_N2at6native12_GLOBAL__N_19CustomMinEEEEE10hipError_tPvRmT0_T1_jT2_SQ_T4_T3_P12ihipStream_tbEUlT_E_NS1_11comp_targetILNS1_3genE9ELNS1_11target_archE1100ELNS1_3gpuE3ELNS1_3repE0EEENS1_30default_config_static_selectorELNS0_4arch9wavefront6targetE1EEEvSP_ ; -- Begin function _ZN7rocprim17ROCPRIM_400000_NS6detail17trampoline_kernelINS0_14default_configENS1_32segmented_reduce_config_selectorIfEEZNS1_21segmented_reduce_implIS3_PKfPfPKifN6hipcub16HIPCUB_304000_NS6detail27convert_result_type_wrapperIS8_S9_N2at6native12_GLOBAL__N_19CustomMinEEEEE10hipError_tPvRmT0_T1_jT2_SQ_T4_T3_P12ihipStream_tbEUlT_E_NS1_11comp_targetILNS1_3genE9ELNS1_11target_archE1100ELNS1_3gpuE3ELNS1_3repE0EEENS1_30default_config_static_selectorELNS0_4arch9wavefront6targetE1EEEvSP_
	.p2align	8
	.type	_ZN7rocprim17ROCPRIM_400000_NS6detail17trampoline_kernelINS0_14default_configENS1_32segmented_reduce_config_selectorIfEEZNS1_21segmented_reduce_implIS3_PKfPfPKifN6hipcub16HIPCUB_304000_NS6detail27convert_result_type_wrapperIS8_S9_N2at6native12_GLOBAL__N_19CustomMinEEEEE10hipError_tPvRmT0_T1_jT2_SQ_T4_T3_P12ihipStream_tbEUlT_E_NS1_11comp_targetILNS1_3genE9ELNS1_11target_archE1100ELNS1_3gpuE3ELNS1_3repE0EEENS1_30default_config_static_selectorELNS0_4arch9wavefront6targetE1EEEvSP_,@function
_ZN7rocprim17ROCPRIM_400000_NS6detail17trampoline_kernelINS0_14default_configENS1_32segmented_reduce_config_selectorIfEEZNS1_21segmented_reduce_implIS3_PKfPfPKifN6hipcub16HIPCUB_304000_NS6detail27convert_result_type_wrapperIS8_S9_N2at6native12_GLOBAL__N_19CustomMinEEEEE10hipError_tPvRmT0_T1_jT2_SQ_T4_T3_P12ihipStream_tbEUlT_E_NS1_11comp_targetILNS1_3genE9ELNS1_11target_archE1100ELNS1_3gpuE3ELNS1_3repE0EEENS1_30default_config_static_selectorELNS0_4arch9wavefront6targetE1EEEvSP_: ; @_ZN7rocprim17ROCPRIM_400000_NS6detail17trampoline_kernelINS0_14default_configENS1_32segmented_reduce_config_selectorIfEEZNS1_21segmented_reduce_implIS3_PKfPfPKifN6hipcub16HIPCUB_304000_NS6detail27convert_result_type_wrapperIS8_S9_N2at6native12_GLOBAL__N_19CustomMinEEEEE10hipError_tPvRmT0_T1_jT2_SQ_T4_T3_P12ihipStream_tbEUlT_E_NS1_11comp_targetILNS1_3genE9ELNS1_11target_archE1100ELNS1_3gpuE3ELNS1_3repE0EEENS1_30default_config_static_selectorELNS0_4arch9wavefront6targetE1EEEvSP_
; %bb.0:
	.section	.rodata,"a",@progbits
	.p2align	6, 0x0
	.amdhsa_kernel _ZN7rocprim17ROCPRIM_400000_NS6detail17trampoline_kernelINS0_14default_configENS1_32segmented_reduce_config_selectorIfEEZNS1_21segmented_reduce_implIS3_PKfPfPKifN6hipcub16HIPCUB_304000_NS6detail27convert_result_type_wrapperIS8_S9_N2at6native12_GLOBAL__N_19CustomMinEEEEE10hipError_tPvRmT0_T1_jT2_SQ_T4_T3_P12ihipStream_tbEUlT_E_NS1_11comp_targetILNS1_3genE9ELNS1_11target_archE1100ELNS1_3gpuE3ELNS1_3repE0EEENS1_30default_config_static_selectorELNS0_4arch9wavefront6targetE1EEEvSP_
		.amdhsa_group_segment_fixed_size 0
		.amdhsa_private_segment_fixed_size 0
		.amdhsa_kernarg_size 48
		.amdhsa_user_sgpr_count 6
		.amdhsa_user_sgpr_private_segment_buffer 1
		.amdhsa_user_sgpr_dispatch_ptr 0
		.amdhsa_user_sgpr_queue_ptr 0
		.amdhsa_user_sgpr_kernarg_segment_ptr 1
		.amdhsa_user_sgpr_dispatch_id 0
		.amdhsa_user_sgpr_flat_scratch_init 0
		.amdhsa_user_sgpr_private_segment_size 0
		.amdhsa_uses_dynamic_stack 0
		.amdhsa_system_sgpr_private_segment_wavefront_offset 0
		.amdhsa_system_sgpr_workgroup_id_x 1
		.amdhsa_system_sgpr_workgroup_id_y 0
		.amdhsa_system_sgpr_workgroup_id_z 0
		.amdhsa_system_sgpr_workgroup_info 0
		.amdhsa_system_vgpr_workitem_id 0
		.amdhsa_next_free_vgpr 1
		.amdhsa_next_free_sgpr 0
		.amdhsa_reserve_vcc 0
		.amdhsa_reserve_flat_scratch 0
		.amdhsa_float_round_mode_32 0
		.amdhsa_float_round_mode_16_64 0
		.amdhsa_float_denorm_mode_32 3
		.amdhsa_float_denorm_mode_16_64 3
		.amdhsa_dx10_clamp 1
		.amdhsa_ieee_mode 1
		.amdhsa_fp16_overflow 0
		.amdhsa_exception_fp_ieee_invalid_op 0
		.amdhsa_exception_fp_denorm_src 0
		.amdhsa_exception_fp_ieee_div_zero 0
		.amdhsa_exception_fp_ieee_overflow 0
		.amdhsa_exception_fp_ieee_underflow 0
		.amdhsa_exception_fp_ieee_inexact 0
		.amdhsa_exception_int_div_zero 0
	.end_amdhsa_kernel
	.section	.text._ZN7rocprim17ROCPRIM_400000_NS6detail17trampoline_kernelINS0_14default_configENS1_32segmented_reduce_config_selectorIfEEZNS1_21segmented_reduce_implIS3_PKfPfPKifN6hipcub16HIPCUB_304000_NS6detail27convert_result_type_wrapperIS8_S9_N2at6native12_GLOBAL__N_19CustomMinEEEEE10hipError_tPvRmT0_T1_jT2_SQ_T4_T3_P12ihipStream_tbEUlT_E_NS1_11comp_targetILNS1_3genE9ELNS1_11target_archE1100ELNS1_3gpuE3ELNS1_3repE0EEENS1_30default_config_static_selectorELNS0_4arch9wavefront6targetE1EEEvSP_,"axG",@progbits,_ZN7rocprim17ROCPRIM_400000_NS6detail17trampoline_kernelINS0_14default_configENS1_32segmented_reduce_config_selectorIfEEZNS1_21segmented_reduce_implIS3_PKfPfPKifN6hipcub16HIPCUB_304000_NS6detail27convert_result_type_wrapperIS8_S9_N2at6native12_GLOBAL__N_19CustomMinEEEEE10hipError_tPvRmT0_T1_jT2_SQ_T4_T3_P12ihipStream_tbEUlT_E_NS1_11comp_targetILNS1_3genE9ELNS1_11target_archE1100ELNS1_3gpuE3ELNS1_3repE0EEENS1_30default_config_static_selectorELNS0_4arch9wavefront6targetE1EEEvSP_,comdat
.Lfunc_end66:
	.size	_ZN7rocprim17ROCPRIM_400000_NS6detail17trampoline_kernelINS0_14default_configENS1_32segmented_reduce_config_selectorIfEEZNS1_21segmented_reduce_implIS3_PKfPfPKifN6hipcub16HIPCUB_304000_NS6detail27convert_result_type_wrapperIS8_S9_N2at6native12_GLOBAL__N_19CustomMinEEEEE10hipError_tPvRmT0_T1_jT2_SQ_T4_T3_P12ihipStream_tbEUlT_E_NS1_11comp_targetILNS1_3genE9ELNS1_11target_archE1100ELNS1_3gpuE3ELNS1_3repE0EEENS1_30default_config_static_selectorELNS0_4arch9wavefront6targetE1EEEvSP_, .Lfunc_end66-_ZN7rocprim17ROCPRIM_400000_NS6detail17trampoline_kernelINS0_14default_configENS1_32segmented_reduce_config_selectorIfEEZNS1_21segmented_reduce_implIS3_PKfPfPKifN6hipcub16HIPCUB_304000_NS6detail27convert_result_type_wrapperIS8_S9_N2at6native12_GLOBAL__N_19CustomMinEEEEE10hipError_tPvRmT0_T1_jT2_SQ_T4_T3_P12ihipStream_tbEUlT_E_NS1_11comp_targetILNS1_3genE9ELNS1_11target_archE1100ELNS1_3gpuE3ELNS1_3repE0EEENS1_30default_config_static_selectorELNS0_4arch9wavefront6targetE1EEEvSP_
                                        ; -- End function
	.set _ZN7rocprim17ROCPRIM_400000_NS6detail17trampoline_kernelINS0_14default_configENS1_32segmented_reduce_config_selectorIfEEZNS1_21segmented_reduce_implIS3_PKfPfPKifN6hipcub16HIPCUB_304000_NS6detail27convert_result_type_wrapperIS8_S9_N2at6native12_GLOBAL__N_19CustomMinEEEEE10hipError_tPvRmT0_T1_jT2_SQ_T4_T3_P12ihipStream_tbEUlT_E_NS1_11comp_targetILNS1_3genE9ELNS1_11target_archE1100ELNS1_3gpuE3ELNS1_3repE0EEENS1_30default_config_static_selectorELNS0_4arch9wavefront6targetE1EEEvSP_.num_vgpr, 0
	.set _ZN7rocprim17ROCPRIM_400000_NS6detail17trampoline_kernelINS0_14default_configENS1_32segmented_reduce_config_selectorIfEEZNS1_21segmented_reduce_implIS3_PKfPfPKifN6hipcub16HIPCUB_304000_NS6detail27convert_result_type_wrapperIS8_S9_N2at6native12_GLOBAL__N_19CustomMinEEEEE10hipError_tPvRmT0_T1_jT2_SQ_T4_T3_P12ihipStream_tbEUlT_E_NS1_11comp_targetILNS1_3genE9ELNS1_11target_archE1100ELNS1_3gpuE3ELNS1_3repE0EEENS1_30default_config_static_selectorELNS0_4arch9wavefront6targetE1EEEvSP_.num_agpr, 0
	.set _ZN7rocprim17ROCPRIM_400000_NS6detail17trampoline_kernelINS0_14default_configENS1_32segmented_reduce_config_selectorIfEEZNS1_21segmented_reduce_implIS3_PKfPfPKifN6hipcub16HIPCUB_304000_NS6detail27convert_result_type_wrapperIS8_S9_N2at6native12_GLOBAL__N_19CustomMinEEEEE10hipError_tPvRmT0_T1_jT2_SQ_T4_T3_P12ihipStream_tbEUlT_E_NS1_11comp_targetILNS1_3genE9ELNS1_11target_archE1100ELNS1_3gpuE3ELNS1_3repE0EEENS1_30default_config_static_selectorELNS0_4arch9wavefront6targetE1EEEvSP_.numbered_sgpr, 0
	.set _ZN7rocprim17ROCPRIM_400000_NS6detail17trampoline_kernelINS0_14default_configENS1_32segmented_reduce_config_selectorIfEEZNS1_21segmented_reduce_implIS3_PKfPfPKifN6hipcub16HIPCUB_304000_NS6detail27convert_result_type_wrapperIS8_S9_N2at6native12_GLOBAL__N_19CustomMinEEEEE10hipError_tPvRmT0_T1_jT2_SQ_T4_T3_P12ihipStream_tbEUlT_E_NS1_11comp_targetILNS1_3genE9ELNS1_11target_archE1100ELNS1_3gpuE3ELNS1_3repE0EEENS1_30default_config_static_selectorELNS0_4arch9wavefront6targetE1EEEvSP_.num_named_barrier, 0
	.set _ZN7rocprim17ROCPRIM_400000_NS6detail17trampoline_kernelINS0_14default_configENS1_32segmented_reduce_config_selectorIfEEZNS1_21segmented_reduce_implIS3_PKfPfPKifN6hipcub16HIPCUB_304000_NS6detail27convert_result_type_wrapperIS8_S9_N2at6native12_GLOBAL__N_19CustomMinEEEEE10hipError_tPvRmT0_T1_jT2_SQ_T4_T3_P12ihipStream_tbEUlT_E_NS1_11comp_targetILNS1_3genE9ELNS1_11target_archE1100ELNS1_3gpuE3ELNS1_3repE0EEENS1_30default_config_static_selectorELNS0_4arch9wavefront6targetE1EEEvSP_.private_seg_size, 0
	.set _ZN7rocprim17ROCPRIM_400000_NS6detail17trampoline_kernelINS0_14default_configENS1_32segmented_reduce_config_selectorIfEEZNS1_21segmented_reduce_implIS3_PKfPfPKifN6hipcub16HIPCUB_304000_NS6detail27convert_result_type_wrapperIS8_S9_N2at6native12_GLOBAL__N_19CustomMinEEEEE10hipError_tPvRmT0_T1_jT2_SQ_T4_T3_P12ihipStream_tbEUlT_E_NS1_11comp_targetILNS1_3genE9ELNS1_11target_archE1100ELNS1_3gpuE3ELNS1_3repE0EEENS1_30default_config_static_selectorELNS0_4arch9wavefront6targetE1EEEvSP_.uses_vcc, 0
	.set _ZN7rocprim17ROCPRIM_400000_NS6detail17trampoline_kernelINS0_14default_configENS1_32segmented_reduce_config_selectorIfEEZNS1_21segmented_reduce_implIS3_PKfPfPKifN6hipcub16HIPCUB_304000_NS6detail27convert_result_type_wrapperIS8_S9_N2at6native12_GLOBAL__N_19CustomMinEEEEE10hipError_tPvRmT0_T1_jT2_SQ_T4_T3_P12ihipStream_tbEUlT_E_NS1_11comp_targetILNS1_3genE9ELNS1_11target_archE1100ELNS1_3gpuE3ELNS1_3repE0EEENS1_30default_config_static_selectorELNS0_4arch9wavefront6targetE1EEEvSP_.uses_flat_scratch, 0
	.set _ZN7rocprim17ROCPRIM_400000_NS6detail17trampoline_kernelINS0_14default_configENS1_32segmented_reduce_config_selectorIfEEZNS1_21segmented_reduce_implIS3_PKfPfPKifN6hipcub16HIPCUB_304000_NS6detail27convert_result_type_wrapperIS8_S9_N2at6native12_GLOBAL__N_19CustomMinEEEEE10hipError_tPvRmT0_T1_jT2_SQ_T4_T3_P12ihipStream_tbEUlT_E_NS1_11comp_targetILNS1_3genE9ELNS1_11target_archE1100ELNS1_3gpuE3ELNS1_3repE0EEENS1_30default_config_static_selectorELNS0_4arch9wavefront6targetE1EEEvSP_.has_dyn_sized_stack, 0
	.set _ZN7rocprim17ROCPRIM_400000_NS6detail17trampoline_kernelINS0_14default_configENS1_32segmented_reduce_config_selectorIfEEZNS1_21segmented_reduce_implIS3_PKfPfPKifN6hipcub16HIPCUB_304000_NS6detail27convert_result_type_wrapperIS8_S9_N2at6native12_GLOBAL__N_19CustomMinEEEEE10hipError_tPvRmT0_T1_jT2_SQ_T4_T3_P12ihipStream_tbEUlT_E_NS1_11comp_targetILNS1_3genE9ELNS1_11target_archE1100ELNS1_3gpuE3ELNS1_3repE0EEENS1_30default_config_static_selectorELNS0_4arch9wavefront6targetE1EEEvSP_.has_recursion, 0
	.set _ZN7rocprim17ROCPRIM_400000_NS6detail17trampoline_kernelINS0_14default_configENS1_32segmented_reduce_config_selectorIfEEZNS1_21segmented_reduce_implIS3_PKfPfPKifN6hipcub16HIPCUB_304000_NS6detail27convert_result_type_wrapperIS8_S9_N2at6native12_GLOBAL__N_19CustomMinEEEEE10hipError_tPvRmT0_T1_jT2_SQ_T4_T3_P12ihipStream_tbEUlT_E_NS1_11comp_targetILNS1_3genE9ELNS1_11target_archE1100ELNS1_3gpuE3ELNS1_3repE0EEENS1_30default_config_static_selectorELNS0_4arch9wavefront6targetE1EEEvSP_.has_indirect_call, 0
	.section	.AMDGPU.csdata,"",@progbits
; Kernel info:
; codeLenInByte = 0
; TotalNumSgprs: 4
; NumVgprs: 0
; ScratchSize: 0
; MemoryBound: 0
; FloatMode: 240
; IeeeMode: 1
; LDSByteSize: 0 bytes/workgroup (compile time only)
; SGPRBlocks: 0
; VGPRBlocks: 0
; NumSGPRsForWavesPerEU: 4
; NumVGPRsForWavesPerEU: 1
; Occupancy: 10
; WaveLimiterHint : 0
; COMPUTE_PGM_RSRC2:SCRATCH_EN: 0
; COMPUTE_PGM_RSRC2:USER_SGPR: 6
; COMPUTE_PGM_RSRC2:TRAP_HANDLER: 0
; COMPUTE_PGM_RSRC2:TGID_X_EN: 1
; COMPUTE_PGM_RSRC2:TGID_Y_EN: 0
; COMPUTE_PGM_RSRC2:TGID_Z_EN: 0
; COMPUTE_PGM_RSRC2:TIDIG_COMP_CNT: 0
	.section	.text._ZN7rocprim17ROCPRIM_400000_NS6detail17trampoline_kernelINS0_14default_configENS1_32segmented_reduce_config_selectorIfEEZNS1_21segmented_reduce_implIS3_PKfPfPKifN6hipcub16HIPCUB_304000_NS6detail27convert_result_type_wrapperIS8_S9_N2at6native12_GLOBAL__N_19CustomMinEEEEE10hipError_tPvRmT0_T1_jT2_SQ_T4_T3_P12ihipStream_tbEUlT_E_NS1_11comp_targetILNS1_3genE8ELNS1_11target_archE1030ELNS1_3gpuE2ELNS1_3repE0EEENS1_30default_config_static_selectorELNS0_4arch9wavefront6targetE1EEEvSP_,"axG",@progbits,_ZN7rocprim17ROCPRIM_400000_NS6detail17trampoline_kernelINS0_14default_configENS1_32segmented_reduce_config_selectorIfEEZNS1_21segmented_reduce_implIS3_PKfPfPKifN6hipcub16HIPCUB_304000_NS6detail27convert_result_type_wrapperIS8_S9_N2at6native12_GLOBAL__N_19CustomMinEEEEE10hipError_tPvRmT0_T1_jT2_SQ_T4_T3_P12ihipStream_tbEUlT_E_NS1_11comp_targetILNS1_3genE8ELNS1_11target_archE1030ELNS1_3gpuE2ELNS1_3repE0EEENS1_30default_config_static_selectorELNS0_4arch9wavefront6targetE1EEEvSP_,comdat
	.globl	_ZN7rocprim17ROCPRIM_400000_NS6detail17trampoline_kernelINS0_14default_configENS1_32segmented_reduce_config_selectorIfEEZNS1_21segmented_reduce_implIS3_PKfPfPKifN6hipcub16HIPCUB_304000_NS6detail27convert_result_type_wrapperIS8_S9_N2at6native12_GLOBAL__N_19CustomMinEEEEE10hipError_tPvRmT0_T1_jT2_SQ_T4_T3_P12ihipStream_tbEUlT_E_NS1_11comp_targetILNS1_3genE8ELNS1_11target_archE1030ELNS1_3gpuE2ELNS1_3repE0EEENS1_30default_config_static_selectorELNS0_4arch9wavefront6targetE1EEEvSP_ ; -- Begin function _ZN7rocprim17ROCPRIM_400000_NS6detail17trampoline_kernelINS0_14default_configENS1_32segmented_reduce_config_selectorIfEEZNS1_21segmented_reduce_implIS3_PKfPfPKifN6hipcub16HIPCUB_304000_NS6detail27convert_result_type_wrapperIS8_S9_N2at6native12_GLOBAL__N_19CustomMinEEEEE10hipError_tPvRmT0_T1_jT2_SQ_T4_T3_P12ihipStream_tbEUlT_E_NS1_11comp_targetILNS1_3genE8ELNS1_11target_archE1030ELNS1_3gpuE2ELNS1_3repE0EEENS1_30default_config_static_selectorELNS0_4arch9wavefront6targetE1EEEvSP_
	.p2align	8
	.type	_ZN7rocprim17ROCPRIM_400000_NS6detail17trampoline_kernelINS0_14default_configENS1_32segmented_reduce_config_selectorIfEEZNS1_21segmented_reduce_implIS3_PKfPfPKifN6hipcub16HIPCUB_304000_NS6detail27convert_result_type_wrapperIS8_S9_N2at6native12_GLOBAL__N_19CustomMinEEEEE10hipError_tPvRmT0_T1_jT2_SQ_T4_T3_P12ihipStream_tbEUlT_E_NS1_11comp_targetILNS1_3genE8ELNS1_11target_archE1030ELNS1_3gpuE2ELNS1_3repE0EEENS1_30default_config_static_selectorELNS0_4arch9wavefront6targetE1EEEvSP_,@function
_ZN7rocprim17ROCPRIM_400000_NS6detail17trampoline_kernelINS0_14default_configENS1_32segmented_reduce_config_selectorIfEEZNS1_21segmented_reduce_implIS3_PKfPfPKifN6hipcub16HIPCUB_304000_NS6detail27convert_result_type_wrapperIS8_S9_N2at6native12_GLOBAL__N_19CustomMinEEEEE10hipError_tPvRmT0_T1_jT2_SQ_T4_T3_P12ihipStream_tbEUlT_E_NS1_11comp_targetILNS1_3genE8ELNS1_11target_archE1030ELNS1_3gpuE2ELNS1_3repE0EEENS1_30default_config_static_selectorELNS0_4arch9wavefront6targetE1EEEvSP_: ; @_ZN7rocprim17ROCPRIM_400000_NS6detail17trampoline_kernelINS0_14default_configENS1_32segmented_reduce_config_selectorIfEEZNS1_21segmented_reduce_implIS3_PKfPfPKifN6hipcub16HIPCUB_304000_NS6detail27convert_result_type_wrapperIS8_S9_N2at6native12_GLOBAL__N_19CustomMinEEEEE10hipError_tPvRmT0_T1_jT2_SQ_T4_T3_P12ihipStream_tbEUlT_E_NS1_11comp_targetILNS1_3genE8ELNS1_11target_archE1030ELNS1_3gpuE2ELNS1_3repE0EEENS1_30default_config_static_selectorELNS0_4arch9wavefront6targetE1EEEvSP_
; %bb.0:
	.section	.rodata,"a",@progbits
	.p2align	6, 0x0
	.amdhsa_kernel _ZN7rocprim17ROCPRIM_400000_NS6detail17trampoline_kernelINS0_14default_configENS1_32segmented_reduce_config_selectorIfEEZNS1_21segmented_reduce_implIS3_PKfPfPKifN6hipcub16HIPCUB_304000_NS6detail27convert_result_type_wrapperIS8_S9_N2at6native12_GLOBAL__N_19CustomMinEEEEE10hipError_tPvRmT0_T1_jT2_SQ_T4_T3_P12ihipStream_tbEUlT_E_NS1_11comp_targetILNS1_3genE8ELNS1_11target_archE1030ELNS1_3gpuE2ELNS1_3repE0EEENS1_30default_config_static_selectorELNS0_4arch9wavefront6targetE1EEEvSP_
		.amdhsa_group_segment_fixed_size 0
		.amdhsa_private_segment_fixed_size 0
		.amdhsa_kernarg_size 48
		.amdhsa_user_sgpr_count 6
		.amdhsa_user_sgpr_private_segment_buffer 1
		.amdhsa_user_sgpr_dispatch_ptr 0
		.amdhsa_user_sgpr_queue_ptr 0
		.amdhsa_user_sgpr_kernarg_segment_ptr 1
		.amdhsa_user_sgpr_dispatch_id 0
		.amdhsa_user_sgpr_flat_scratch_init 0
		.amdhsa_user_sgpr_private_segment_size 0
		.amdhsa_uses_dynamic_stack 0
		.amdhsa_system_sgpr_private_segment_wavefront_offset 0
		.amdhsa_system_sgpr_workgroup_id_x 1
		.amdhsa_system_sgpr_workgroup_id_y 0
		.amdhsa_system_sgpr_workgroup_id_z 0
		.amdhsa_system_sgpr_workgroup_info 0
		.amdhsa_system_vgpr_workitem_id 0
		.amdhsa_next_free_vgpr 1
		.amdhsa_next_free_sgpr 0
		.amdhsa_reserve_vcc 0
		.amdhsa_reserve_flat_scratch 0
		.amdhsa_float_round_mode_32 0
		.amdhsa_float_round_mode_16_64 0
		.amdhsa_float_denorm_mode_32 3
		.amdhsa_float_denorm_mode_16_64 3
		.amdhsa_dx10_clamp 1
		.amdhsa_ieee_mode 1
		.amdhsa_fp16_overflow 0
		.amdhsa_exception_fp_ieee_invalid_op 0
		.amdhsa_exception_fp_denorm_src 0
		.amdhsa_exception_fp_ieee_div_zero 0
		.amdhsa_exception_fp_ieee_overflow 0
		.amdhsa_exception_fp_ieee_underflow 0
		.amdhsa_exception_fp_ieee_inexact 0
		.amdhsa_exception_int_div_zero 0
	.end_amdhsa_kernel
	.section	.text._ZN7rocprim17ROCPRIM_400000_NS6detail17trampoline_kernelINS0_14default_configENS1_32segmented_reduce_config_selectorIfEEZNS1_21segmented_reduce_implIS3_PKfPfPKifN6hipcub16HIPCUB_304000_NS6detail27convert_result_type_wrapperIS8_S9_N2at6native12_GLOBAL__N_19CustomMinEEEEE10hipError_tPvRmT0_T1_jT2_SQ_T4_T3_P12ihipStream_tbEUlT_E_NS1_11comp_targetILNS1_3genE8ELNS1_11target_archE1030ELNS1_3gpuE2ELNS1_3repE0EEENS1_30default_config_static_selectorELNS0_4arch9wavefront6targetE1EEEvSP_,"axG",@progbits,_ZN7rocprim17ROCPRIM_400000_NS6detail17trampoline_kernelINS0_14default_configENS1_32segmented_reduce_config_selectorIfEEZNS1_21segmented_reduce_implIS3_PKfPfPKifN6hipcub16HIPCUB_304000_NS6detail27convert_result_type_wrapperIS8_S9_N2at6native12_GLOBAL__N_19CustomMinEEEEE10hipError_tPvRmT0_T1_jT2_SQ_T4_T3_P12ihipStream_tbEUlT_E_NS1_11comp_targetILNS1_3genE8ELNS1_11target_archE1030ELNS1_3gpuE2ELNS1_3repE0EEENS1_30default_config_static_selectorELNS0_4arch9wavefront6targetE1EEEvSP_,comdat
.Lfunc_end67:
	.size	_ZN7rocprim17ROCPRIM_400000_NS6detail17trampoline_kernelINS0_14default_configENS1_32segmented_reduce_config_selectorIfEEZNS1_21segmented_reduce_implIS3_PKfPfPKifN6hipcub16HIPCUB_304000_NS6detail27convert_result_type_wrapperIS8_S9_N2at6native12_GLOBAL__N_19CustomMinEEEEE10hipError_tPvRmT0_T1_jT2_SQ_T4_T3_P12ihipStream_tbEUlT_E_NS1_11comp_targetILNS1_3genE8ELNS1_11target_archE1030ELNS1_3gpuE2ELNS1_3repE0EEENS1_30default_config_static_selectorELNS0_4arch9wavefront6targetE1EEEvSP_, .Lfunc_end67-_ZN7rocprim17ROCPRIM_400000_NS6detail17trampoline_kernelINS0_14default_configENS1_32segmented_reduce_config_selectorIfEEZNS1_21segmented_reduce_implIS3_PKfPfPKifN6hipcub16HIPCUB_304000_NS6detail27convert_result_type_wrapperIS8_S9_N2at6native12_GLOBAL__N_19CustomMinEEEEE10hipError_tPvRmT0_T1_jT2_SQ_T4_T3_P12ihipStream_tbEUlT_E_NS1_11comp_targetILNS1_3genE8ELNS1_11target_archE1030ELNS1_3gpuE2ELNS1_3repE0EEENS1_30default_config_static_selectorELNS0_4arch9wavefront6targetE1EEEvSP_
                                        ; -- End function
	.set _ZN7rocprim17ROCPRIM_400000_NS6detail17trampoline_kernelINS0_14default_configENS1_32segmented_reduce_config_selectorIfEEZNS1_21segmented_reduce_implIS3_PKfPfPKifN6hipcub16HIPCUB_304000_NS6detail27convert_result_type_wrapperIS8_S9_N2at6native12_GLOBAL__N_19CustomMinEEEEE10hipError_tPvRmT0_T1_jT2_SQ_T4_T3_P12ihipStream_tbEUlT_E_NS1_11comp_targetILNS1_3genE8ELNS1_11target_archE1030ELNS1_3gpuE2ELNS1_3repE0EEENS1_30default_config_static_selectorELNS0_4arch9wavefront6targetE1EEEvSP_.num_vgpr, 0
	.set _ZN7rocprim17ROCPRIM_400000_NS6detail17trampoline_kernelINS0_14default_configENS1_32segmented_reduce_config_selectorIfEEZNS1_21segmented_reduce_implIS3_PKfPfPKifN6hipcub16HIPCUB_304000_NS6detail27convert_result_type_wrapperIS8_S9_N2at6native12_GLOBAL__N_19CustomMinEEEEE10hipError_tPvRmT0_T1_jT2_SQ_T4_T3_P12ihipStream_tbEUlT_E_NS1_11comp_targetILNS1_3genE8ELNS1_11target_archE1030ELNS1_3gpuE2ELNS1_3repE0EEENS1_30default_config_static_selectorELNS0_4arch9wavefront6targetE1EEEvSP_.num_agpr, 0
	.set _ZN7rocprim17ROCPRIM_400000_NS6detail17trampoline_kernelINS0_14default_configENS1_32segmented_reduce_config_selectorIfEEZNS1_21segmented_reduce_implIS3_PKfPfPKifN6hipcub16HIPCUB_304000_NS6detail27convert_result_type_wrapperIS8_S9_N2at6native12_GLOBAL__N_19CustomMinEEEEE10hipError_tPvRmT0_T1_jT2_SQ_T4_T3_P12ihipStream_tbEUlT_E_NS1_11comp_targetILNS1_3genE8ELNS1_11target_archE1030ELNS1_3gpuE2ELNS1_3repE0EEENS1_30default_config_static_selectorELNS0_4arch9wavefront6targetE1EEEvSP_.numbered_sgpr, 0
	.set _ZN7rocprim17ROCPRIM_400000_NS6detail17trampoline_kernelINS0_14default_configENS1_32segmented_reduce_config_selectorIfEEZNS1_21segmented_reduce_implIS3_PKfPfPKifN6hipcub16HIPCUB_304000_NS6detail27convert_result_type_wrapperIS8_S9_N2at6native12_GLOBAL__N_19CustomMinEEEEE10hipError_tPvRmT0_T1_jT2_SQ_T4_T3_P12ihipStream_tbEUlT_E_NS1_11comp_targetILNS1_3genE8ELNS1_11target_archE1030ELNS1_3gpuE2ELNS1_3repE0EEENS1_30default_config_static_selectorELNS0_4arch9wavefront6targetE1EEEvSP_.num_named_barrier, 0
	.set _ZN7rocprim17ROCPRIM_400000_NS6detail17trampoline_kernelINS0_14default_configENS1_32segmented_reduce_config_selectorIfEEZNS1_21segmented_reduce_implIS3_PKfPfPKifN6hipcub16HIPCUB_304000_NS6detail27convert_result_type_wrapperIS8_S9_N2at6native12_GLOBAL__N_19CustomMinEEEEE10hipError_tPvRmT0_T1_jT2_SQ_T4_T3_P12ihipStream_tbEUlT_E_NS1_11comp_targetILNS1_3genE8ELNS1_11target_archE1030ELNS1_3gpuE2ELNS1_3repE0EEENS1_30default_config_static_selectorELNS0_4arch9wavefront6targetE1EEEvSP_.private_seg_size, 0
	.set _ZN7rocprim17ROCPRIM_400000_NS6detail17trampoline_kernelINS0_14default_configENS1_32segmented_reduce_config_selectorIfEEZNS1_21segmented_reduce_implIS3_PKfPfPKifN6hipcub16HIPCUB_304000_NS6detail27convert_result_type_wrapperIS8_S9_N2at6native12_GLOBAL__N_19CustomMinEEEEE10hipError_tPvRmT0_T1_jT2_SQ_T4_T3_P12ihipStream_tbEUlT_E_NS1_11comp_targetILNS1_3genE8ELNS1_11target_archE1030ELNS1_3gpuE2ELNS1_3repE0EEENS1_30default_config_static_selectorELNS0_4arch9wavefront6targetE1EEEvSP_.uses_vcc, 0
	.set _ZN7rocprim17ROCPRIM_400000_NS6detail17trampoline_kernelINS0_14default_configENS1_32segmented_reduce_config_selectorIfEEZNS1_21segmented_reduce_implIS3_PKfPfPKifN6hipcub16HIPCUB_304000_NS6detail27convert_result_type_wrapperIS8_S9_N2at6native12_GLOBAL__N_19CustomMinEEEEE10hipError_tPvRmT0_T1_jT2_SQ_T4_T3_P12ihipStream_tbEUlT_E_NS1_11comp_targetILNS1_3genE8ELNS1_11target_archE1030ELNS1_3gpuE2ELNS1_3repE0EEENS1_30default_config_static_selectorELNS0_4arch9wavefront6targetE1EEEvSP_.uses_flat_scratch, 0
	.set _ZN7rocprim17ROCPRIM_400000_NS6detail17trampoline_kernelINS0_14default_configENS1_32segmented_reduce_config_selectorIfEEZNS1_21segmented_reduce_implIS3_PKfPfPKifN6hipcub16HIPCUB_304000_NS6detail27convert_result_type_wrapperIS8_S9_N2at6native12_GLOBAL__N_19CustomMinEEEEE10hipError_tPvRmT0_T1_jT2_SQ_T4_T3_P12ihipStream_tbEUlT_E_NS1_11comp_targetILNS1_3genE8ELNS1_11target_archE1030ELNS1_3gpuE2ELNS1_3repE0EEENS1_30default_config_static_selectorELNS0_4arch9wavefront6targetE1EEEvSP_.has_dyn_sized_stack, 0
	.set _ZN7rocprim17ROCPRIM_400000_NS6detail17trampoline_kernelINS0_14default_configENS1_32segmented_reduce_config_selectorIfEEZNS1_21segmented_reduce_implIS3_PKfPfPKifN6hipcub16HIPCUB_304000_NS6detail27convert_result_type_wrapperIS8_S9_N2at6native12_GLOBAL__N_19CustomMinEEEEE10hipError_tPvRmT0_T1_jT2_SQ_T4_T3_P12ihipStream_tbEUlT_E_NS1_11comp_targetILNS1_3genE8ELNS1_11target_archE1030ELNS1_3gpuE2ELNS1_3repE0EEENS1_30default_config_static_selectorELNS0_4arch9wavefront6targetE1EEEvSP_.has_recursion, 0
	.set _ZN7rocprim17ROCPRIM_400000_NS6detail17trampoline_kernelINS0_14default_configENS1_32segmented_reduce_config_selectorIfEEZNS1_21segmented_reduce_implIS3_PKfPfPKifN6hipcub16HIPCUB_304000_NS6detail27convert_result_type_wrapperIS8_S9_N2at6native12_GLOBAL__N_19CustomMinEEEEE10hipError_tPvRmT0_T1_jT2_SQ_T4_T3_P12ihipStream_tbEUlT_E_NS1_11comp_targetILNS1_3genE8ELNS1_11target_archE1030ELNS1_3gpuE2ELNS1_3repE0EEENS1_30default_config_static_selectorELNS0_4arch9wavefront6targetE1EEEvSP_.has_indirect_call, 0
	.section	.AMDGPU.csdata,"",@progbits
; Kernel info:
; codeLenInByte = 0
; TotalNumSgprs: 4
; NumVgprs: 0
; ScratchSize: 0
; MemoryBound: 0
; FloatMode: 240
; IeeeMode: 1
; LDSByteSize: 0 bytes/workgroup (compile time only)
; SGPRBlocks: 0
; VGPRBlocks: 0
; NumSGPRsForWavesPerEU: 4
; NumVGPRsForWavesPerEU: 1
; Occupancy: 10
; WaveLimiterHint : 0
; COMPUTE_PGM_RSRC2:SCRATCH_EN: 0
; COMPUTE_PGM_RSRC2:USER_SGPR: 6
; COMPUTE_PGM_RSRC2:TRAP_HANDLER: 0
; COMPUTE_PGM_RSRC2:TGID_X_EN: 1
; COMPUTE_PGM_RSRC2:TGID_Y_EN: 0
; COMPUTE_PGM_RSRC2:TGID_Z_EN: 0
; COMPUTE_PGM_RSRC2:TIDIG_COMP_CNT: 0
	.section	.text._ZN7rocprim17ROCPRIM_400000_NS6detail17trampoline_kernelINS0_14default_configENS1_32segmented_reduce_config_selectorIfEEZNS1_21segmented_reduce_implIS3_PKfPfPKifN6hipcub16HIPCUB_304000_NS6detail27convert_result_type_wrapperIS8_S9_N2at6native12_GLOBAL__N_110CustomProdEEEEE10hipError_tPvRmT0_T1_jT2_SQ_T4_T3_P12ihipStream_tbEUlT_E_NS1_11comp_targetILNS1_3genE0ELNS1_11target_archE4294967295ELNS1_3gpuE0ELNS1_3repE0EEENS1_30default_config_static_selectorELNS0_4arch9wavefront6targetE1EEEvSP_,"axG",@progbits,_ZN7rocprim17ROCPRIM_400000_NS6detail17trampoline_kernelINS0_14default_configENS1_32segmented_reduce_config_selectorIfEEZNS1_21segmented_reduce_implIS3_PKfPfPKifN6hipcub16HIPCUB_304000_NS6detail27convert_result_type_wrapperIS8_S9_N2at6native12_GLOBAL__N_110CustomProdEEEEE10hipError_tPvRmT0_T1_jT2_SQ_T4_T3_P12ihipStream_tbEUlT_E_NS1_11comp_targetILNS1_3genE0ELNS1_11target_archE4294967295ELNS1_3gpuE0ELNS1_3repE0EEENS1_30default_config_static_selectorELNS0_4arch9wavefront6targetE1EEEvSP_,comdat
	.globl	_ZN7rocprim17ROCPRIM_400000_NS6detail17trampoline_kernelINS0_14default_configENS1_32segmented_reduce_config_selectorIfEEZNS1_21segmented_reduce_implIS3_PKfPfPKifN6hipcub16HIPCUB_304000_NS6detail27convert_result_type_wrapperIS8_S9_N2at6native12_GLOBAL__N_110CustomProdEEEEE10hipError_tPvRmT0_T1_jT2_SQ_T4_T3_P12ihipStream_tbEUlT_E_NS1_11comp_targetILNS1_3genE0ELNS1_11target_archE4294967295ELNS1_3gpuE0ELNS1_3repE0EEENS1_30default_config_static_selectorELNS0_4arch9wavefront6targetE1EEEvSP_ ; -- Begin function _ZN7rocprim17ROCPRIM_400000_NS6detail17trampoline_kernelINS0_14default_configENS1_32segmented_reduce_config_selectorIfEEZNS1_21segmented_reduce_implIS3_PKfPfPKifN6hipcub16HIPCUB_304000_NS6detail27convert_result_type_wrapperIS8_S9_N2at6native12_GLOBAL__N_110CustomProdEEEEE10hipError_tPvRmT0_T1_jT2_SQ_T4_T3_P12ihipStream_tbEUlT_E_NS1_11comp_targetILNS1_3genE0ELNS1_11target_archE4294967295ELNS1_3gpuE0ELNS1_3repE0EEENS1_30default_config_static_selectorELNS0_4arch9wavefront6targetE1EEEvSP_
	.p2align	8
	.type	_ZN7rocprim17ROCPRIM_400000_NS6detail17trampoline_kernelINS0_14default_configENS1_32segmented_reduce_config_selectorIfEEZNS1_21segmented_reduce_implIS3_PKfPfPKifN6hipcub16HIPCUB_304000_NS6detail27convert_result_type_wrapperIS8_S9_N2at6native12_GLOBAL__N_110CustomProdEEEEE10hipError_tPvRmT0_T1_jT2_SQ_T4_T3_P12ihipStream_tbEUlT_E_NS1_11comp_targetILNS1_3genE0ELNS1_11target_archE4294967295ELNS1_3gpuE0ELNS1_3repE0EEENS1_30default_config_static_selectorELNS0_4arch9wavefront6targetE1EEEvSP_,@function
_ZN7rocprim17ROCPRIM_400000_NS6detail17trampoline_kernelINS0_14default_configENS1_32segmented_reduce_config_selectorIfEEZNS1_21segmented_reduce_implIS3_PKfPfPKifN6hipcub16HIPCUB_304000_NS6detail27convert_result_type_wrapperIS8_S9_N2at6native12_GLOBAL__N_110CustomProdEEEEE10hipError_tPvRmT0_T1_jT2_SQ_T4_T3_P12ihipStream_tbEUlT_E_NS1_11comp_targetILNS1_3genE0ELNS1_11target_archE4294967295ELNS1_3gpuE0ELNS1_3repE0EEENS1_30default_config_static_selectorELNS0_4arch9wavefront6targetE1EEEvSP_: ; @_ZN7rocprim17ROCPRIM_400000_NS6detail17trampoline_kernelINS0_14default_configENS1_32segmented_reduce_config_selectorIfEEZNS1_21segmented_reduce_implIS3_PKfPfPKifN6hipcub16HIPCUB_304000_NS6detail27convert_result_type_wrapperIS8_S9_N2at6native12_GLOBAL__N_110CustomProdEEEEE10hipError_tPvRmT0_T1_jT2_SQ_T4_T3_P12ihipStream_tbEUlT_E_NS1_11comp_targetILNS1_3genE0ELNS1_11target_archE4294967295ELNS1_3gpuE0ELNS1_3repE0EEENS1_30default_config_static_selectorELNS0_4arch9wavefront6targetE1EEEvSP_
; %bb.0:
	.section	.rodata,"a",@progbits
	.p2align	6, 0x0
	.amdhsa_kernel _ZN7rocprim17ROCPRIM_400000_NS6detail17trampoline_kernelINS0_14default_configENS1_32segmented_reduce_config_selectorIfEEZNS1_21segmented_reduce_implIS3_PKfPfPKifN6hipcub16HIPCUB_304000_NS6detail27convert_result_type_wrapperIS8_S9_N2at6native12_GLOBAL__N_110CustomProdEEEEE10hipError_tPvRmT0_T1_jT2_SQ_T4_T3_P12ihipStream_tbEUlT_E_NS1_11comp_targetILNS1_3genE0ELNS1_11target_archE4294967295ELNS1_3gpuE0ELNS1_3repE0EEENS1_30default_config_static_selectorELNS0_4arch9wavefront6targetE1EEEvSP_
		.amdhsa_group_segment_fixed_size 0
		.amdhsa_private_segment_fixed_size 0
		.amdhsa_kernarg_size 48
		.amdhsa_user_sgpr_count 6
		.amdhsa_user_sgpr_private_segment_buffer 1
		.amdhsa_user_sgpr_dispatch_ptr 0
		.amdhsa_user_sgpr_queue_ptr 0
		.amdhsa_user_sgpr_kernarg_segment_ptr 1
		.amdhsa_user_sgpr_dispatch_id 0
		.amdhsa_user_sgpr_flat_scratch_init 0
		.amdhsa_user_sgpr_private_segment_size 0
		.amdhsa_uses_dynamic_stack 0
		.amdhsa_system_sgpr_private_segment_wavefront_offset 0
		.amdhsa_system_sgpr_workgroup_id_x 1
		.amdhsa_system_sgpr_workgroup_id_y 0
		.amdhsa_system_sgpr_workgroup_id_z 0
		.amdhsa_system_sgpr_workgroup_info 0
		.amdhsa_system_vgpr_workitem_id 0
		.amdhsa_next_free_vgpr 1
		.amdhsa_next_free_sgpr 0
		.amdhsa_reserve_vcc 0
		.amdhsa_reserve_flat_scratch 0
		.amdhsa_float_round_mode_32 0
		.amdhsa_float_round_mode_16_64 0
		.amdhsa_float_denorm_mode_32 3
		.amdhsa_float_denorm_mode_16_64 3
		.amdhsa_dx10_clamp 1
		.amdhsa_ieee_mode 1
		.amdhsa_fp16_overflow 0
		.amdhsa_exception_fp_ieee_invalid_op 0
		.amdhsa_exception_fp_denorm_src 0
		.amdhsa_exception_fp_ieee_div_zero 0
		.amdhsa_exception_fp_ieee_overflow 0
		.amdhsa_exception_fp_ieee_underflow 0
		.amdhsa_exception_fp_ieee_inexact 0
		.amdhsa_exception_int_div_zero 0
	.end_amdhsa_kernel
	.section	.text._ZN7rocprim17ROCPRIM_400000_NS6detail17trampoline_kernelINS0_14default_configENS1_32segmented_reduce_config_selectorIfEEZNS1_21segmented_reduce_implIS3_PKfPfPKifN6hipcub16HIPCUB_304000_NS6detail27convert_result_type_wrapperIS8_S9_N2at6native12_GLOBAL__N_110CustomProdEEEEE10hipError_tPvRmT0_T1_jT2_SQ_T4_T3_P12ihipStream_tbEUlT_E_NS1_11comp_targetILNS1_3genE0ELNS1_11target_archE4294967295ELNS1_3gpuE0ELNS1_3repE0EEENS1_30default_config_static_selectorELNS0_4arch9wavefront6targetE1EEEvSP_,"axG",@progbits,_ZN7rocprim17ROCPRIM_400000_NS6detail17trampoline_kernelINS0_14default_configENS1_32segmented_reduce_config_selectorIfEEZNS1_21segmented_reduce_implIS3_PKfPfPKifN6hipcub16HIPCUB_304000_NS6detail27convert_result_type_wrapperIS8_S9_N2at6native12_GLOBAL__N_110CustomProdEEEEE10hipError_tPvRmT0_T1_jT2_SQ_T4_T3_P12ihipStream_tbEUlT_E_NS1_11comp_targetILNS1_3genE0ELNS1_11target_archE4294967295ELNS1_3gpuE0ELNS1_3repE0EEENS1_30default_config_static_selectorELNS0_4arch9wavefront6targetE1EEEvSP_,comdat
.Lfunc_end68:
	.size	_ZN7rocprim17ROCPRIM_400000_NS6detail17trampoline_kernelINS0_14default_configENS1_32segmented_reduce_config_selectorIfEEZNS1_21segmented_reduce_implIS3_PKfPfPKifN6hipcub16HIPCUB_304000_NS6detail27convert_result_type_wrapperIS8_S9_N2at6native12_GLOBAL__N_110CustomProdEEEEE10hipError_tPvRmT0_T1_jT2_SQ_T4_T3_P12ihipStream_tbEUlT_E_NS1_11comp_targetILNS1_3genE0ELNS1_11target_archE4294967295ELNS1_3gpuE0ELNS1_3repE0EEENS1_30default_config_static_selectorELNS0_4arch9wavefront6targetE1EEEvSP_, .Lfunc_end68-_ZN7rocprim17ROCPRIM_400000_NS6detail17trampoline_kernelINS0_14default_configENS1_32segmented_reduce_config_selectorIfEEZNS1_21segmented_reduce_implIS3_PKfPfPKifN6hipcub16HIPCUB_304000_NS6detail27convert_result_type_wrapperIS8_S9_N2at6native12_GLOBAL__N_110CustomProdEEEEE10hipError_tPvRmT0_T1_jT2_SQ_T4_T3_P12ihipStream_tbEUlT_E_NS1_11comp_targetILNS1_3genE0ELNS1_11target_archE4294967295ELNS1_3gpuE0ELNS1_3repE0EEENS1_30default_config_static_selectorELNS0_4arch9wavefront6targetE1EEEvSP_
                                        ; -- End function
	.set _ZN7rocprim17ROCPRIM_400000_NS6detail17trampoline_kernelINS0_14default_configENS1_32segmented_reduce_config_selectorIfEEZNS1_21segmented_reduce_implIS3_PKfPfPKifN6hipcub16HIPCUB_304000_NS6detail27convert_result_type_wrapperIS8_S9_N2at6native12_GLOBAL__N_110CustomProdEEEEE10hipError_tPvRmT0_T1_jT2_SQ_T4_T3_P12ihipStream_tbEUlT_E_NS1_11comp_targetILNS1_3genE0ELNS1_11target_archE4294967295ELNS1_3gpuE0ELNS1_3repE0EEENS1_30default_config_static_selectorELNS0_4arch9wavefront6targetE1EEEvSP_.num_vgpr, 0
	.set _ZN7rocprim17ROCPRIM_400000_NS6detail17trampoline_kernelINS0_14default_configENS1_32segmented_reduce_config_selectorIfEEZNS1_21segmented_reduce_implIS3_PKfPfPKifN6hipcub16HIPCUB_304000_NS6detail27convert_result_type_wrapperIS8_S9_N2at6native12_GLOBAL__N_110CustomProdEEEEE10hipError_tPvRmT0_T1_jT2_SQ_T4_T3_P12ihipStream_tbEUlT_E_NS1_11comp_targetILNS1_3genE0ELNS1_11target_archE4294967295ELNS1_3gpuE0ELNS1_3repE0EEENS1_30default_config_static_selectorELNS0_4arch9wavefront6targetE1EEEvSP_.num_agpr, 0
	.set _ZN7rocprim17ROCPRIM_400000_NS6detail17trampoline_kernelINS0_14default_configENS1_32segmented_reduce_config_selectorIfEEZNS1_21segmented_reduce_implIS3_PKfPfPKifN6hipcub16HIPCUB_304000_NS6detail27convert_result_type_wrapperIS8_S9_N2at6native12_GLOBAL__N_110CustomProdEEEEE10hipError_tPvRmT0_T1_jT2_SQ_T4_T3_P12ihipStream_tbEUlT_E_NS1_11comp_targetILNS1_3genE0ELNS1_11target_archE4294967295ELNS1_3gpuE0ELNS1_3repE0EEENS1_30default_config_static_selectorELNS0_4arch9wavefront6targetE1EEEvSP_.numbered_sgpr, 0
	.set _ZN7rocprim17ROCPRIM_400000_NS6detail17trampoline_kernelINS0_14default_configENS1_32segmented_reduce_config_selectorIfEEZNS1_21segmented_reduce_implIS3_PKfPfPKifN6hipcub16HIPCUB_304000_NS6detail27convert_result_type_wrapperIS8_S9_N2at6native12_GLOBAL__N_110CustomProdEEEEE10hipError_tPvRmT0_T1_jT2_SQ_T4_T3_P12ihipStream_tbEUlT_E_NS1_11comp_targetILNS1_3genE0ELNS1_11target_archE4294967295ELNS1_3gpuE0ELNS1_3repE0EEENS1_30default_config_static_selectorELNS0_4arch9wavefront6targetE1EEEvSP_.num_named_barrier, 0
	.set _ZN7rocprim17ROCPRIM_400000_NS6detail17trampoline_kernelINS0_14default_configENS1_32segmented_reduce_config_selectorIfEEZNS1_21segmented_reduce_implIS3_PKfPfPKifN6hipcub16HIPCUB_304000_NS6detail27convert_result_type_wrapperIS8_S9_N2at6native12_GLOBAL__N_110CustomProdEEEEE10hipError_tPvRmT0_T1_jT2_SQ_T4_T3_P12ihipStream_tbEUlT_E_NS1_11comp_targetILNS1_3genE0ELNS1_11target_archE4294967295ELNS1_3gpuE0ELNS1_3repE0EEENS1_30default_config_static_selectorELNS0_4arch9wavefront6targetE1EEEvSP_.private_seg_size, 0
	.set _ZN7rocprim17ROCPRIM_400000_NS6detail17trampoline_kernelINS0_14default_configENS1_32segmented_reduce_config_selectorIfEEZNS1_21segmented_reduce_implIS3_PKfPfPKifN6hipcub16HIPCUB_304000_NS6detail27convert_result_type_wrapperIS8_S9_N2at6native12_GLOBAL__N_110CustomProdEEEEE10hipError_tPvRmT0_T1_jT2_SQ_T4_T3_P12ihipStream_tbEUlT_E_NS1_11comp_targetILNS1_3genE0ELNS1_11target_archE4294967295ELNS1_3gpuE0ELNS1_3repE0EEENS1_30default_config_static_selectorELNS0_4arch9wavefront6targetE1EEEvSP_.uses_vcc, 0
	.set _ZN7rocprim17ROCPRIM_400000_NS6detail17trampoline_kernelINS0_14default_configENS1_32segmented_reduce_config_selectorIfEEZNS1_21segmented_reduce_implIS3_PKfPfPKifN6hipcub16HIPCUB_304000_NS6detail27convert_result_type_wrapperIS8_S9_N2at6native12_GLOBAL__N_110CustomProdEEEEE10hipError_tPvRmT0_T1_jT2_SQ_T4_T3_P12ihipStream_tbEUlT_E_NS1_11comp_targetILNS1_3genE0ELNS1_11target_archE4294967295ELNS1_3gpuE0ELNS1_3repE0EEENS1_30default_config_static_selectorELNS0_4arch9wavefront6targetE1EEEvSP_.uses_flat_scratch, 0
	.set _ZN7rocprim17ROCPRIM_400000_NS6detail17trampoline_kernelINS0_14default_configENS1_32segmented_reduce_config_selectorIfEEZNS1_21segmented_reduce_implIS3_PKfPfPKifN6hipcub16HIPCUB_304000_NS6detail27convert_result_type_wrapperIS8_S9_N2at6native12_GLOBAL__N_110CustomProdEEEEE10hipError_tPvRmT0_T1_jT2_SQ_T4_T3_P12ihipStream_tbEUlT_E_NS1_11comp_targetILNS1_3genE0ELNS1_11target_archE4294967295ELNS1_3gpuE0ELNS1_3repE0EEENS1_30default_config_static_selectorELNS0_4arch9wavefront6targetE1EEEvSP_.has_dyn_sized_stack, 0
	.set _ZN7rocprim17ROCPRIM_400000_NS6detail17trampoline_kernelINS0_14default_configENS1_32segmented_reduce_config_selectorIfEEZNS1_21segmented_reduce_implIS3_PKfPfPKifN6hipcub16HIPCUB_304000_NS6detail27convert_result_type_wrapperIS8_S9_N2at6native12_GLOBAL__N_110CustomProdEEEEE10hipError_tPvRmT0_T1_jT2_SQ_T4_T3_P12ihipStream_tbEUlT_E_NS1_11comp_targetILNS1_3genE0ELNS1_11target_archE4294967295ELNS1_3gpuE0ELNS1_3repE0EEENS1_30default_config_static_selectorELNS0_4arch9wavefront6targetE1EEEvSP_.has_recursion, 0
	.set _ZN7rocprim17ROCPRIM_400000_NS6detail17trampoline_kernelINS0_14default_configENS1_32segmented_reduce_config_selectorIfEEZNS1_21segmented_reduce_implIS3_PKfPfPKifN6hipcub16HIPCUB_304000_NS6detail27convert_result_type_wrapperIS8_S9_N2at6native12_GLOBAL__N_110CustomProdEEEEE10hipError_tPvRmT0_T1_jT2_SQ_T4_T3_P12ihipStream_tbEUlT_E_NS1_11comp_targetILNS1_3genE0ELNS1_11target_archE4294967295ELNS1_3gpuE0ELNS1_3repE0EEENS1_30default_config_static_selectorELNS0_4arch9wavefront6targetE1EEEvSP_.has_indirect_call, 0
	.section	.AMDGPU.csdata,"",@progbits
; Kernel info:
; codeLenInByte = 0
; TotalNumSgprs: 4
; NumVgprs: 0
; ScratchSize: 0
; MemoryBound: 0
; FloatMode: 240
; IeeeMode: 1
; LDSByteSize: 0 bytes/workgroup (compile time only)
; SGPRBlocks: 0
; VGPRBlocks: 0
; NumSGPRsForWavesPerEU: 4
; NumVGPRsForWavesPerEU: 1
; Occupancy: 10
; WaveLimiterHint : 0
; COMPUTE_PGM_RSRC2:SCRATCH_EN: 0
; COMPUTE_PGM_RSRC2:USER_SGPR: 6
; COMPUTE_PGM_RSRC2:TRAP_HANDLER: 0
; COMPUTE_PGM_RSRC2:TGID_X_EN: 1
; COMPUTE_PGM_RSRC2:TGID_Y_EN: 0
; COMPUTE_PGM_RSRC2:TGID_Z_EN: 0
; COMPUTE_PGM_RSRC2:TIDIG_COMP_CNT: 0
	.section	.text._ZN7rocprim17ROCPRIM_400000_NS6detail17trampoline_kernelINS0_14default_configENS1_32segmented_reduce_config_selectorIfEEZNS1_21segmented_reduce_implIS3_PKfPfPKifN6hipcub16HIPCUB_304000_NS6detail27convert_result_type_wrapperIS8_S9_N2at6native12_GLOBAL__N_110CustomProdEEEEE10hipError_tPvRmT0_T1_jT2_SQ_T4_T3_P12ihipStream_tbEUlT_E_NS1_11comp_targetILNS1_3genE5ELNS1_11target_archE942ELNS1_3gpuE9ELNS1_3repE0EEENS1_30default_config_static_selectorELNS0_4arch9wavefront6targetE1EEEvSP_,"axG",@progbits,_ZN7rocprim17ROCPRIM_400000_NS6detail17trampoline_kernelINS0_14default_configENS1_32segmented_reduce_config_selectorIfEEZNS1_21segmented_reduce_implIS3_PKfPfPKifN6hipcub16HIPCUB_304000_NS6detail27convert_result_type_wrapperIS8_S9_N2at6native12_GLOBAL__N_110CustomProdEEEEE10hipError_tPvRmT0_T1_jT2_SQ_T4_T3_P12ihipStream_tbEUlT_E_NS1_11comp_targetILNS1_3genE5ELNS1_11target_archE942ELNS1_3gpuE9ELNS1_3repE0EEENS1_30default_config_static_selectorELNS0_4arch9wavefront6targetE1EEEvSP_,comdat
	.globl	_ZN7rocprim17ROCPRIM_400000_NS6detail17trampoline_kernelINS0_14default_configENS1_32segmented_reduce_config_selectorIfEEZNS1_21segmented_reduce_implIS3_PKfPfPKifN6hipcub16HIPCUB_304000_NS6detail27convert_result_type_wrapperIS8_S9_N2at6native12_GLOBAL__N_110CustomProdEEEEE10hipError_tPvRmT0_T1_jT2_SQ_T4_T3_P12ihipStream_tbEUlT_E_NS1_11comp_targetILNS1_3genE5ELNS1_11target_archE942ELNS1_3gpuE9ELNS1_3repE0EEENS1_30default_config_static_selectorELNS0_4arch9wavefront6targetE1EEEvSP_ ; -- Begin function _ZN7rocprim17ROCPRIM_400000_NS6detail17trampoline_kernelINS0_14default_configENS1_32segmented_reduce_config_selectorIfEEZNS1_21segmented_reduce_implIS3_PKfPfPKifN6hipcub16HIPCUB_304000_NS6detail27convert_result_type_wrapperIS8_S9_N2at6native12_GLOBAL__N_110CustomProdEEEEE10hipError_tPvRmT0_T1_jT2_SQ_T4_T3_P12ihipStream_tbEUlT_E_NS1_11comp_targetILNS1_3genE5ELNS1_11target_archE942ELNS1_3gpuE9ELNS1_3repE0EEENS1_30default_config_static_selectorELNS0_4arch9wavefront6targetE1EEEvSP_
	.p2align	8
	.type	_ZN7rocprim17ROCPRIM_400000_NS6detail17trampoline_kernelINS0_14default_configENS1_32segmented_reduce_config_selectorIfEEZNS1_21segmented_reduce_implIS3_PKfPfPKifN6hipcub16HIPCUB_304000_NS6detail27convert_result_type_wrapperIS8_S9_N2at6native12_GLOBAL__N_110CustomProdEEEEE10hipError_tPvRmT0_T1_jT2_SQ_T4_T3_P12ihipStream_tbEUlT_E_NS1_11comp_targetILNS1_3genE5ELNS1_11target_archE942ELNS1_3gpuE9ELNS1_3repE0EEENS1_30default_config_static_selectorELNS0_4arch9wavefront6targetE1EEEvSP_,@function
_ZN7rocprim17ROCPRIM_400000_NS6detail17trampoline_kernelINS0_14default_configENS1_32segmented_reduce_config_selectorIfEEZNS1_21segmented_reduce_implIS3_PKfPfPKifN6hipcub16HIPCUB_304000_NS6detail27convert_result_type_wrapperIS8_S9_N2at6native12_GLOBAL__N_110CustomProdEEEEE10hipError_tPvRmT0_T1_jT2_SQ_T4_T3_P12ihipStream_tbEUlT_E_NS1_11comp_targetILNS1_3genE5ELNS1_11target_archE942ELNS1_3gpuE9ELNS1_3repE0EEENS1_30default_config_static_selectorELNS0_4arch9wavefront6targetE1EEEvSP_: ; @_ZN7rocprim17ROCPRIM_400000_NS6detail17trampoline_kernelINS0_14default_configENS1_32segmented_reduce_config_selectorIfEEZNS1_21segmented_reduce_implIS3_PKfPfPKifN6hipcub16HIPCUB_304000_NS6detail27convert_result_type_wrapperIS8_S9_N2at6native12_GLOBAL__N_110CustomProdEEEEE10hipError_tPvRmT0_T1_jT2_SQ_T4_T3_P12ihipStream_tbEUlT_E_NS1_11comp_targetILNS1_3genE5ELNS1_11target_archE942ELNS1_3gpuE9ELNS1_3repE0EEENS1_30default_config_static_selectorELNS0_4arch9wavefront6targetE1EEEvSP_
; %bb.0:
	.section	.rodata,"a",@progbits
	.p2align	6, 0x0
	.amdhsa_kernel _ZN7rocprim17ROCPRIM_400000_NS6detail17trampoline_kernelINS0_14default_configENS1_32segmented_reduce_config_selectorIfEEZNS1_21segmented_reduce_implIS3_PKfPfPKifN6hipcub16HIPCUB_304000_NS6detail27convert_result_type_wrapperIS8_S9_N2at6native12_GLOBAL__N_110CustomProdEEEEE10hipError_tPvRmT0_T1_jT2_SQ_T4_T3_P12ihipStream_tbEUlT_E_NS1_11comp_targetILNS1_3genE5ELNS1_11target_archE942ELNS1_3gpuE9ELNS1_3repE0EEENS1_30default_config_static_selectorELNS0_4arch9wavefront6targetE1EEEvSP_
		.amdhsa_group_segment_fixed_size 0
		.amdhsa_private_segment_fixed_size 0
		.amdhsa_kernarg_size 48
		.amdhsa_user_sgpr_count 6
		.amdhsa_user_sgpr_private_segment_buffer 1
		.amdhsa_user_sgpr_dispatch_ptr 0
		.amdhsa_user_sgpr_queue_ptr 0
		.amdhsa_user_sgpr_kernarg_segment_ptr 1
		.amdhsa_user_sgpr_dispatch_id 0
		.amdhsa_user_sgpr_flat_scratch_init 0
		.amdhsa_user_sgpr_private_segment_size 0
		.amdhsa_uses_dynamic_stack 0
		.amdhsa_system_sgpr_private_segment_wavefront_offset 0
		.amdhsa_system_sgpr_workgroup_id_x 1
		.amdhsa_system_sgpr_workgroup_id_y 0
		.amdhsa_system_sgpr_workgroup_id_z 0
		.amdhsa_system_sgpr_workgroup_info 0
		.amdhsa_system_vgpr_workitem_id 0
		.amdhsa_next_free_vgpr 1
		.amdhsa_next_free_sgpr 0
		.amdhsa_reserve_vcc 0
		.amdhsa_reserve_flat_scratch 0
		.amdhsa_float_round_mode_32 0
		.amdhsa_float_round_mode_16_64 0
		.amdhsa_float_denorm_mode_32 3
		.amdhsa_float_denorm_mode_16_64 3
		.amdhsa_dx10_clamp 1
		.amdhsa_ieee_mode 1
		.amdhsa_fp16_overflow 0
		.amdhsa_exception_fp_ieee_invalid_op 0
		.amdhsa_exception_fp_denorm_src 0
		.amdhsa_exception_fp_ieee_div_zero 0
		.amdhsa_exception_fp_ieee_overflow 0
		.amdhsa_exception_fp_ieee_underflow 0
		.amdhsa_exception_fp_ieee_inexact 0
		.amdhsa_exception_int_div_zero 0
	.end_amdhsa_kernel
	.section	.text._ZN7rocprim17ROCPRIM_400000_NS6detail17trampoline_kernelINS0_14default_configENS1_32segmented_reduce_config_selectorIfEEZNS1_21segmented_reduce_implIS3_PKfPfPKifN6hipcub16HIPCUB_304000_NS6detail27convert_result_type_wrapperIS8_S9_N2at6native12_GLOBAL__N_110CustomProdEEEEE10hipError_tPvRmT0_T1_jT2_SQ_T4_T3_P12ihipStream_tbEUlT_E_NS1_11comp_targetILNS1_3genE5ELNS1_11target_archE942ELNS1_3gpuE9ELNS1_3repE0EEENS1_30default_config_static_selectorELNS0_4arch9wavefront6targetE1EEEvSP_,"axG",@progbits,_ZN7rocprim17ROCPRIM_400000_NS6detail17trampoline_kernelINS0_14default_configENS1_32segmented_reduce_config_selectorIfEEZNS1_21segmented_reduce_implIS3_PKfPfPKifN6hipcub16HIPCUB_304000_NS6detail27convert_result_type_wrapperIS8_S9_N2at6native12_GLOBAL__N_110CustomProdEEEEE10hipError_tPvRmT0_T1_jT2_SQ_T4_T3_P12ihipStream_tbEUlT_E_NS1_11comp_targetILNS1_3genE5ELNS1_11target_archE942ELNS1_3gpuE9ELNS1_3repE0EEENS1_30default_config_static_selectorELNS0_4arch9wavefront6targetE1EEEvSP_,comdat
.Lfunc_end69:
	.size	_ZN7rocprim17ROCPRIM_400000_NS6detail17trampoline_kernelINS0_14default_configENS1_32segmented_reduce_config_selectorIfEEZNS1_21segmented_reduce_implIS3_PKfPfPKifN6hipcub16HIPCUB_304000_NS6detail27convert_result_type_wrapperIS8_S9_N2at6native12_GLOBAL__N_110CustomProdEEEEE10hipError_tPvRmT0_T1_jT2_SQ_T4_T3_P12ihipStream_tbEUlT_E_NS1_11comp_targetILNS1_3genE5ELNS1_11target_archE942ELNS1_3gpuE9ELNS1_3repE0EEENS1_30default_config_static_selectorELNS0_4arch9wavefront6targetE1EEEvSP_, .Lfunc_end69-_ZN7rocprim17ROCPRIM_400000_NS6detail17trampoline_kernelINS0_14default_configENS1_32segmented_reduce_config_selectorIfEEZNS1_21segmented_reduce_implIS3_PKfPfPKifN6hipcub16HIPCUB_304000_NS6detail27convert_result_type_wrapperIS8_S9_N2at6native12_GLOBAL__N_110CustomProdEEEEE10hipError_tPvRmT0_T1_jT2_SQ_T4_T3_P12ihipStream_tbEUlT_E_NS1_11comp_targetILNS1_3genE5ELNS1_11target_archE942ELNS1_3gpuE9ELNS1_3repE0EEENS1_30default_config_static_selectorELNS0_4arch9wavefront6targetE1EEEvSP_
                                        ; -- End function
	.set _ZN7rocprim17ROCPRIM_400000_NS6detail17trampoline_kernelINS0_14default_configENS1_32segmented_reduce_config_selectorIfEEZNS1_21segmented_reduce_implIS3_PKfPfPKifN6hipcub16HIPCUB_304000_NS6detail27convert_result_type_wrapperIS8_S9_N2at6native12_GLOBAL__N_110CustomProdEEEEE10hipError_tPvRmT0_T1_jT2_SQ_T4_T3_P12ihipStream_tbEUlT_E_NS1_11comp_targetILNS1_3genE5ELNS1_11target_archE942ELNS1_3gpuE9ELNS1_3repE0EEENS1_30default_config_static_selectorELNS0_4arch9wavefront6targetE1EEEvSP_.num_vgpr, 0
	.set _ZN7rocprim17ROCPRIM_400000_NS6detail17trampoline_kernelINS0_14default_configENS1_32segmented_reduce_config_selectorIfEEZNS1_21segmented_reduce_implIS3_PKfPfPKifN6hipcub16HIPCUB_304000_NS6detail27convert_result_type_wrapperIS8_S9_N2at6native12_GLOBAL__N_110CustomProdEEEEE10hipError_tPvRmT0_T1_jT2_SQ_T4_T3_P12ihipStream_tbEUlT_E_NS1_11comp_targetILNS1_3genE5ELNS1_11target_archE942ELNS1_3gpuE9ELNS1_3repE0EEENS1_30default_config_static_selectorELNS0_4arch9wavefront6targetE1EEEvSP_.num_agpr, 0
	.set _ZN7rocprim17ROCPRIM_400000_NS6detail17trampoline_kernelINS0_14default_configENS1_32segmented_reduce_config_selectorIfEEZNS1_21segmented_reduce_implIS3_PKfPfPKifN6hipcub16HIPCUB_304000_NS6detail27convert_result_type_wrapperIS8_S9_N2at6native12_GLOBAL__N_110CustomProdEEEEE10hipError_tPvRmT0_T1_jT2_SQ_T4_T3_P12ihipStream_tbEUlT_E_NS1_11comp_targetILNS1_3genE5ELNS1_11target_archE942ELNS1_3gpuE9ELNS1_3repE0EEENS1_30default_config_static_selectorELNS0_4arch9wavefront6targetE1EEEvSP_.numbered_sgpr, 0
	.set _ZN7rocprim17ROCPRIM_400000_NS6detail17trampoline_kernelINS0_14default_configENS1_32segmented_reduce_config_selectorIfEEZNS1_21segmented_reduce_implIS3_PKfPfPKifN6hipcub16HIPCUB_304000_NS6detail27convert_result_type_wrapperIS8_S9_N2at6native12_GLOBAL__N_110CustomProdEEEEE10hipError_tPvRmT0_T1_jT2_SQ_T4_T3_P12ihipStream_tbEUlT_E_NS1_11comp_targetILNS1_3genE5ELNS1_11target_archE942ELNS1_3gpuE9ELNS1_3repE0EEENS1_30default_config_static_selectorELNS0_4arch9wavefront6targetE1EEEvSP_.num_named_barrier, 0
	.set _ZN7rocprim17ROCPRIM_400000_NS6detail17trampoline_kernelINS0_14default_configENS1_32segmented_reduce_config_selectorIfEEZNS1_21segmented_reduce_implIS3_PKfPfPKifN6hipcub16HIPCUB_304000_NS6detail27convert_result_type_wrapperIS8_S9_N2at6native12_GLOBAL__N_110CustomProdEEEEE10hipError_tPvRmT0_T1_jT2_SQ_T4_T3_P12ihipStream_tbEUlT_E_NS1_11comp_targetILNS1_3genE5ELNS1_11target_archE942ELNS1_3gpuE9ELNS1_3repE0EEENS1_30default_config_static_selectorELNS0_4arch9wavefront6targetE1EEEvSP_.private_seg_size, 0
	.set _ZN7rocprim17ROCPRIM_400000_NS6detail17trampoline_kernelINS0_14default_configENS1_32segmented_reduce_config_selectorIfEEZNS1_21segmented_reduce_implIS3_PKfPfPKifN6hipcub16HIPCUB_304000_NS6detail27convert_result_type_wrapperIS8_S9_N2at6native12_GLOBAL__N_110CustomProdEEEEE10hipError_tPvRmT0_T1_jT2_SQ_T4_T3_P12ihipStream_tbEUlT_E_NS1_11comp_targetILNS1_3genE5ELNS1_11target_archE942ELNS1_3gpuE9ELNS1_3repE0EEENS1_30default_config_static_selectorELNS0_4arch9wavefront6targetE1EEEvSP_.uses_vcc, 0
	.set _ZN7rocprim17ROCPRIM_400000_NS6detail17trampoline_kernelINS0_14default_configENS1_32segmented_reduce_config_selectorIfEEZNS1_21segmented_reduce_implIS3_PKfPfPKifN6hipcub16HIPCUB_304000_NS6detail27convert_result_type_wrapperIS8_S9_N2at6native12_GLOBAL__N_110CustomProdEEEEE10hipError_tPvRmT0_T1_jT2_SQ_T4_T3_P12ihipStream_tbEUlT_E_NS1_11comp_targetILNS1_3genE5ELNS1_11target_archE942ELNS1_3gpuE9ELNS1_3repE0EEENS1_30default_config_static_selectorELNS0_4arch9wavefront6targetE1EEEvSP_.uses_flat_scratch, 0
	.set _ZN7rocprim17ROCPRIM_400000_NS6detail17trampoline_kernelINS0_14default_configENS1_32segmented_reduce_config_selectorIfEEZNS1_21segmented_reduce_implIS3_PKfPfPKifN6hipcub16HIPCUB_304000_NS6detail27convert_result_type_wrapperIS8_S9_N2at6native12_GLOBAL__N_110CustomProdEEEEE10hipError_tPvRmT0_T1_jT2_SQ_T4_T3_P12ihipStream_tbEUlT_E_NS1_11comp_targetILNS1_3genE5ELNS1_11target_archE942ELNS1_3gpuE9ELNS1_3repE0EEENS1_30default_config_static_selectorELNS0_4arch9wavefront6targetE1EEEvSP_.has_dyn_sized_stack, 0
	.set _ZN7rocprim17ROCPRIM_400000_NS6detail17trampoline_kernelINS0_14default_configENS1_32segmented_reduce_config_selectorIfEEZNS1_21segmented_reduce_implIS3_PKfPfPKifN6hipcub16HIPCUB_304000_NS6detail27convert_result_type_wrapperIS8_S9_N2at6native12_GLOBAL__N_110CustomProdEEEEE10hipError_tPvRmT0_T1_jT2_SQ_T4_T3_P12ihipStream_tbEUlT_E_NS1_11comp_targetILNS1_3genE5ELNS1_11target_archE942ELNS1_3gpuE9ELNS1_3repE0EEENS1_30default_config_static_selectorELNS0_4arch9wavefront6targetE1EEEvSP_.has_recursion, 0
	.set _ZN7rocprim17ROCPRIM_400000_NS6detail17trampoline_kernelINS0_14default_configENS1_32segmented_reduce_config_selectorIfEEZNS1_21segmented_reduce_implIS3_PKfPfPKifN6hipcub16HIPCUB_304000_NS6detail27convert_result_type_wrapperIS8_S9_N2at6native12_GLOBAL__N_110CustomProdEEEEE10hipError_tPvRmT0_T1_jT2_SQ_T4_T3_P12ihipStream_tbEUlT_E_NS1_11comp_targetILNS1_3genE5ELNS1_11target_archE942ELNS1_3gpuE9ELNS1_3repE0EEENS1_30default_config_static_selectorELNS0_4arch9wavefront6targetE1EEEvSP_.has_indirect_call, 0
	.section	.AMDGPU.csdata,"",@progbits
; Kernel info:
; codeLenInByte = 0
; TotalNumSgprs: 4
; NumVgprs: 0
; ScratchSize: 0
; MemoryBound: 0
; FloatMode: 240
; IeeeMode: 1
; LDSByteSize: 0 bytes/workgroup (compile time only)
; SGPRBlocks: 0
; VGPRBlocks: 0
; NumSGPRsForWavesPerEU: 4
; NumVGPRsForWavesPerEU: 1
; Occupancy: 10
; WaveLimiterHint : 0
; COMPUTE_PGM_RSRC2:SCRATCH_EN: 0
; COMPUTE_PGM_RSRC2:USER_SGPR: 6
; COMPUTE_PGM_RSRC2:TRAP_HANDLER: 0
; COMPUTE_PGM_RSRC2:TGID_X_EN: 1
; COMPUTE_PGM_RSRC2:TGID_Y_EN: 0
; COMPUTE_PGM_RSRC2:TGID_Z_EN: 0
; COMPUTE_PGM_RSRC2:TIDIG_COMP_CNT: 0
	.section	.text._ZN7rocprim17ROCPRIM_400000_NS6detail17trampoline_kernelINS0_14default_configENS1_32segmented_reduce_config_selectorIfEEZNS1_21segmented_reduce_implIS3_PKfPfPKifN6hipcub16HIPCUB_304000_NS6detail27convert_result_type_wrapperIS8_S9_N2at6native12_GLOBAL__N_110CustomProdEEEEE10hipError_tPvRmT0_T1_jT2_SQ_T4_T3_P12ihipStream_tbEUlT_E_NS1_11comp_targetILNS1_3genE10ELNS1_11target_archE1201ELNS1_3gpuE5ELNS1_3repE0EEENS1_30default_config_static_selectorELNS0_4arch9wavefront6targetE1EEEvSP_,"axG",@progbits,_ZN7rocprim17ROCPRIM_400000_NS6detail17trampoline_kernelINS0_14default_configENS1_32segmented_reduce_config_selectorIfEEZNS1_21segmented_reduce_implIS3_PKfPfPKifN6hipcub16HIPCUB_304000_NS6detail27convert_result_type_wrapperIS8_S9_N2at6native12_GLOBAL__N_110CustomProdEEEEE10hipError_tPvRmT0_T1_jT2_SQ_T4_T3_P12ihipStream_tbEUlT_E_NS1_11comp_targetILNS1_3genE10ELNS1_11target_archE1201ELNS1_3gpuE5ELNS1_3repE0EEENS1_30default_config_static_selectorELNS0_4arch9wavefront6targetE1EEEvSP_,comdat
	.globl	_ZN7rocprim17ROCPRIM_400000_NS6detail17trampoline_kernelINS0_14default_configENS1_32segmented_reduce_config_selectorIfEEZNS1_21segmented_reduce_implIS3_PKfPfPKifN6hipcub16HIPCUB_304000_NS6detail27convert_result_type_wrapperIS8_S9_N2at6native12_GLOBAL__N_110CustomProdEEEEE10hipError_tPvRmT0_T1_jT2_SQ_T4_T3_P12ihipStream_tbEUlT_E_NS1_11comp_targetILNS1_3genE10ELNS1_11target_archE1201ELNS1_3gpuE5ELNS1_3repE0EEENS1_30default_config_static_selectorELNS0_4arch9wavefront6targetE1EEEvSP_ ; -- Begin function _ZN7rocprim17ROCPRIM_400000_NS6detail17trampoline_kernelINS0_14default_configENS1_32segmented_reduce_config_selectorIfEEZNS1_21segmented_reduce_implIS3_PKfPfPKifN6hipcub16HIPCUB_304000_NS6detail27convert_result_type_wrapperIS8_S9_N2at6native12_GLOBAL__N_110CustomProdEEEEE10hipError_tPvRmT0_T1_jT2_SQ_T4_T3_P12ihipStream_tbEUlT_E_NS1_11comp_targetILNS1_3genE10ELNS1_11target_archE1201ELNS1_3gpuE5ELNS1_3repE0EEENS1_30default_config_static_selectorELNS0_4arch9wavefront6targetE1EEEvSP_
	.p2align	8
	.type	_ZN7rocprim17ROCPRIM_400000_NS6detail17trampoline_kernelINS0_14default_configENS1_32segmented_reduce_config_selectorIfEEZNS1_21segmented_reduce_implIS3_PKfPfPKifN6hipcub16HIPCUB_304000_NS6detail27convert_result_type_wrapperIS8_S9_N2at6native12_GLOBAL__N_110CustomProdEEEEE10hipError_tPvRmT0_T1_jT2_SQ_T4_T3_P12ihipStream_tbEUlT_E_NS1_11comp_targetILNS1_3genE10ELNS1_11target_archE1201ELNS1_3gpuE5ELNS1_3repE0EEENS1_30default_config_static_selectorELNS0_4arch9wavefront6targetE1EEEvSP_,@function
_ZN7rocprim17ROCPRIM_400000_NS6detail17trampoline_kernelINS0_14default_configENS1_32segmented_reduce_config_selectorIfEEZNS1_21segmented_reduce_implIS3_PKfPfPKifN6hipcub16HIPCUB_304000_NS6detail27convert_result_type_wrapperIS8_S9_N2at6native12_GLOBAL__N_110CustomProdEEEEE10hipError_tPvRmT0_T1_jT2_SQ_T4_T3_P12ihipStream_tbEUlT_E_NS1_11comp_targetILNS1_3genE10ELNS1_11target_archE1201ELNS1_3gpuE5ELNS1_3repE0EEENS1_30default_config_static_selectorELNS0_4arch9wavefront6targetE1EEEvSP_: ; @_ZN7rocprim17ROCPRIM_400000_NS6detail17trampoline_kernelINS0_14default_configENS1_32segmented_reduce_config_selectorIfEEZNS1_21segmented_reduce_implIS3_PKfPfPKifN6hipcub16HIPCUB_304000_NS6detail27convert_result_type_wrapperIS8_S9_N2at6native12_GLOBAL__N_110CustomProdEEEEE10hipError_tPvRmT0_T1_jT2_SQ_T4_T3_P12ihipStream_tbEUlT_E_NS1_11comp_targetILNS1_3genE10ELNS1_11target_archE1201ELNS1_3gpuE5ELNS1_3repE0EEENS1_30default_config_static_selectorELNS0_4arch9wavefront6targetE1EEEvSP_
; %bb.0:
	.section	.rodata,"a",@progbits
	.p2align	6, 0x0
	.amdhsa_kernel _ZN7rocprim17ROCPRIM_400000_NS6detail17trampoline_kernelINS0_14default_configENS1_32segmented_reduce_config_selectorIfEEZNS1_21segmented_reduce_implIS3_PKfPfPKifN6hipcub16HIPCUB_304000_NS6detail27convert_result_type_wrapperIS8_S9_N2at6native12_GLOBAL__N_110CustomProdEEEEE10hipError_tPvRmT0_T1_jT2_SQ_T4_T3_P12ihipStream_tbEUlT_E_NS1_11comp_targetILNS1_3genE10ELNS1_11target_archE1201ELNS1_3gpuE5ELNS1_3repE0EEENS1_30default_config_static_selectorELNS0_4arch9wavefront6targetE1EEEvSP_
		.amdhsa_group_segment_fixed_size 0
		.amdhsa_private_segment_fixed_size 0
		.amdhsa_kernarg_size 48
		.amdhsa_user_sgpr_count 6
		.amdhsa_user_sgpr_private_segment_buffer 1
		.amdhsa_user_sgpr_dispatch_ptr 0
		.amdhsa_user_sgpr_queue_ptr 0
		.amdhsa_user_sgpr_kernarg_segment_ptr 1
		.amdhsa_user_sgpr_dispatch_id 0
		.amdhsa_user_sgpr_flat_scratch_init 0
		.amdhsa_user_sgpr_private_segment_size 0
		.amdhsa_uses_dynamic_stack 0
		.amdhsa_system_sgpr_private_segment_wavefront_offset 0
		.amdhsa_system_sgpr_workgroup_id_x 1
		.amdhsa_system_sgpr_workgroup_id_y 0
		.amdhsa_system_sgpr_workgroup_id_z 0
		.amdhsa_system_sgpr_workgroup_info 0
		.amdhsa_system_vgpr_workitem_id 0
		.amdhsa_next_free_vgpr 1
		.amdhsa_next_free_sgpr 0
		.amdhsa_reserve_vcc 0
		.amdhsa_reserve_flat_scratch 0
		.amdhsa_float_round_mode_32 0
		.amdhsa_float_round_mode_16_64 0
		.amdhsa_float_denorm_mode_32 3
		.amdhsa_float_denorm_mode_16_64 3
		.amdhsa_dx10_clamp 1
		.amdhsa_ieee_mode 1
		.amdhsa_fp16_overflow 0
		.amdhsa_exception_fp_ieee_invalid_op 0
		.amdhsa_exception_fp_denorm_src 0
		.amdhsa_exception_fp_ieee_div_zero 0
		.amdhsa_exception_fp_ieee_overflow 0
		.amdhsa_exception_fp_ieee_underflow 0
		.amdhsa_exception_fp_ieee_inexact 0
		.amdhsa_exception_int_div_zero 0
	.end_amdhsa_kernel
	.section	.text._ZN7rocprim17ROCPRIM_400000_NS6detail17trampoline_kernelINS0_14default_configENS1_32segmented_reduce_config_selectorIfEEZNS1_21segmented_reduce_implIS3_PKfPfPKifN6hipcub16HIPCUB_304000_NS6detail27convert_result_type_wrapperIS8_S9_N2at6native12_GLOBAL__N_110CustomProdEEEEE10hipError_tPvRmT0_T1_jT2_SQ_T4_T3_P12ihipStream_tbEUlT_E_NS1_11comp_targetILNS1_3genE10ELNS1_11target_archE1201ELNS1_3gpuE5ELNS1_3repE0EEENS1_30default_config_static_selectorELNS0_4arch9wavefront6targetE1EEEvSP_,"axG",@progbits,_ZN7rocprim17ROCPRIM_400000_NS6detail17trampoline_kernelINS0_14default_configENS1_32segmented_reduce_config_selectorIfEEZNS1_21segmented_reduce_implIS3_PKfPfPKifN6hipcub16HIPCUB_304000_NS6detail27convert_result_type_wrapperIS8_S9_N2at6native12_GLOBAL__N_110CustomProdEEEEE10hipError_tPvRmT0_T1_jT2_SQ_T4_T3_P12ihipStream_tbEUlT_E_NS1_11comp_targetILNS1_3genE10ELNS1_11target_archE1201ELNS1_3gpuE5ELNS1_3repE0EEENS1_30default_config_static_selectorELNS0_4arch9wavefront6targetE1EEEvSP_,comdat
.Lfunc_end70:
	.size	_ZN7rocprim17ROCPRIM_400000_NS6detail17trampoline_kernelINS0_14default_configENS1_32segmented_reduce_config_selectorIfEEZNS1_21segmented_reduce_implIS3_PKfPfPKifN6hipcub16HIPCUB_304000_NS6detail27convert_result_type_wrapperIS8_S9_N2at6native12_GLOBAL__N_110CustomProdEEEEE10hipError_tPvRmT0_T1_jT2_SQ_T4_T3_P12ihipStream_tbEUlT_E_NS1_11comp_targetILNS1_3genE10ELNS1_11target_archE1201ELNS1_3gpuE5ELNS1_3repE0EEENS1_30default_config_static_selectorELNS0_4arch9wavefront6targetE1EEEvSP_, .Lfunc_end70-_ZN7rocprim17ROCPRIM_400000_NS6detail17trampoline_kernelINS0_14default_configENS1_32segmented_reduce_config_selectorIfEEZNS1_21segmented_reduce_implIS3_PKfPfPKifN6hipcub16HIPCUB_304000_NS6detail27convert_result_type_wrapperIS8_S9_N2at6native12_GLOBAL__N_110CustomProdEEEEE10hipError_tPvRmT0_T1_jT2_SQ_T4_T3_P12ihipStream_tbEUlT_E_NS1_11comp_targetILNS1_3genE10ELNS1_11target_archE1201ELNS1_3gpuE5ELNS1_3repE0EEENS1_30default_config_static_selectorELNS0_4arch9wavefront6targetE1EEEvSP_
                                        ; -- End function
	.set _ZN7rocprim17ROCPRIM_400000_NS6detail17trampoline_kernelINS0_14default_configENS1_32segmented_reduce_config_selectorIfEEZNS1_21segmented_reduce_implIS3_PKfPfPKifN6hipcub16HIPCUB_304000_NS6detail27convert_result_type_wrapperIS8_S9_N2at6native12_GLOBAL__N_110CustomProdEEEEE10hipError_tPvRmT0_T1_jT2_SQ_T4_T3_P12ihipStream_tbEUlT_E_NS1_11comp_targetILNS1_3genE10ELNS1_11target_archE1201ELNS1_3gpuE5ELNS1_3repE0EEENS1_30default_config_static_selectorELNS0_4arch9wavefront6targetE1EEEvSP_.num_vgpr, 0
	.set _ZN7rocprim17ROCPRIM_400000_NS6detail17trampoline_kernelINS0_14default_configENS1_32segmented_reduce_config_selectorIfEEZNS1_21segmented_reduce_implIS3_PKfPfPKifN6hipcub16HIPCUB_304000_NS6detail27convert_result_type_wrapperIS8_S9_N2at6native12_GLOBAL__N_110CustomProdEEEEE10hipError_tPvRmT0_T1_jT2_SQ_T4_T3_P12ihipStream_tbEUlT_E_NS1_11comp_targetILNS1_3genE10ELNS1_11target_archE1201ELNS1_3gpuE5ELNS1_3repE0EEENS1_30default_config_static_selectorELNS0_4arch9wavefront6targetE1EEEvSP_.num_agpr, 0
	.set _ZN7rocprim17ROCPRIM_400000_NS6detail17trampoline_kernelINS0_14default_configENS1_32segmented_reduce_config_selectorIfEEZNS1_21segmented_reduce_implIS3_PKfPfPKifN6hipcub16HIPCUB_304000_NS6detail27convert_result_type_wrapperIS8_S9_N2at6native12_GLOBAL__N_110CustomProdEEEEE10hipError_tPvRmT0_T1_jT2_SQ_T4_T3_P12ihipStream_tbEUlT_E_NS1_11comp_targetILNS1_3genE10ELNS1_11target_archE1201ELNS1_3gpuE5ELNS1_3repE0EEENS1_30default_config_static_selectorELNS0_4arch9wavefront6targetE1EEEvSP_.numbered_sgpr, 0
	.set _ZN7rocprim17ROCPRIM_400000_NS6detail17trampoline_kernelINS0_14default_configENS1_32segmented_reduce_config_selectorIfEEZNS1_21segmented_reduce_implIS3_PKfPfPKifN6hipcub16HIPCUB_304000_NS6detail27convert_result_type_wrapperIS8_S9_N2at6native12_GLOBAL__N_110CustomProdEEEEE10hipError_tPvRmT0_T1_jT2_SQ_T4_T3_P12ihipStream_tbEUlT_E_NS1_11comp_targetILNS1_3genE10ELNS1_11target_archE1201ELNS1_3gpuE5ELNS1_3repE0EEENS1_30default_config_static_selectorELNS0_4arch9wavefront6targetE1EEEvSP_.num_named_barrier, 0
	.set _ZN7rocprim17ROCPRIM_400000_NS6detail17trampoline_kernelINS0_14default_configENS1_32segmented_reduce_config_selectorIfEEZNS1_21segmented_reduce_implIS3_PKfPfPKifN6hipcub16HIPCUB_304000_NS6detail27convert_result_type_wrapperIS8_S9_N2at6native12_GLOBAL__N_110CustomProdEEEEE10hipError_tPvRmT0_T1_jT2_SQ_T4_T3_P12ihipStream_tbEUlT_E_NS1_11comp_targetILNS1_3genE10ELNS1_11target_archE1201ELNS1_3gpuE5ELNS1_3repE0EEENS1_30default_config_static_selectorELNS0_4arch9wavefront6targetE1EEEvSP_.private_seg_size, 0
	.set _ZN7rocprim17ROCPRIM_400000_NS6detail17trampoline_kernelINS0_14default_configENS1_32segmented_reduce_config_selectorIfEEZNS1_21segmented_reduce_implIS3_PKfPfPKifN6hipcub16HIPCUB_304000_NS6detail27convert_result_type_wrapperIS8_S9_N2at6native12_GLOBAL__N_110CustomProdEEEEE10hipError_tPvRmT0_T1_jT2_SQ_T4_T3_P12ihipStream_tbEUlT_E_NS1_11comp_targetILNS1_3genE10ELNS1_11target_archE1201ELNS1_3gpuE5ELNS1_3repE0EEENS1_30default_config_static_selectorELNS0_4arch9wavefront6targetE1EEEvSP_.uses_vcc, 0
	.set _ZN7rocprim17ROCPRIM_400000_NS6detail17trampoline_kernelINS0_14default_configENS1_32segmented_reduce_config_selectorIfEEZNS1_21segmented_reduce_implIS3_PKfPfPKifN6hipcub16HIPCUB_304000_NS6detail27convert_result_type_wrapperIS8_S9_N2at6native12_GLOBAL__N_110CustomProdEEEEE10hipError_tPvRmT0_T1_jT2_SQ_T4_T3_P12ihipStream_tbEUlT_E_NS1_11comp_targetILNS1_3genE10ELNS1_11target_archE1201ELNS1_3gpuE5ELNS1_3repE0EEENS1_30default_config_static_selectorELNS0_4arch9wavefront6targetE1EEEvSP_.uses_flat_scratch, 0
	.set _ZN7rocprim17ROCPRIM_400000_NS6detail17trampoline_kernelINS0_14default_configENS1_32segmented_reduce_config_selectorIfEEZNS1_21segmented_reduce_implIS3_PKfPfPKifN6hipcub16HIPCUB_304000_NS6detail27convert_result_type_wrapperIS8_S9_N2at6native12_GLOBAL__N_110CustomProdEEEEE10hipError_tPvRmT0_T1_jT2_SQ_T4_T3_P12ihipStream_tbEUlT_E_NS1_11comp_targetILNS1_3genE10ELNS1_11target_archE1201ELNS1_3gpuE5ELNS1_3repE0EEENS1_30default_config_static_selectorELNS0_4arch9wavefront6targetE1EEEvSP_.has_dyn_sized_stack, 0
	.set _ZN7rocprim17ROCPRIM_400000_NS6detail17trampoline_kernelINS0_14default_configENS1_32segmented_reduce_config_selectorIfEEZNS1_21segmented_reduce_implIS3_PKfPfPKifN6hipcub16HIPCUB_304000_NS6detail27convert_result_type_wrapperIS8_S9_N2at6native12_GLOBAL__N_110CustomProdEEEEE10hipError_tPvRmT0_T1_jT2_SQ_T4_T3_P12ihipStream_tbEUlT_E_NS1_11comp_targetILNS1_3genE10ELNS1_11target_archE1201ELNS1_3gpuE5ELNS1_3repE0EEENS1_30default_config_static_selectorELNS0_4arch9wavefront6targetE1EEEvSP_.has_recursion, 0
	.set _ZN7rocprim17ROCPRIM_400000_NS6detail17trampoline_kernelINS0_14default_configENS1_32segmented_reduce_config_selectorIfEEZNS1_21segmented_reduce_implIS3_PKfPfPKifN6hipcub16HIPCUB_304000_NS6detail27convert_result_type_wrapperIS8_S9_N2at6native12_GLOBAL__N_110CustomProdEEEEE10hipError_tPvRmT0_T1_jT2_SQ_T4_T3_P12ihipStream_tbEUlT_E_NS1_11comp_targetILNS1_3genE10ELNS1_11target_archE1201ELNS1_3gpuE5ELNS1_3repE0EEENS1_30default_config_static_selectorELNS0_4arch9wavefront6targetE1EEEvSP_.has_indirect_call, 0
	.section	.AMDGPU.csdata,"",@progbits
; Kernel info:
; codeLenInByte = 0
; TotalNumSgprs: 4
; NumVgprs: 0
; ScratchSize: 0
; MemoryBound: 0
; FloatMode: 240
; IeeeMode: 1
; LDSByteSize: 0 bytes/workgroup (compile time only)
; SGPRBlocks: 0
; VGPRBlocks: 0
; NumSGPRsForWavesPerEU: 4
; NumVGPRsForWavesPerEU: 1
; Occupancy: 10
; WaveLimiterHint : 0
; COMPUTE_PGM_RSRC2:SCRATCH_EN: 0
; COMPUTE_PGM_RSRC2:USER_SGPR: 6
; COMPUTE_PGM_RSRC2:TRAP_HANDLER: 0
; COMPUTE_PGM_RSRC2:TGID_X_EN: 1
; COMPUTE_PGM_RSRC2:TGID_Y_EN: 0
; COMPUTE_PGM_RSRC2:TGID_Z_EN: 0
; COMPUTE_PGM_RSRC2:TIDIG_COMP_CNT: 0
	.section	.text._ZN7rocprim17ROCPRIM_400000_NS6detail17trampoline_kernelINS0_14default_configENS1_32segmented_reduce_config_selectorIfEEZNS1_21segmented_reduce_implIS3_PKfPfPKifN6hipcub16HIPCUB_304000_NS6detail27convert_result_type_wrapperIS8_S9_N2at6native12_GLOBAL__N_110CustomProdEEEEE10hipError_tPvRmT0_T1_jT2_SQ_T4_T3_P12ihipStream_tbEUlT_E_NS1_11comp_targetILNS1_3genE4ELNS1_11target_archE910ELNS1_3gpuE8ELNS1_3repE0EEENS1_30default_config_static_selectorELNS0_4arch9wavefront6targetE1EEEvSP_,"axG",@progbits,_ZN7rocprim17ROCPRIM_400000_NS6detail17trampoline_kernelINS0_14default_configENS1_32segmented_reduce_config_selectorIfEEZNS1_21segmented_reduce_implIS3_PKfPfPKifN6hipcub16HIPCUB_304000_NS6detail27convert_result_type_wrapperIS8_S9_N2at6native12_GLOBAL__N_110CustomProdEEEEE10hipError_tPvRmT0_T1_jT2_SQ_T4_T3_P12ihipStream_tbEUlT_E_NS1_11comp_targetILNS1_3genE4ELNS1_11target_archE910ELNS1_3gpuE8ELNS1_3repE0EEENS1_30default_config_static_selectorELNS0_4arch9wavefront6targetE1EEEvSP_,comdat
	.globl	_ZN7rocprim17ROCPRIM_400000_NS6detail17trampoline_kernelINS0_14default_configENS1_32segmented_reduce_config_selectorIfEEZNS1_21segmented_reduce_implIS3_PKfPfPKifN6hipcub16HIPCUB_304000_NS6detail27convert_result_type_wrapperIS8_S9_N2at6native12_GLOBAL__N_110CustomProdEEEEE10hipError_tPvRmT0_T1_jT2_SQ_T4_T3_P12ihipStream_tbEUlT_E_NS1_11comp_targetILNS1_3genE4ELNS1_11target_archE910ELNS1_3gpuE8ELNS1_3repE0EEENS1_30default_config_static_selectorELNS0_4arch9wavefront6targetE1EEEvSP_ ; -- Begin function _ZN7rocprim17ROCPRIM_400000_NS6detail17trampoline_kernelINS0_14default_configENS1_32segmented_reduce_config_selectorIfEEZNS1_21segmented_reduce_implIS3_PKfPfPKifN6hipcub16HIPCUB_304000_NS6detail27convert_result_type_wrapperIS8_S9_N2at6native12_GLOBAL__N_110CustomProdEEEEE10hipError_tPvRmT0_T1_jT2_SQ_T4_T3_P12ihipStream_tbEUlT_E_NS1_11comp_targetILNS1_3genE4ELNS1_11target_archE910ELNS1_3gpuE8ELNS1_3repE0EEENS1_30default_config_static_selectorELNS0_4arch9wavefront6targetE1EEEvSP_
	.p2align	8
	.type	_ZN7rocprim17ROCPRIM_400000_NS6detail17trampoline_kernelINS0_14default_configENS1_32segmented_reduce_config_selectorIfEEZNS1_21segmented_reduce_implIS3_PKfPfPKifN6hipcub16HIPCUB_304000_NS6detail27convert_result_type_wrapperIS8_S9_N2at6native12_GLOBAL__N_110CustomProdEEEEE10hipError_tPvRmT0_T1_jT2_SQ_T4_T3_P12ihipStream_tbEUlT_E_NS1_11comp_targetILNS1_3genE4ELNS1_11target_archE910ELNS1_3gpuE8ELNS1_3repE0EEENS1_30default_config_static_selectorELNS0_4arch9wavefront6targetE1EEEvSP_,@function
_ZN7rocprim17ROCPRIM_400000_NS6detail17trampoline_kernelINS0_14default_configENS1_32segmented_reduce_config_selectorIfEEZNS1_21segmented_reduce_implIS3_PKfPfPKifN6hipcub16HIPCUB_304000_NS6detail27convert_result_type_wrapperIS8_S9_N2at6native12_GLOBAL__N_110CustomProdEEEEE10hipError_tPvRmT0_T1_jT2_SQ_T4_T3_P12ihipStream_tbEUlT_E_NS1_11comp_targetILNS1_3genE4ELNS1_11target_archE910ELNS1_3gpuE8ELNS1_3repE0EEENS1_30default_config_static_selectorELNS0_4arch9wavefront6targetE1EEEvSP_: ; @_ZN7rocprim17ROCPRIM_400000_NS6detail17trampoline_kernelINS0_14default_configENS1_32segmented_reduce_config_selectorIfEEZNS1_21segmented_reduce_implIS3_PKfPfPKifN6hipcub16HIPCUB_304000_NS6detail27convert_result_type_wrapperIS8_S9_N2at6native12_GLOBAL__N_110CustomProdEEEEE10hipError_tPvRmT0_T1_jT2_SQ_T4_T3_P12ihipStream_tbEUlT_E_NS1_11comp_targetILNS1_3genE4ELNS1_11target_archE910ELNS1_3gpuE8ELNS1_3repE0EEENS1_30default_config_static_selectorELNS0_4arch9wavefront6targetE1EEEvSP_
; %bb.0:
	.section	.rodata,"a",@progbits
	.p2align	6, 0x0
	.amdhsa_kernel _ZN7rocprim17ROCPRIM_400000_NS6detail17trampoline_kernelINS0_14default_configENS1_32segmented_reduce_config_selectorIfEEZNS1_21segmented_reduce_implIS3_PKfPfPKifN6hipcub16HIPCUB_304000_NS6detail27convert_result_type_wrapperIS8_S9_N2at6native12_GLOBAL__N_110CustomProdEEEEE10hipError_tPvRmT0_T1_jT2_SQ_T4_T3_P12ihipStream_tbEUlT_E_NS1_11comp_targetILNS1_3genE4ELNS1_11target_archE910ELNS1_3gpuE8ELNS1_3repE0EEENS1_30default_config_static_selectorELNS0_4arch9wavefront6targetE1EEEvSP_
		.amdhsa_group_segment_fixed_size 0
		.amdhsa_private_segment_fixed_size 0
		.amdhsa_kernarg_size 48
		.amdhsa_user_sgpr_count 6
		.amdhsa_user_sgpr_private_segment_buffer 1
		.amdhsa_user_sgpr_dispatch_ptr 0
		.amdhsa_user_sgpr_queue_ptr 0
		.amdhsa_user_sgpr_kernarg_segment_ptr 1
		.amdhsa_user_sgpr_dispatch_id 0
		.amdhsa_user_sgpr_flat_scratch_init 0
		.amdhsa_user_sgpr_private_segment_size 0
		.amdhsa_uses_dynamic_stack 0
		.amdhsa_system_sgpr_private_segment_wavefront_offset 0
		.amdhsa_system_sgpr_workgroup_id_x 1
		.amdhsa_system_sgpr_workgroup_id_y 0
		.amdhsa_system_sgpr_workgroup_id_z 0
		.amdhsa_system_sgpr_workgroup_info 0
		.amdhsa_system_vgpr_workitem_id 0
		.amdhsa_next_free_vgpr 1
		.amdhsa_next_free_sgpr 0
		.amdhsa_reserve_vcc 0
		.amdhsa_reserve_flat_scratch 0
		.amdhsa_float_round_mode_32 0
		.amdhsa_float_round_mode_16_64 0
		.amdhsa_float_denorm_mode_32 3
		.amdhsa_float_denorm_mode_16_64 3
		.amdhsa_dx10_clamp 1
		.amdhsa_ieee_mode 1
		.amdhsa_fp16_overflow 0
		.amdhsa_exception_fp_ieee_invalid_op 0
		.amdhsa_exception_fp_denorm_src 0
		.amdhsa_exception_fp_ieee_div_zero 0
		.amdhsa_exception_fp_ieee_overflow 0
		.amdhsa_exception_fp_ieee_underflow 0
		.amdhsa_exception_fp_ieee_inexact 0
		.amdhsa_exception_int_div_zero 0
	.end_amdhsa_kernel
	.section	.text._ZN7rocprim17ROCPRIM_400000_NS6detail17trampoline_kernelINS0_14default_configENS1_32segmented_reduce_config_selectorIfEEZNS1_21segmented_reduce_implIS3_PKfPfPKifN6hipcub16HIPCUB_304000_NS6detail27convert_result_type_wrapperIS8_S9_N2at6native12_GLOBAL__N_110CustomProdEEEEE10hipError_tPvRmT0_T1_jT2_SQ_T4_T3_P12ihipStream_tbEUlT_E_NS1_11comp_targetILNS1_3genE4ELNS1_11target_archE910ELNS1_3gpuE8ELNS1_3repE0EEENS1_30default_config_static_selectorELNS0_4arch9wavefront6targetE1EEEvSP_,"axG",@progbits,_ZN7rocprim17ROCPRIM_400000_NS6detail17trampoline_kernelINS0_14default_configENS1_32segmented_reduce_config_selectorIfEEZNS1_21segmented_reduce_implIS3_PKfPfPKifN6hipcub16HIPCUB_304000_NS6detail27convert_result_type_wrapperIS8_S9_N2at6native12_GLOBAL__N_110CustomProdEEEEE10hipError_tPvRmT0_T1_jT2_SQ_T4_T3_P12ihipStream_tbEUlT_E_NS1_11comp_targetILNS1_3genE4ELNS1_11target_archE910ELNS1_3gpuE8ELNS1_3repE0EEENS1_30default_config_static_selectorELNS0_4arch9wavefront6targetE1EEEvSP_,comdat
.Lfunc_end71:
	.size	_ZN7rocprim17ROCPRIM_400000_NS6detail17trampoline_kernelINS0_14default_configENS1_32segmented_reduce_config_selectorIfEEZNS1_21segmented_reduce_implIS3_PKfPfPKifN6hipcub16HIPCUB_304000_NS6detail27convert_result_type_wrapperIS8_S9_N2at6native12_GLOBAL__N_110CustomProdEEEEE10hipError_tPvRmT0_T1_jT2_SQ_T4_T3_P12ihipStream_tbEUlT_E_NS1_11comp_targetILNS1_3genE4ELNS1_11target_archE910ELNS1_3gpuE8ELNS1_3repE0EEENS1_30default_config_static_selectorELNS0_4arch9wavefront6targetE1EEEvSP_, .Lfunc_end71-_ZN7rocprim17ROCPRIM_400000_NS6detail17trampoline_kernelINS0_14default_configENS1_32segmented_reduce_config_selectorIfEEZNS1_21segmented_reduce_implIS3_PKfPfPKifN6hipcub16HIPCUB_304000_NS6detail27convert_result_type_wrapperIS8_S9_N2at6native12_GLOBAL__N_110CustomProdEEEEE10hipError_tPvRmT0_T1_jT2_SQ_T4_T3_P12ihipStream_tbEUlT_E_NS1_11comp_targetILNS1_3genE4ELNS1_11target_archE910ELNS1_3gpuE8ELNS1_3repE0EEENS1_30default_config_static_selectorELNS0_4arch9wavefront6targetE1EEEvSP_
                                        ; -- End function
	.set _ZN7rocprim17ROCPRIM_400000_NS6detail17trampoline_kernelINS0_14default_configENS1_32segmented_reduce_config_selectorIfEEZNS1_21segmented_reduce_implIS3_PKfPfPKifN6hipcub16HIPCUB_304000_NS6detail27convert_result_type_wrapperIS8_S9_N2at6native12_GLOBAL__N_110CustomProdEEEEE10hipError_tPvRmT0_T1_jT2_SQ_T4_T3_P12ihipStream_tbEUlT_E_NS1_11comp_targetILNS1_3genE4ELNS1_11target_archE910ELNS1_3gpuE8ELNS1_3repE0EEENS1_30default_config_static_selectorELNS0_4arch9wavefront6targetE1EEEvSP_.num_vgpr, 0
	.set _ZN7rocprim17ROCPRIM_400000_NS6detail17trampoline_kernelINS0_14default_configENS1_32segmented_reduce_config_selectorIfEEZNS1_21segmented_reduce_implIS3_PKfPfPKifN6hipcub16HIPCUB_304000_NS6detail27convert_result_type_wrapperIS8_S9_N2at6native12_GLOBAL__N_110CustomProdEEEEE10hipError_tPvRmT0_T1_jT2_SQ_T4_T3_P12ihipStream_tbEUlT_E_NS1_11comp_targetILNS1_3genE4ELNS1_11target_archE910ELNS1_3gpuE8ELNS1_3repE0EEENS1_30default_config_static_selectorELNS0_4arch9wavefront6targetE1EEEvSP_.num_agpr, 0
	.set _ZN7rocprim17ROCPRIM_400000_NS6detail17trampoline_kernelINS0_14default_configENS1_32segmented_reduce_config_selectorIfEEZNS1_21segmented_reduce_implIS3_PKfPfPKifN6hipcub16HIPCUB_304000_NS6detail27convert_result_type_wrapperIS8_S9_N2at6native12_GLOBAL__N_110CustomProdEEEEE10hipError_tPvRmT0_T1_jT2_SQ_T4_T3_P12ihipStream_tbEUlT_E_NS1_11comp_targetILNS1_3genE4ELNS1_11target_archE910ELNS1_3gpuE8ELNS1_3repE0EEENS1_30default_config_static_selectorELNS0_4arch9wavefront6targetE1EEEvSP_.numbered_sgpr, 0
	.set _ZN7rocprim17ROCPRIM_400000_NS6detail17trampoline_kernelINS0_14default_configENS1_32segmented_reduce_config_selectorIfEEZNS1_21segmented_reduce_implIS3_PKfPfPKifN6hipcub16HIPCUB_304000_NS6detail27convert_result_type_wrapperIS8_S9_N2at6native12_GLOBAL__N_110CustomProdEEEEE10hipError_tPvRmT0_T1_jT2_SQ_T4_T3_P12ihipStream_tbEUlT_E_NS1_11comp_targetILNS1_3genE4ELNS1_11target_archE910ELNS1_3gpuE8ELNS1_3repE0EEENS1_30default_config_static_selectorELNS0_4arch9wavefront6targetE1EEEvSP_.num_named_barrier, 0
	.set _ZN7rocprim17ROCPRIM_400000_NS6detail17trampoline_kernelINS0_14default_configENS1_32segmented_reduce_config_selectorIfEEZNS1_21segmented_reduce_implIS3_PKfPfPKifN6hipcub16HIPCUB_304000_NS6detail27convert_result_type_wrapperIS8_S9_N2at6native12_GLOBAL__N_110CustomProdEEEEE10hipError_tPvRmT0_T1_jT2_SQ_T4_T3_P12ihipStream_tbEUlT_E_NS1_11comp_targetILNS1_3genE4ELNS1_11target_archE910ELNS1_3gpuE8ELNS1_3repE0EEENS1_30default_config_static_selectorELNS0_4arch9wavefront6targetE1EEEvSP_.private_seg_size, 0
	.set _ZN7rocprim17ROCPRIM_400000_NS6detail17trampoline_kernelINS0_14default_configENS1_32segmented_reduce_config_selectorIfEEZNS1_21segmented_reduce_implIS3_PKfPfPKifN6hipcub16HIPCUB_304000_NS6detail27convert_result_type_wrapperIS8_S9_N2at6native12_GLOBAL__N_110CustomProdEEEEE10hipError_tPvRmT0_T1_jT2_SQ_T4_T3_P12ihipStream_tbEUlT_E_NS1_11comp_targetILNS1_3genE4ELNS1_11target_archE910ELNS1_3gpuE8ELNS1_3repE0EEENS1_30default_config_static_selectorELNS0_4arch9wavefront6targetE1EEEvSP_.uses_vcc, 0
	.set _ZN7rocprim17ROCPRIM_400000_NS6detail17trampoline_kernelINS0_14default_configENS1_32segmented_reduce_config_selectorIfEEZNS1_21segmented_reduce_implIS3_PKfPfPKifN6hipcub16HIPCUB_304000_NS6detail27convert_result_type_wrapperIS8_S9_N2at6native12_GLOBAL__N_110CustomProdEEEEE10hipError_tPvRmT0_T1_jT2_SQ_T4_T3_P12ihipStream_tbEUlT_E_NS1_11comp_targetILNS1_3genE4ELNS1_11target_archE910ELNS1_3gpuE8ELNS1_3repE0EEENS1_30default_config_static_selectorELNS0_4arch9wavefront6targetE1EEEvSP_.uses_flat_scratch, 0
	.set _ZN7rocprim17ROCPRIM_400000_NS6detail17trampoline_kernelINS0_14default_configENS1_32segmented_reduce_config_selectorIfEEZNS1_21segmented_reduce_implIS3_PKfPfPKifN6hipcub16HIPCUB_304000_NS6detail27convert_result_type_wrapperIS8_S9_N2at6native12_GLOBAL__N_110CustomProdEEEEE10hipError_tPvRmT0_T1_jT2_SQ_T4_T3_P12ihipStream_tbEUlT_E_NS1_11comp_targetILNS1_3genE4ELNS1_11target_archE910ELNS1_3gpuE8ELNS1_3repE0EEENS1_30default_config_static_selectorELNS0_4arch9wavefront6targetE1EEEvSP_.has_dyn_sized_stack, 0
	.set _ZN7rocprim17ROCPRIM_400000_NS6detail17trampoline_kernelINS0_14default_configENS1_32segmented_reduce_config_selectorIfEEZNS1_21segmented_reduce_implIS3_PKfPfPKifN6hipcub16HIPCUB_304000_NS6detail27convert_result_type_wrapperIS8_S9_N2at6native12_GLOBAL__N_110CustomProdEEEEE10hipError_tPvRmT0_T1_jT2_SQ_T4_T3_P12ihipStream_tbEUlT_E_NS1_11comp_targetILNS1_3genE4ELNS1_11target_archE910ELNS1_3gpuE8ELNS1_3repE0EEENS1_30default_config_static_selectorELNS0_4arch9wavefront6targetE1EEEvSP_.has_recursion, 0
	.set _ZN7rocprim17ROCPRIM_400000_NS6detail17trampoline_kernelINS0_14default_configENS1_32segmented_reduce_config_selectorIfEEZNS1_21segmented_reduce_implIS3_PKfPfPKifN6hipcub16HIPCUB_304000_NS6detail27convert_result_type_wrapperIS8_S9_N2at6native12_GLOBAL__N_110CustomProdEEEEE10hipError_tPvRmT0_T1_jT2_SQ_T4_T3_P12ihipStream_tbEUlT_E_NS1_11comp_targetILNS1_3genE4ELNS1_11target_archE910ELNS1_3gpuE8ELNS1_3repE0EEENS1_30default_config_static_selectorELNS0_4arch9wavefront6targetE1EEEvSP_.has_indirect_call, 0
	.section	.AMDGPU.csdata,"",@progbits
; Kernel info:
; codeLenInByte = 0
; TotalNumSgprs: 4
; NumVgprs: 0
; ScratchSize: 0
; MemoryBound: 0
; FloatMode: 240
; IeeeMode: 1
; LDSByteSize: 0 bytes/workgroup (compile time only)
; SGPRBlocks: 0
; VGPRBlocks: 0
; NumSGPRsForWavesPerEU: 4
; NumVGPRsForWavesPerEU: 1
; Occupancy: 10
; WaveLimiterHint : 0
; COMPUTE_PGM_RSRC2:SCRATCH_EN: 0
; COMPUTE_PGM_RSRC2:USER_SGPR: 6
; COMPUTE_PGM_RSRC2:TRAP_HANDLER: 0
; COMPUTE_PGM_RSRC2:TGID_X_EN: 1
; COMPUTE_PGM_RSRC2:TGID_Y_EN: 0
; COMPUTE_PGM_RSRC2:TGID_Z_EN: 0
; COMPUTE_PGM_RSRC2:TIDIG_COMP_CNT: 0
	.section	.text._ZN7rocprim17ROCPRIM_400000_NS6detail17trampoline_kernelINS0_14default_configENS1_32segmented_reduce_config_selectorIfEEZNS1_21segmented_reduce_implIS3_PKfPfPKifN6hipcub16HIPCUB_304000_NS6detail27convert_result_type_wrapperIS8_S9_N2at6native12_GLOBAL__N_110CustomProdEEEEE10hipError_tPvRmT0_T1_jT2_SQ_T4_T3_P12ihipStream_tbEUlT_E_NS1_11comp_targetILNS1_3genE3ELNS1_11target_archE908ELNS1_3gpuE7ELNS1_3repE0EEENS1_30default_config_static_selectorELNS0_4arch9wavefront6targetE1EEEvSP_,"axG",@progbits,_ZN7rocprim17ROCPRIM_400000_NS6detail17trampoline_kernelINS0_14default_configENS1_32segmented_reduce_config_selectorIfEEZNS1_21segmented_reduce_implIS3_PKfPfPKifN6hipcub16HIPCUB_304000_NS6detail27convert_result_type_wrapperIS8_S9_N2at6native12_GLOBAL__N_110CustomProdEEEEE10hipError_tPvRmT0_T1_jT2_SQ_T4_T3_P12ihipStream_tbEUlT_E_NS1_11comp_targetILNS1_3genE3ELNS1_11target_archE908ELNS1_3gpuE7ELNS1_3repE0EEENS1_30default_config_static_selectorELNS0_4arch9wavefront6targetE1EEEvSP_,comdat
	.globl	_ZN7rocprim17ROCPRIM_400000_NS6detail17trampoline_kernelINS0_14default_configENS1_32segmented_reduce_config_selectorIfEEZNS1_21segmented_reduce_implIS3_PKfPfPKifN6hipcub16HIPCUB_304000_NS6detail27convert_result_type_wrapperIS8_S9_N2at6native12_GLOBAL__N_110CustomProdEEEEE10hipError_tPvRmT0_T1_jT2_SQ_T4_T3_P12ihipStream_tbEUlT_E_NS1_11comp_targetILNS1_3genE3ELNS1_11target_archE908ELNS1_3gpuE7ELNS1_3repE0EEENS1_30default_config_static_selectorELNS0_4arch9wavefront6targetE1EEEvSP_ ; -- Begin function _ZN7rocprim17ROCPRIM_400000_NS6detail17trampoline_kernelINS0_14default_configENS1_32segmented_reduce_config_selectorIfEEZNS1_21segmented_reduce_implIS3_PKfPfPKifN6hipcub16HIPCUB_304000_NS6detail27convert_result_type_wrapperIS8_S9_N2at6native12_GLOBAL__N_110CustomProdEEEEE10hipError_tPvRmT0_T1_jT2_SQ_T4_T3_P12ihipStream_tbEUlT_E_NS1_11comp_targetILNS1_3genE3ELNS1_11target_archE908ELNS1_3gpuE7ELNS1_3repE0EEENS1_30default_config_static_selectorELNS0_4arch9wavefront6targetE1EEEvSP_
	.p2align	8
	.type	_ZN7rocprim17ROCPRIM_400000_NS6detail17trampoline_kernelINS0_14default_configENS1_32segmented_reduce_config_selectorIfEEZNS1_21segmented_reduce_implIS3_PKfPfPKifN6hipcub16HIPCUB_304000_NS6detail27convert_result_type_wrapperIS8_S9_N2at6native12_GLOBAL__N_110CustomProdEEEEE10hipError_tPvRmT0_T1_jT2_SQ_T4_T3_P12ihipStream_tbEUlT_E_NS1_11comp_targetILNS1_3genE3ELNS1_11target_archE908ELNS1_3gpuE7ELNS1_3repE0EEENS1_30default_config_static_selectorELNS0_4arch9wavefront6targetE1EEEvSP_,@function
_ZN7rocprim17ROCPRIM_400000_NS6detail17trampoline_kernelINS0_14default_configENS1_32segmented_reduce_config_selectorIfEEZNS1_21segmented_reduce_implIS3_PKfPfPKifN6hipcub16HIPCUB_304000_NS6detail27convert_result_type_wrapperIS8_S9_N2at6native12_GLOBAL__N_110CustomProdEEEEE10hipError_tPvRmT0_T1_jT2_SQ_T4_T3_P12ihipStream_tbEUlT_E_NS1_11comp_targetILNS1_3genE3ELNS1_11target_archE908ELNS1_3gpuE7ELNS1_3repE0EEENS1_30default_config_static_selectorELNS0_4arch9wavefront6targetE1EEEvSP_: ; @_ZN7rocprim17ROCPRIM_400000_NS6detail17trampoline_kernelINS0_14default_configENS1_32segmented_reduce_config_selectorIfEEZNS1_21segmented_reduce_implIS3_PKfPfPKifN6hipcub16HIPCUB_304000_NS6detail27convert_result_type_wrapperIS8_S9_N2at6native12_GLOBAL__N_110CustomProdEEEEE10hipError_tPvRmT0_T1_jT2_SQ_T4_T3_P12ihipStream_tbEUlT_E_NS1_11comp_targetILNS1_3genE3ELNS1_11target_archE908ELNS1_3gpuE7ELNS1_3repE0EEENS1_30default_config_static_selectorELNS0_4arch9wavefront6targetE1EEEvSP_
; %bb.0:
	.section	.rodata,"a",@progbits
	.p2align	6, 0x0
	.amdhsa_kernel _ZN7rocprim17ROCPRIM_400000_NS6detail17trampoline_kernelINS0_14default_configENS1_32segmented_reduce_config_selectorIfEEZNS1_21segmented_reduce_implIS3_PKfPfPKifN6hipcub16HIPCUB_304000_NS6detail27convert_result_type_wrapperIS8_S9_N2at6native12_GLOBAL__N_110CustomProdEEEEE10hipError_tPvRmT0_T1_jT2_SQ_T4_T3_P12ihipStream_tbEUlT_E_NS1_11comp_targetILNS1_3genE3ELNS1_11target_archE908ELNS1_3gpuE7ELNS1_3repE0EEENS1_30default_config_static_selectorELNS0_4arch9wavefront6targetE1EEEvSP_
		.amdhsa_group_segment_fixed_size 0
		.amdhsa_private_segment_fixed_size 0
		.amdhsa_kernarg_size 48
		.amdhsa_user_sgpr_count 6
		.amdhsa_user_sgpr_private_segment_buffer 1
		.amdhsa_user_sgpr_dispatch_ptr 0
		.amdhsa_user_sgpr_queue_ptr 0
		.amdhsa_user_sgpr_kernarg_segment_ptr 1
		.amdhsa_user_sgpr_dispatch_id 0
		.amdhsa_user_sgpr_flat_scratch_init 0
		.amdhsa_user_sgpr_private_segment_size 0
		.amdhsa_uses_dynamic_stack 0
		.amdhsa_system_sgpr_private_segment_wavefront_offset 0
		.amdhsa_system_sgpr_workgroup_id_x 1
		.amdhsa_system_sgpr_workgroup_id_y 0
		.amdhsa_system_sgpr_workgroup_id_z 0
		.amdhsa_system_sgpr_workgroup_info 0
		.amdhsa_system_vgpr_workitem_id 0
		.amdhsa_next_free_vgpr 1
		.amdhsa_next_free_sgpr 0
		.amdhsa_reserve_vcc 0
		.amdhsa_reserve_flat_scratch 0
		.amdhsa_float_round_mode_32 0
		.amdhsa_float_round_mode_16_64 0
		.amdhsa_float_denorm_mode_32 3
		.amdhsa_float_denorm_mode_16_64 3
		.amdhsa_dx10_clamp 1
		.amdhsa_ieee_mode 1
		.amdhsa_fp16_overflow 0
		.amdhsa_exception_fp_ieee_invalid_op 0
		.amdhsa_exception_fp_denorm_src 0
		.amdhsa_exception_fp_ieee_div_zero 0
		.amdhsa_exception_fp_ieee_overflow 0
		.amdhsa_exception_fp_ieee_underflow 0
		.amdhsa_exception_fp_ieee_inexact 0
		.amdhsa_exception_int_div_zero 0
	.end_amdhsa_kernel
	.section	.text._ZN7rocprim17ROCPRIM_400000_NS6detail17trampoline_kernelINS0_14default_configENS1_32segmented_reduce_config_selectorIfEEZNS1_21segmented_reduce_implIS3_PKfPfPKifN6hipcub16HIPCUB_304000_NS6detail27convert_result_type_wrapperIS8_S9_N2at6native12_GLOBAL__N_110CustomProdEEEEE10hipError_tPvRmT0_T1_jT2_SQ_T4_T3_P12ihipStream_tbEUlT_E_NS1_11comp_targetILNS1_3genE3ELNS1_11target_archE908ELNS1_3gpuE7ELNS1_3repE0EEENS1_30default_config_static_selectorELNS0_4arch9wavefront6targetE1EEEvSP_,"axG",@progbits,_ZN7rocprim17ROCPRIM_400000_NS6detail17trampoline_kernelINS0_14default_configENS1_32segmented_reduce_config_selectorIfEEZNS1_21segmented_reduce_implIS3_PKfPfPKifN6hipcub16HIPCUB_304000_NS6detail27convert_result_type_wrapperIS8_S9_N2at6native12_GLOBAL__N_110CustomProdEEEEE10hipError_tPvRmT0_T1_jT2_SQ_T4_T3_P12ihipStream_tbEUlT_E_NS1_11comp_targetILNS1_3genE3ELNS1_11target_archE908ELNS1_3gpuE7ELNS1_3repE0EEENS1_30default_config_static_selectorELNS0_4arch9wavefront6targetE1EEEvSP_,comdat
.Lfunc_end72:
	.size	_ZN7rocprim17ROCPRIM_400000_NS6detail17trampoline_kernelINS0_14default_configENS1_32segmented_reduce_config_selectorIfEEZNS1_21segmented_reduce_implIS3_PKfPfPKifN6hipcub16HIPCUB_304000_NS6detail27convert_result_type_wrapperIS8_S9_N2at6native12_GLOBAL__N_110CustomProdEEEEE10hipError_tPvRmT0_T1_jT2_SQ_T4_T3_P12ihipStream_tbEUlT_E_NS1_11comp_targetILNS1_3genE3ELNS1_11target_archE908ELNS1_3gpuE7ELNS1_3repE0EEENS1_30default_config_static_selectorELNS0_4arch9wavefront6targetE1EEEvSP_, .Lfunc_end72-_ZN7rocprim17ROCPRIM_400000_NS6detail17trampoline_kernelINS0_14default_configENS1_32segmented_reduce_config_selectorIfEEZNS1_21segmented_reduce_implIS3_PKfPfPKifN6hipcub16HIPCUB_304000_NS6detail27convert_result_type_wrapperIS8_S9_N2at6native12_GLOBAL__N_110CustomProdEEEEE10hipError_tPvRmT0_T1_jT2_SQ_T4_T3_P12ihipStream_tbEUlT_E_NS1_11comp_targetILNS1_3genE3ELNS1_11target_archE908ELNS1_3gpuE7ELNS1_3repE0EEENS1_30default_config_static_selectorELNS0_4arch9wavefront6targetE1EEEvSP_
                                        ; -- End function
	.set _ZN7rocprim17ROCPRIM_400000_NS6detail17trampoline_kernelINS0_14default_configENS1_32segmented_reduce_config_selectorIfEEZNS1_21segmented_reduce_implIS3_PKfPfPKifN6hipcub16HIPCUB_304000_NS6detail27convert_result_type_wrapperIS8_S9_N2at6native12_GLOBAL__N_110CustomProdEEEEE10hipError_tPvRmT0_T1_jT2_SQ_T4_T3_P12ihipStream_tbEUlT_E_NS1_11comp_targetILNS1_3genE3ELNS1_11target_archE908ELNS1_3gpuE7ELNS1_3repE0EEENS1_30default_config_static_selectorELNS0_4arch9wavefront6targetE1EEEvSP_.num_vgpr, 0
	.set _ZN7rocprim17ROCPRIM_400000_NS6detail17trampoline_kernelINS0_14default_configENS1_32segmented_reduce_config_selectorIfEEZNS1_21segmented_reduce_implIS3_PKfPfPKifN6hipcub16HIPCUB_304000_NS6detail27convert_result_type_wrapperIS8_S9_N2at6native12_GLOBAL__N_110CustomProdEEEEE10hipError_tPvRmT0_T1_jT2_SQ_T4_T3_P12ihipStream_tbEUlT_E_NS1_11comp_targetILNS1_3genE3ELNS1_11target_archE908ELNS1_3gpuE7ELNS1_3repE0EEENS1_30default_config_static_selectorELNS0_4arch9wavefront6targetE1EEEvSP_.num_agpr, 0
	.set _ZN7rocprim17ROCPRIM_400000_NS6detail17trampoline_kernelINS0_14default_configENS1_32segmented_reduce_config_selectorIfEEZNS1_21segmented_reduce_implIS3_PKfPfPKifN6hipcub16HIPCUB_304000_NS6detail27convert_result_type_wrapperIS8_S9_N2at6native12_GLOBAL__N_110CustomProdEEEEE10hipError_tPvRmT0_T1_jT2_SQ_T4_T3_P12ihipStream_tbEUlT_E_NS1_11comp_targetILNS1_3genE3ELNS1_11target_archE908ELNS1_3gpuE7ELNS1_3repE0EEENS1_30default_config_static_selectorELNS0_4arch9wavefront6targetE1EEEvSP_.numbered_sgpr, 0
	.set _ZN7rocprim17ROCPRIM_400000_NS6detail17trampoline_kernelINS0_14default_configENS1_32segmented_reduce_config_selectorIfEEZNS1_21segmented_reduce_implIS3_PKfPfPKifN6hipcub16HIPCUB_304000_NS6detail27convert_result_type_wrapperIS8_S9_N2at6native12_GLOBAL__N_110CustomProdEEEEE10hipError_tPvRmT0_T1_jT2_SQ_T4_T3_P12ihipStream_tbEUlT_E_NS1_11comp_targetILNS1_3genE3ELNS1_11target_archE908ELNS1_3gpuE7ELNS1_3repE0EEENS1_30default_config_static_selectorELNS0_4arch9wavefront6targetE1EEEvSP_.num_named_barrier, 0
	.set _ZN7rocprim17ROCPRIM_400000_NS6detail17trampoline_kernelINS0_14default_configENS1_32segmented_reduce_config_selectorIfEEZNS1_21segmented_reduce_implIS3_PKfPfPKifN6hipcub16HIPCUB_304000_NS6detail27convert_result_type_wrapperIS8_S9_N2at6native12_GLOBAL__N_110CustomProdEEEEE10hipError_tPvRmT0_T1_jT2_SQ_T4_T3_P12ihipStream_tbEUlT_E_NS1_11comp_targetILNS1_3genE3ELNS1_11target_archE908ELNS1_3gpuE7ELNS1_3repE0EEENS1_30default_config_static_selectorELNS0_4arch9wavefront6targetE1EEEvSP_.private_seg_size, 0
	.set _ZN7rocprim17ROCPRIM_400000_NS6detail17trampoline_kernelINS0_14default_configENS1_32segmented_reduce_config_selectorIfEEZNS1_21segmented_reduce_implIS3_PKfPfPKifN6hipcub16HIPCUB_304000_NS6detail27convert_result_type_wrapperIS8_S9_N2at6native12_GLOBAL__N_110CustomProdEEEEE10hipError_tPvRmT0_T1_jT2_SQ_T4_T3_P12ihipStream_tbEUlT_E_NS1_11comp_targetILNS1_3genE3ELNS1_11target_archE908ELNS1_3gpuE7ELNS1_3repE0EEENS1_30default_config_static_selectorELNS0_4arch9wavefront6targetE1EEEvSP_.uses_vcc, 0
	.set _ZN7rocprim17ROCPRIM_400000_NS6detail17trampoline_kernelINS0_14default_configENS1_32segmented_reduce_config_selectorIfEEZNS1_21segmented_reduce_implIS3_PKfPfPKifN6hipcub16HIPCUB_304000_NS6detail27convert_result_type_wrapperIS8_S9_N2at6native12_GLOBAL__N_110CustomProdEEEEE10hipError_tPvRmT0_T1_jT2_SQ_T4_T3_P12ihipStream_tbEUlT_E_NS1_11comp_targetILNS1_3genE3ELNS1_11target_archE908ELNS1_3gpuE7ELNS1_3repE0EEENS1_30default_config_static_selectorELNS0_4arch9wavefront6targetE1EEEvSP_.uses_flat_scratch, 0
	.set _ZN7rocprim17ROCPRIM_400000_NS6detail17trampoline_kernelINS0_14default_configENS1_32segmented_reduce_config_selectorIfEEZNS1_21segmented_reduce_implIS3_PKfPfPKifN6hipcub16HIPCUB_304000_NS6detail27convert_result_type_wrapperIS8_S9_N2at6native12_GLOBAL__N_110CustomProdEEEEE10hipError_tPvRmT0_T1_jT2_SQ_T4_T3_P12ihipStream_tbEUlT_E_NS1_11comp_targetILNS1_3genE3ELNS1_11target_archE908ELNS1_3gpuE7ELNS1_3repE0EEENS1_30default_config_static_selectorELNS0_4arch9wavefront6targetE1EEEvSP_.has_dyn_sized_stack, 0
	.set _ZN7rocprim17ROCPRIM_400000_NS6detail17trampoline_kernelINS0_14default_configENS1_32segmented_reduce_config_selectorIfEEZNS1_21segmented_reduce_implIS3_PKfPfPKifN6hipcub16HIPCUB_304000_NS6detail27convert_result_type_wrapperIS8_S9_N2at6native12_GLOBAL__N_110CustomProdEEEEE10hipError_tPvRmT0_T1_jT2_SQ_T4_T3_P12ihipStream_tbEUlT_E_NS1_11comp_targetILNS1_3genE3ELNS1_11target_archE908ELNS1_3gpuE7ELNS1_3repE0EEENS1_30default_config_static_selectorELNS0_4arch9wavefront6targetE1EEEvSP_.has_recursion, 0
	.set _ZN7rocprim17ROCPRIM_400000_NS6detail17trampoline_kernelINS0_14default_configENS1_32segmented_reduce_config_selectorIfEEZNS1_21segmented_reduce_implIS3_PKfPfPKifN6hipcub16HIPCUB_304000_NS6detail27convert_result_type_wrapperIS8_S9_N2at6native12_GLOBAL__N_110CustomProdEEEEE10hipError_tPvRmT0_T1_jT2_SQ_T4_T3_P12ihipStream_tbEUlT_E_NS1_11comp_targetILNS1_3genE3ELNS1_11target_archE908ELNS1_3gpuE7ELNS1_3repE0EEENS1_30default_config_static_selectorELNS0_4arch9wavefront6targetE1EEEvSP_.has_indirect_call, 0
	.section	.AMDGPU.csdata,"",@progbits
; Kernel info:
; codeLenInByte = 0
; TotalNumSgprs: 4
; NumVgprs: 0
; ScratchSize: 0
; MemoryBound: 0
; FloatMode: 240
; IeeeMode: 1
; LDSByteSize: 0 bytes/workgroup (compile time only)
; SGPRBlocks: 0
; VGPRBlocks: 0
; NumSGPRsForWavesPerEU: 4
; NumVGPRsForWavesPerEU: 1
; Occupancy: 10
; WaveLimiterHint : 0
; COMPUTE_PGM_RSRC2:SCRATCH_EN: 0
; COMPUTE_PGM_RSRC2:USER_SGPR: 6
; COMPUTE_PGM_RSRC2:TRAP_HANDLER: 0
; COMPUTE_PGM_RSRC2:TGID_X_EN: 1
; COMPUTE_PGM_RSRC2:TGID_Y_EN: 0
; COMPUTE_PGM_RSRC2:TGID_Z_EN: 0
; COMPUTE_PGM_RSRC2:TIDIG_COMP_CNT: 0
	.section	.text._ZN7rocprim17ROCPRIM_400000_NS6detail17trampoline_kernelINS0_14default_configENS1_32segmented_reduce_config_selectorIfEEZNS1_21segmented_reduce_implIS3_PKfPfPKifN6hipcub16HIPCUB_304000_NS6detail27convert_result_type_wrapperIS8_S9_N2at6native12_GLOBAL__N_110CustomProdEEEEE10hipError_tPvRmT0_T1_jT2_SQ_T4_T3_P12ihipStream_tbEUlT_E_NS1_11comp_targetILNS1_3genE2ELNS1_11target_archE906ELNS1_3gpuE6ELNS1_3repE0EEENS1_30default_config_static_selectorELNS0_4arch9wavefront6targetE1EEEvSP_,"axG",@progbits,_ZN7rocprim17ROCPRIM_400000_NS6detail17trampoline_kernelINS0_14default_configENS1_32segmented_reduce_config_selectorIfEEZNS1_21segmented_reduce_implIS3_PKfPfPKifN6hipcub16HIPCUB_304000_NS6detail27convert_result_type_wrapperIS8_S9_N2at6native12_GLOBAL__N_110CustomProdEEEEE10hipError_tPvRmT0_T1_jT2_SQ_T4_T3_P12ihipStream_tbEUlT_E_NS1_11comp_targetILNS1_3genE2ELNS1_11target_archE906ELNS1_3gpuE6ELNS1_3repE0EEENS1_30default_config_static_selectorELNS0_4arch9wavefront6targetE1EEEvSP_,comdat
	.globl	_ZN7rocprim17ROCPRIM_400000_NS6detail17trampoline_kernelINS0_14default_configENS1_32segmented_reduce_config_selectorIfEEZNS1_21segmented_reduce_implIS3_PKfPfPKifN6hipcub16HIPCUB_304000_NS6detail27convert_result_type_wrapperIS8_S9_N2at6native12_GLOBAL__N_110CustomProdEEEEE10hipError_tPvRmT0_T1_jT2_SQ_T4_T3_P12ihipStream_tbEUlT_E_NS1_11comp_targetILNS1_3genE2ELNS1_11target_archE906ELNS1_3gpuE6ELNS1_3repE0EEENS1_30default_config_static_selectorELNS0_4arch9wavefront6targetE1EEEvSP_ ; -- Begin function _ZN7rocprim17ROCPRIM_400000_NS6detail17trampoline_kernelINS0_14default_configENS1_32segmented_reduce_config_selectorIfEEZNS1_21segmented_reduce_implIS3_PKfPfPKifN6hipcub16HIPCUB_304000_NS6detail27convert_result_type_wrapperIS8_S9_N2at6native12_GLOBAL__N_110CustomProdEEEEE10hipError_tPvRmT0_T1_jT2_SQ_T4_T3_P12ihipStream_tbEUlT_E_NS1_11comp_targetILNS1_3genE2ELNS1_11target_archE906ELNS1_3gpuE6ELNS1_3repE0EEENS1_30default_config_static_selectorELNS0_4arch9wavefront6targetE1EEEvSP_
	.p2align	8
	.type	_ZN7rocprim17ROCPRIM_400000_NS6detail17trampoline_kernelINS0_14default_configENS1_32segmented_reduce_config_selectorIfEEZNS1_21segmented_reduce_implIS3_PKfPfPKifN6hipcub16HIPCUB_304000_NS6detail27convert_result_type_wrapperIS8_S9_N2at6native12_GLOBAL__N_110CustomProdEEEEE10hipError_tPvRmT0_T1_jT2_SQ_T4_T3_P12ihipStream_tbEUlT_E_NS1_11comp_targetILNS1_3genE2ELNS1_11target_archE906ELNS1_3gpuE6ELNS1_3repE0EEENS1_30default_config_static_selectorELNS0_4arch9wavefront6targetE1EEEvSP_,@function
_ZN7rocprim17ROCPRIM_400000_NS6detail17trampoline_kernelINS0_14default_configENS1_32segmented_reduce_config_selectorIfEEZNS1_21segmented_reduce_implIS3_PKfPfPKifN6hipcub16HIPCUB_304000_NS6detail27convert_result_type_wrapperIS8_S9_N2at6native12_GLOBAL__N_110CustomProdEEEEE10hipError_tPvRmT0_T1_jT2_SQ_T4_T3_P12ihipStream_tbEUlT_E_NS1_11comp_targetILNS1_3genE2ELNS1_11target_archE906ELNS1_3gpuE6ELNS1_3repE0EEENS1_30default_config_static_selectorELNS0_4arch9wavefront6targetE1EEEvSP_: ; @_ZN7rocprim17ROCPRIM_400000_NS6detail17trampoline_kernelINS0_14default_configENS1_32segmented_reduce_config_selectorIfEEZNS1_21segmented_reduce_implIS3_PKfPfPKifN6hipcub16HIPCUB_304000_NS6detail27convert_result_type_wrapperIS8_S9_N2at6native12_GLOBAL__N_110CustomProdEEEEE10hipError_tPvRmT0_T1_jT2_SQ_T4_T3_P12ihipStream_tbEUlT_E_NS1_11comp_targetILNS1_3genE2ELNS1_11target_archE906ELNS1_3gpuE6ELNS1_3repE0EEENS1_30default_config_static_selectorELNS0_4arch9wavefront6targetE1EEEvSP_
; %bb.0:
	s_load_dwordx8 s[36:43], s[4:5], 0x0
	s_load_dwordx2 s[0:1], s[4:5], 0x20
	s_load_dword s33, s[4:5], 0x2c
	s_mov_b32 s7, 0
	v_cmp_eq_u32_e32 vcc, 0, v0
	s_waitcnt lgkmcnt(0)
	s_lshl_b64 s[30:31], s[40:41], 2
	s_add_u32 s2, s42, s30
	s_addc_u32 s3, s43, s31
	s_add_u32 s4, s0, s30
	s_addc_u32 s5, s1, s31
	s_lshl_b64 s[34:35], s[6:7], 2
	s_add_u32 s0, s2, s34
	s_addc_u32 s1, s3, s35
	s_load_dword s42, s[0:1], 0x0
	s_add_u32 s0, s4, s34
	s_addc_u32 s1, s5, s35
	s_load_dword s48, s[0:1], 0x0
	s_waitcnt lgkmcnt(0)
	s_cmp_gt_i32 s48, s42
	s_cbranch_scc1 .LBB73_3
; %bb.1:
	s_and_b64 s[40:41], vcc, exec
	s_cbranch_execz .LBB73_4
; %bb.2:
	v_mov_b32_e32 v1, s33
	s_and_saveexec_b64 s[0:1], s[40:41]
	s_cbranch_execnz .LBB73_67
	s_branch .LBB73_68
.LBB73_3:
	s_mov_b64 s[40:41], 0
.LBB73_4:
	s_add_i32 s0, s42, 0x1000
	s_cmp_le_i32 s0, s48
	s_movk_i32 s1, 0x1000
	s_cbranch_scc0 .LBB73_45
; %bb.5:
	s_ashr_i32 s43, s42, 31
	s_lshl_b64 s[2:3], s[42:43], 2
	s_add_u32 s2, s36, s2
	s_addc_u32 s3, s37, s3
	v_lshlrev_b32_e32 v18, 2, v0
	v_mov_b32_e32 v1, s3
	v_add_co_u32_e32 v17, vcc, s2, v18
	v_addc_co_u32_e32 v20, vcc, 0, v1, vcc
	v_add_co_u32_e32 v13, vcc, s1, v17
	v_addc_co_u32_e32 v14, vcc, 0, v20, vcc
	s_movk_i32 s1, 0x2000
	v_add_co_u32_e32 v15, vcc, s1, v17
	v_addc_co_u32_e32 v16, vcc, 0, v20, vcc
	global_load_dword v4, v18, s[2:3]
	global_load_dword v3, v18, s[2:3] offset:1024
	global_load_dword v2, v18, s[2:3] offset:2048
	;; [unrolled: 1-line block ×3, first 2 shown]
	global_load_dword v7, v[13:14], off offset:1024
	global_load_dword v6, v[13:14], off offset:2048
	;; [unrolled: 1-line block ×3, first 2 shown]
	global_load_dword v12, v[15:16], off offset:-4096
	global_load_dword v11, v[15:16], off
	global_load_dword v10, v[15:16], off offset:1024
	global_load_dword v9, v[15:16], off offset:2048
	;; [unrolled: 1-line block ×3, first 2 shown]
	s_movk_i32 s2, 0x3000
	v_add_co_u32_e32 v19, vcc, s2, v17
	v_addc_co_u32_e32 v20, vcc, 0, v20, vcc
	global_load_dword v15, v[19:20], off
	global_load_dword v14, v[19:20], off offset:1024
	global_load_dword v13, v[19:20], off offset:2048
	;; [unrolled: 1-line block ×3, first 2 shown]
	s_add_i32 s3, s42, 0x2000
	s_cmp_ge_i32 s3, s48
	s_waitcnt vmcnt(14)
	v_mul_f32_e32 v17, v4, v3
	s_waitcnt vmcnt(13)
	v_mul_f32_e32 v17, v17, v2
	;; [unrolled: 2-line block ×4, first 2 shown]
	v_mul_f32_e32 v17, v17, v7
	v_mul_f32_e32 v17, v17, v6
	;; [unrolled: 1-line block ×3, first 2 shown]
	s_waitcnt vmcnt(7)
	v_mul_f32_e32 v17, v17, v11
	s_waitcnt vmcnt(6)
	v_mul_f32_e32 v17, v17, v10
	;; [unrolled: 2-line block ×8, first 2 shown]
	s_cbranch_scc1 .LBB73_8
; %bb.6:
	v_mov_b32_e32 v1, s37
	v_add_co_u32_e32 v19, vcc, s36, v18
	v_addc_co_u32_e32 v20, vcc, 0, v1, vcc
	s_movk_i32 s3, 0x1000
.LBB73_7:                               ; =>This Inner Loop Header: Depth=1
	s_mov_b32 s4, s0
	s_ashr_i32 s5, s0, 31
	s_lshl_b64 s[6:7], s[4:5], 2
	v_mov_b32_e32 v1, s7
	v_add_co_u32_e32 v12, vcc, s6, v19
	v_addc_co_u32_e32 v13, vcc, v20, v1, vcc
	global_load_dword v4, v[12:13], off
	global_load_dword v3, v[12:13], off offset:1024
	global_load_dword v2, v[12:13], off offset:2048
	;; [unrolled: 1-line block ×3, first 2 shown]
	v_add_co_u32_e32 v8, vcc, s3, v12
	v_addc_co_u32_e32 v9, vcc, 0, v13, vcc
	v_add_co_u32_e32 v14, vcc, s1, v12
	v_addc_co_u32_e32 v15, vcc, 0, v13, vcc
	global_load_dword v7, v[8:9], off offset:1024
	global_load_dword v6, v[8:9], off offset:2048
	;; [unrolled: 1-line block ×3, first 2 shown]
	v_add_co_u32_e32 v21, vcc, s2, v12
	global_load_dword v12, v[14:15], off offset:-4096
	global_load_dword v11, v[14:15], off
	global_load_dword v10, v[14:15], off offset:1024
	global_load_dword v9, v[14:15], off offset:2048
	;; [unrolled: 1-line block ×3, first 2 shown]
	v_addc_co_u32_e32 v22, vcc, 0, v13, vcc
	global_load_dword v15, v[21:22], off
	global_load_dword v14, v[21:22], off offset:1024
	global_load_dword v13, v[21:22], off offset:2048
	global_load_dword v16, v[21:22], off offset:3072
	s_addk_i32 s0, 0x1000
	s_addk_i32 s4, 0x2000
	s_cmp_lt_i32 s4, s48
	s_waitcnt vmcnt(15)
	v_mul_f32_e32 v17, v17, v4
	s_waitcnt vmcnt(14)
	v_mul_f32_e32 v17, v17, v3
	;; [unrolled: 2-line block ×5, first 2 shown]
	v_mul_f32_e32 v17, v17, v7
	v_mul_f32_e32 v17, v17, v6
	;; [unrolled: 1-line block ×3, first 2 shown]
	s_waitcnt vmcnt(7)
	v_mul_f32_e32 v17, v17, v11
	s_waitcnt vmcnt(6)
	v_mul_f32_e32 v17, v17, v10
	;; [unrolled: 2-line block ×8, first 2 shown]
	s_cbranch_scc1 .LBB73_7
.LBB73_8:
	s_ashr_i32 s1, s0, 31
	s_sub_i32 s43, s48, s0
	s_lshl_b64 s[0:1], s[0:1], 2
	s_add_u32 s44, s36, s0
	s_addc_u32 s45, s37, s1
	v_cmp_gt_u32_e32 vcc, s43, v0
	s_and_saveexec_b64 s[0:1], vcc
	s_cbranch_execz .LBB73_10
; %bb.9:
	global_load_dword v4, v18, s[44:45]
.LBB73_10:
	s_or_b64 exec, exec, s[0:1]
	v_or_b32_e32 v19, 0x100, v0
	v_cmp_gt_u32_e64 s[0:1], s43, v19
	s_and_saveexec_b64 s[2:3], s[0:1]
	s_cbranch_execz .LBB73_12
; %bb.11:
	global_load_dword v3, v18, s[44:45] offset:1024
.LBB73_12:
	s_or_b64 exec, exec, s[2:3]
	v_or_b32_e32 v19, 0x200, v0
	v_cmp_gt_u32_e64 s[2:3], s43, v19
	s_and_saveexec_b64 s[4:5], s[2:3]
	s_cbranch_execz .LBB73_14
; %bb.13:
	global_load_dword v2, v18, s[44:45] offset:2048
.LBB73_14:
	;; [unrolled: 8-line block ×3, first 2 shown]
	s_or_b64 exec, exec, s[6:7]
	v_or_b32_e32 v18, 0x400, v0
	v_cmp_gt_u32_e64 s[6:7], s43, v18
	s_and_saveexec_b64 s[8:9], s[6:7]
	s_cbranch_execz .LBB73_18
; %bb.17:
	v_lshlrev_b32_e32 v12, 2, v18
	global_load_dword v12, v12, s[44:45]
.LBB73_18:
	s_or_b64 exec, exec, s[8:9]
	v_or_b32_e32 v18, 0x500, v0
	v_cmp_gt_u32_e64 s[8:9], s43, v18
	s_and_saveexec_b64 s[10:11], s[8:9]
	s_cbranch_execz .LBB73_20
; %bb.19:
	v_lshlrev_b32_e32 v7, 2, v18
	global_load_dword v7, v7, s[44:45]
.LBB73_20:
	;; [unrolled: 9-line block ×12, first 2 shown]
	s_or_b64 exec, exec, s[46:47]
	s_waitcnt vmcnt(0)
	v_mul_f32_e32 v4, v17, v4
	v_cndmask_b32_e32 v4, v17, v4, vcc
	v_mul_f32_e32 v3, v3, v4
	v_cndmask_b32_e64 v3, v4, v3, s[0:1]
	v_mul_f32_e32 v2, v2, v3
	v_cndmask_b32_e64 v2, v3, v2, s[2:3]
	;; [unrolled: 2-line block ×15, first 2 shown]
	v_mbcnt_lo_u32_b32 v1, -1, 0
	v_mbcnt_hi_u32_b32 v1, -1, v1
	v_mul_f32_dpp v2, v2, v2 quad_perm:[1,0,3,2] row_mask:0xf bank_mask:0xf bound_ctrl:1
	v_cmp_eq_u32_e32 vcc, 0, v1
	s_nop 0
	v_mul_f32_dpp v2, v2, v2 quad_perm:[2,3,0,1] row_mask:0xf bank_mask:0xf bound_ctrl:1
	s_nop 1
	v_mul_f32_dpp v2, v2, v2 row_ror:4 row_mask:0xf bank_mask:0xf bound_ctrl:1
	s_nop 1
	v_mul_f32_dpp v2, v2, v2 row_ror:8 row_mask:0xf bank_mask:0xf bound_ctrl:1
	s_nop 1
	v_mul_f32_dpp v2, v2, v2 row_bcast:15 row_mask:0xf bank_mask:0xf bound_ctrl:1
	s_nop 1
	v_mul_f32_dpp v3, v2, v2 row_bcast:31 row_mask:0xf bank_mask:0xf bound_ctrl:1
	v_lshlrev_b32_e32 v2, 2, v1
	v_or_b32_e32 v4, 0xfc, v2
	ds_bpermute_b32 v4, v4, v3
	s_and_saveexec_b64 s[0:1], vcc
	s_cbranch_execz .LBB73_42
; %bb.41:
	v_lshrrev_b32_e32 v3, 4, v0
	v_and_b32_e32 v3, 12, v3
	s_waitcnt lgkmcnt(0)
	ds_write_b32 v3, v4
.LBB73_42:
	s_or_b64 exec, exec, s[0:1]
	v_cmp_gt_u32_e32 vcc, 64, v0
	s_waitcnt lgkmcnt(0)
	s_barrier
	s_and_saveexec_b64 s[0:1], vcc
	s_cbranch_execz .LBB73_44
; %bb.43:
	v_and_b32_e32 v3, 3, v1
	v_lshlrev_b32_e32 v4, 2, v3
	ds_read_b32 v4, v4
	v_cmp_ne_u32_e32 vcc, 3, v3
	v_addc_co_u32_e32 v1, vcc, 0, v1, vcc
	v_lshlrev_b32_e32 v1, 2, v1
	s_waitcnt lgkmcnt(0)
	ds_bpermute_b32 v1, v1, v4
	v_or_b32_e32 v2, 8, v2
	s_waitcnt lgkmcnt(0)
	v_mul_f32_e32 v1, v4, v1
	ds_bpermute_b32 v2, v2, v1
	s_waitcnt lgkmcnt(0)
	v_mul_f32_e32 v4, v1, v2
.LBB73_44:
	s_or_b64 exec, exec, s[0:1]
	s_branch .LBB73_64
.LBB73_45:
                                        ; implicit-def: $vgpr4
	s_cbranch_execz .LBB73_64
; %bb.46:
	s_sub_i32 s6, s48, s42
	v_cmp_gt_u32_e32 vcc, s6, v0
                                        ; implicit-def: $vgpr3
	s_and_saveexec_b64 s[0:1], vcc
	s_cbranch_execz .LBB73_52
; %bb.47:
	v_add_u32_e32 v1, s42, v0
	v_ashrrev_i32_e32 v2, 31, v1
	v_lshlrev_b64 v[2:3], 2, v[1:2]
	v_mov_b32_e32 v4, s37
	v_add_co_u32_e32 v2, vcc, s36, v2
	v_addc_co_u32_e32 v3, vcc, v4, v3, vcc
	global_load_dword v3, v[2:3], off
	v_add_u32_e32 v1, 0x100, v1
	v_cmp_gt_i32_e32 vcc, s48, v1
	s_and_saveexec_b64 s[2:3], vcc
	s_cbranch_execz .LBB73_51
; %bb.48:
	s_mov_b64 s[4:5], 0
	v_mov_b32_e32 v4, s37
.LBB73_49:                              ; =>This Inner Loop Header: Depth=1
	v_ashrrev_i32_e32 v2, 31, v1
	v_lshlrev_b64 v[5:6], 2, v[1:2]
	v_add_u32_e32 v1, 0x100, v1
	v_add_co_u32_e32 v5, vcc, s36, v5
	v_addc_co_u32_e32 v6, vcc, v4, v6, vcc
	global_load_dword v2, v[5:6], off
	v_cmp_le_i32_e32 vcc, s48, v1
	s_or_b64 s[4:5], vcc, s[4:5]
	s_waitcnt vmcnt(0)
	v_mul_f32_e32 v3, v3, v2
	s_andn2_b64 exec, exec, s[4:5]
	s_cbranch_execnz .LBB73_49
; %bb.50:
	s_or_b64 exec, exec, s[4:5]
.LBB73_51:
	s_or_b64 exec, exec, s[2:3]
.LBB73_52:
	s_or_b64 exec, exec, s[0:1]
	v_mbcnt_lo_u32_b32 v1, -1, 0
	v_mbcnt_hi_u32_b32 v2, -1, v1
	s_cmpk_lt_u32 s6, 0x100
	v_lshlrev_b32_e32 v1, 2, v2
	v_cmp_eq_u32_e32 vcc, 0, v2
	s_cbranch_scc0 .LBB73_58
; %bb.53:
	v_and_b32_e32 v4, 63, v2
	v_cmp_ne_u32_e64 s[0:1], 63, v4
	v_addc_co_u32_e64 v5, s[0:1], 0, v2, s[0:1]
	v_lshlrev_b32_e32 v5, 2, v5
	s_waitcnt vmcnt(0)
	ds_bpermute_b32 v5, v5, v3
	v_and_b32_e32 v6, 0xc0, v0
	v_sub_u32_e64 v6, s6, v6 clamp
	v_add_u32_e32 v7, 1, v4
	v_cmp_gt_u32_e64 s[2:3], 62, v4
	s_waitcnt lgkmcnt(0)
	v_mul_f32_e32 v5, v3, v5
	v_cmp_lt_u32_e64 s[0:1], v7, v6
	v_cndmask_b32_e64 v7, 0, 2, s[2:3]
	v_cndmask_b32_e64 v5, v3, v5, s[0:1]
	v_add_lshl_u32 v7, v7, v2, 2
	ds_bpermute_b32 v7, v7, v5
	v_add_u32_e32 v8, 2, v4
	v_cmp_lt_u32_e64 s[2:3], v8, v6
	v_add_u32_e32 v8, 4, v4
	s_waitcnt lgkmcnt(0)
	v_mul_f32_e32 v7, v5, v7
	v_cndmask_b32_e64 v5, v5, v7, s[2:3]
	v_cmp_gt_u32_e64 s[2:3], 60, v4
	v_cndmask_b32_e64 v7, 0, 4, s[2:3]
	v_add_lshl_u32 v7, v7, v2, 2
	ds_bpermute_b32 v7, v7, v5
	v_cmp_lt_u32_e64 s[2:3], v8, v6
	v_add_u32_e32 v8, 8, v4
	s_waitcnt lgkmcnt(0)
	v_mul_f32_e32 v7, v5, v7
	v_cndmask_b32_e64 v5, v5, v7, s[2:3]
	v_cmp_gt_u32_e64 s[2:3], 56, v4
	v_cndmask_b32_e64 v7, 0, 8, s[2:3]
	v_add_lshl_u32 v7, v7, v2, 2
	ds_bpermute_b32 v7, v7, v5
	;; [unrolled: 9-line block ×3, first 2 shown]
	v_cmp_lt_u32_e64 s[2:3], v8, v6
	v_add_u32_e32 v4, 32, v4
	s_waitcnt lgkmcnt(0)
	v_mul_f32_e32 v7, v5, v7
	v_cndmask_b32_e64 v5, v5, v7, s[2:3]
	v_or_b32_e32 v7, 0x80, v1
	ds_bpermute_b32 v7, v7, v5
	v_cmp_lt_u32_e64 s[2:3], v4, v6
	s_waitcnt lgkmcnt(0)
	v_mul_f32_e32 v7, v5, v7
	v_cndmask_b32_e64 v4, v5, v7, s[2:3]
	v_cndmask_b32_e64 v4, v3, v4, s[0:1]
	s_and_saveexec_b64 s[0:1], vcc
; %bb.54:
	v_lshrrev_b32_e32 v5, 4, v0
	v_and_b32_e32 v5, 12, v5
	ds_write_b32 v5, v4
; %bb.55:
	s_or_b64 exec, exec, s[0:1]
	v_cmp_gt_u32_e32 vcc, 4, v0
	s_waitcnt lgkmcnt(0)
	s_barrier
	s_and_saveexec_b64 s[2:3], vcc
	s_cbranch_execz .LBB73_57
; %bb.56:
	ds_read_b32 v4, v1
	v_and_b32_e32 v5, 3, v2
	v_cmp_ne_u32_e32 vcc, 3, v5
	v_addc_co_u32_e32 v6, vcc, 0, v2, vcc
	v_lshlrev_b32_e32 v6, 2, v6
	s_waitcnt lgkmcnt(0)
	ds_bpermute_b32 v6, v6, v4
	s_add_i32 s6, s6, 63
	s_lshr_b32 s0, s6, 6
	v_add_u32_e32 v7, 1, v5
	v_cmp_gt_u32_e32 vcc, s0, v7
	s_waitcnt lgkmcnt(0)
	v_mul_f32_e32 v6, v4, v6
	v_cndmask_b32_e32 v6, v4, v6, vcc
	v_or_b32_e32 v7, 8, v1
	ds_bpermute_b32 v7, v7, v6
	v_add_u32_e32 v5, 2, v5
	v_cmp_gt_u32_e64 s[0:1], s0, v5
	s_waitcnt lgkmcnt(0)
	v_mul_f32_e32 v7, v6, v7
	v_cndmask_b32_e64 v5, v6, v7, s[0:1]
	v_cndmask_b32_e32 v4, v4, v5, vcc
.LBB73_57:
	s_or_b64 exec, exec, s[2:3]
	s_branch .LBB73_64
.LBB73_58:
                                        ; implicit-def: $vgpr4
	s_cbranch_execz .LBB73_64
; %bb.59:
	s_waitcnt vmcnt(0)
	v_mul_f32_dpp v3, v3, v3 quad_perm:[1,0,3,2] row_mask:0xf bank_mask:0xf bound_ctrl:1
	v_or_b32_e32 v4, 0xfc, v1
	v_cmp_eq_u32_e32 vcc, 0, v2
	v_mul_f32_dpp v3, v3, v3 quad_perm:[2,3,0,1] row_mask:0xf bank_mask:0xf bound_ctrl:1
	s_nop 1
	v_mul_f32_dpp v3, v3, v3 row_ror:4 row_mask:0xf bank_mask:0xf bound_ctrl:1
	s_nop 1
	v_mul_f32_dpp v3, v3, v3 row_ror:8 row_mask:0xf bank_mask:0xf bound_ctrl:1
	s_nop 1
	v_mul_f32_dpp v3, v3, v3 row_bcast:15 row_mask:0xf bank_mask:0xf bound_ctrl:1
	s_nop 1
	v_mul_f32_dpp v3, v3, v3 row_bcast:31 row_mask:0xf bank_mask:0xf bound_ctrl:1
	ds_bpermute_b32 v4, v4, v3
	s_and_saveexec_b64 s[0:1], vcc
	s_cbranch_execz .LBB73_61
; %bb.60:
	v_lshrrev_b32_e32 v3, 4, v0
	v_and_b32_e32 v3, 12, v3
	s_waitcnt lgkmcnt(0)
	ds_write_b32 v3, v4
.LBB73_61:
	s_or_b64 exec, exec, s[0:1]
	v_cmp_gt_u32_e32 vcc, 64, v0
	s_waitcnt lgkmcnt(0)
	s_barrier
	s_and_saveexec_b64 s[0:1], vcc
	s_cbranch_execz .LBB73_63
; %bb.62:
	v_and_b32_e32 v3, 3, v2
	v_lshlrev_b32_e32 v4, 2, v3
	ds_read_b32 v4, v4
	v_cmp_ne_u32_e32 vcc, 3, v3
	v_addc_co_u32_e32 v2, vcc, 0, v2, vcc
	v_lshlrev_b32_e32 v2, 2, v2
	s_waitcnt lgkmcnt(0)
	ds_bpermute_b32 v2, v2, v4
	v_or_b32_e32 v1, 8, v1
	s_waitcnt lgkmcnt(0)
	v_mul_f32_e32 v2, v4, v2
	ds_bpermute_b32 v1, v1, v2
	s_waitcnt lgkmcnt(0)
	v_mul_f32_e32 v4, v2, v1
.LBB73_63:
	s_or_b64 exec, exec, s[0:1]
.LBB73_64:
	v_cmp_eq_u32_e32 vcc, 0, v0
                                        ; implicit-def: $vgpr1
	s_and_saveexec_b64 s[0:1], vcc
; %bb.65:
	v_mul_f32_e32 v1, s33, v4
	s_or_b64 s[40:41], s[40:41], exec
; %bb.66:
	s_or_b64 exec, exec, s[0:1]
	s_and_saveexec_b64 s[0:1], s[40:41]
	s_cbranch_execz .LBB73_68
.LBB73_67:
	s_add_u32 s0, s38, s30
	s_addc_u32 s1, s39, s31
	s_add_u32 s0, s0, s34
	s_addc_u32 s1, s1, s35
	v_mov_b32_e32 v0, 0
	global_store_dword v0, v1, s[0:1]
.LBB73_68:
	s_endpgm
	.section	.rodata,"a",@progbits
	.p2align	6, 0x0
	.amdhsa_kernel _ZN7rocprim17ROCPRIM_400000_NS6detail17trampoline_kernelINS0_14default_configENS1_32segmented_reduce_config_selectorIfEEZNS1_21segmented_reduce_implIS3_PKfPfPKifN6hipcub16HIPCUB_304000_NS6detail27convert_result_type_wrapperIS8_S9_N2at6native12_GLOBAL__N_110CustomProdEEEEE10hipError_tPvRmT0_T1_jT2_SQ_T4_T3_P12ihipStream_tbEUlT_E_NS1_11comp_targetILNS1_3genE2ELNS1_11target_archE906ELNS1_3gpuE6ELNS1_3repE0EEENS1_30default_config_static_selectorELNS0_4arch9wavefront6targetE1EEEvSP_
		.amdhsa_group_segment_fixed_size 16
		.amdhsa_private_segment_fixed_size 0
		.amdhsa_kernarg_size 48
		.amdhsa_user_sgpr_count 6
		.amdhsa_user_sgpr_private_segment_buffer 1
		.amdhsa_user_sgpr_dispatch_ptr 0
		.amdhsa_user_sgpr_queue_ptr 0
		.amdhsa_user_sgpr_kernarg_segment_ptr 1
		.amdhsa_user_sgpr_dispatch_id 0
		.amdhsa_user_sgpr_flat_scratch_init 0
		.amdhsa_user_sgpr_private_segment_size 0
		.amdhsa_uses_dynamic_stack 0
		.amdhsa_system_sgpr_private_segment_wavefront_offset 0
		.amdhsa_system_sgpr_workgroup_id_x 1
		.amdhsa_system_sgpr_workgroup_id_y 0
		.amdhsa_system_sgpr_workgroup_id_z 0
		.amdhsa_system_sgpr_workgroup_info 0
		.amdhsa_system_vgpr_workitem_id 0
		.amdhsa_next_free_vgpr 23
		.amdhsa_next_free_sgpr 49
		.amdhsa_reserve_vcc 1
		.amdhsa_reserve_flat_scratch 0
		.amdhsa_float_round_mode_32 0
		.amdhsa_float_round_mode_16_64 0
		.amdhsa_float_denorm_mode_32 3
		.amdhsa_float_denorm_mode_16_64 3
		.amdhsa_dx10_clamp 1
		.amdhsa_ieee_mode 1
		.amdhsa_fp16_overflow 0
		.amdhsa_exception_fp_ieee_invalid_op 0
		.amdhsa_exception_fp_denorm_src 0
		.amdhsa_exception_fp_ieee_div_zero 0
		.amdhsa_exception_fp_ieee_overflow 0
		.amdhsa_exception_fp_ieee_underflow 0
		.amdhsa_exception_fp_ieee_inexact 0
		.amdhsa_exception_int_div_zero 0
	.end_amdhsa_kernel
	.section	.text._ZN7rocprim17ROCPRIM_400000_NS6detail17trampoline_kernelINS0_14default_configENS1_32segmented_reduce_config_selectorIfEEZNS1_21segmented_reduce_implIS3_PKfPfPKifN6hipcub16HIPCUB_304000_NS6detail27convert_result_type_wrapperIS8_S9_N2at6native12_GLOBAL__N_110CustomProdEEEEE10hipError_tPvRmT0_T1_jT2_SQ_T4_T3_P12ihipStream_tbEUlT_E_NS1_11comp_targetILNS1_3genE2ELNS1_11target_archE906ELNS1_3gpuE6ELNS1_3repE0EEENS1_30default_config_static_selectorELNS0_4arch9wavefront6targetE1EEEvSP_,"axG",@progbits,_ZN7rocprim17ROCPRIM_400000_NS6detail17trampoline_kernelINS0_14default_configENS1_32segmented_reduce_config_selectorIfEEZNS1_21segmented_reduce_implIS3_PKfPfPKifN6hipcub16HIPCUB_304000_NS6detail27convert_result_type_wrapperIS8_S9_N2at6native12_GLOBAL__N_110CustomProdEEEEE10hipError_tPvRmT0_T1_jT2_SQ_T4_T3_P12ihipStream_tbEUlT_E_NS1_11comp_targetILNS1_3genE2ELNS1_11target_archE906ELNS1_3gpuE6ELNS1_3repE0EEENS1_30default_config_static_selectorELNS0_4arch9wavefront6targetE1EEEvSP_,comdat
.Lfunc_end73:
	.size	_ZN7rocprim17ROCPRIM_400000_NS6detail17trampoline_kernelINS0_14default_configENS1_32segmented_reduce_config_selectorIfEEZNS1_21segmented_reduce_implIS3_PKfPfPKifN6hipcub16HIPCUB_304000_NS6detail27convert_result_type_wrapperIS8_S9_N2at6native12_GLOBAL__N_110CustomProdEEEEE10hipError_tPvRmT0_T1_jT2_SQ_T4_T3_P12ihipStream_tbEUlT_E_NS1_11comp_targetILNS1_3genE2ELNS1_11target_archE906ELNS1_3gpuE6ELNS1_3repE0EEENS1_30default_config_static_selectorELNS0_4arch9wavefront6targetE1EEEvSP_, .Lfunc_end73-_ZN7rocprim17ROCPRIM_400000_NS6detail17trampoline_kernelINS0_14default_configENS1_32segmented_reduce_config_selectorIfEEZNS1_21segmented_reduce_implIS3_PKfPfPKifN6hipcub16HIPCUB_304000_NS6detail27convert_result_type_wrapperIS8_S9_N2at6native12_GLOBAL__N_110CustomProdEEEEE10hipError_tPvRmT0_T1_jT2_SQ_T4_T3_P12ihipStream_tbEUlT_E_NS1_11comp_targetILNS1_3genE2ELNS1_11target_archE906ELNS1_3gpuE6ELNS1_3repE0EEENS1_30default_config_static_selectorELNS0_4arch9wavefront6targetE1EEEvSP_
                                        ; -- End function
	.set _ZN7rocprim17ROCPRIM_400000_NS6detail17trampoline_kernelINS0_14default_configENS1_32segmented_reduce_config_selectorIfEEZNS1_21segmented_reduce_implIS3_PKfPfPKifN6hipcub16HIPCUB_304000_NS6detail27convert_result_type_wrapperIS8_S9_N2at6native12_GLOBAL__N_110CustomProdEEEEE10hipError_tPvRmT0_T1_jT2_SQ_T4_T3_P12ihipStream_tbEUlT_E_NS1_11comp_targetILNS1_3genE2ELNS1_11target_archE906ELNS1_3gpuE6ELNS1_3repE0EEENS1_30default_config_static_selectorELNS0_4arch9wavefront6targetE1EEEvSP_.num_vgpr, 23
	.set _ZN7rocprim17ROCPRIM_400000_NS6detail17trampoline_kernelINS0_14default_configENS1_32segmented_reduce_config_selectorIfEEZNS1_21segmented_reduce_implIS3_PKfPfPKifN6hipcub16HIPCUB_304000_NS6detail27convert_result_type_wrapperIS8_S9_N2at6native12_GLOBAL__N_110CustomProdEEEEE10hipError_tPvRmT0_T1_jT2_SQ_T4_T3_P12ihipStream_tbEUlT_E_NS1_11comp_targetILNS1_3genE2ELNS1_11target_archE906ELNS1_3gpuE6ELNS1_3repE0EEENS1_30default_config_static_selectorELNS0_4arch9wavefront6targetE1EEEvSP_.num_agpr, 0
	.set _ZN7rocprim17ROCPRIM_400000_NS6detail17trampoline_kernelINS0_14default_configENS1_32segmented_reduce_config_selectorIfEEZNS1_21segmented_reduce_implIS3_PKfPfPKifN6hipcub16HIPCUB_304000_NS6detail27convert_result_type_wrapperIS8_S9_N2at6native12_GLOBAL__N_110CustomProdEEEEE10hipError_tPvRmT0_T1_jT2_SQ_T4_T3_P12ihipStream_tbEUlT_E_NS1_11comp_targetILNS1_3genE2ELNS1_11target_archE906ELNS1_3gpuE6ELNS1_3repE0EEENS1_30default_config_static_selectorELNS0_4arch9wavefront6targetE1EEEvSP_.numbered_sgpr, 49
	.set _ZN7rocprim17ROCPRIM_400000_NS6detail17trampoline_kernelINS0_14default_configENS1_32segmented_reduce_config_selectorIfEEZNS1_21segmented_reduce_implIS3_PKfPfPKifN6hipcub16HIPCUB_304000_NS6detail27convert_result_type_wrapperIS8_S9_N2at6native12_GLOBAL__N_110CustomProdEEEEE10hipError_tPvRmT0_T1_jT2_SQ_T4_T3_P12ihipStream_tbEUlT_E_NS1_11comp_targetILNS1_3genE2ELNS1_11target_archE906ELNS1_3gpuE6ELNS1_3repE0EEENS1_30default_config_static_selectorELNS0_4arch9wavefront6targetE1EEEvSP_.num_named_barrier, 0
	.set _ZN7rocprim17ROCPRIM_400000_NS6detail17trampoline_kernelINS0_14default_configENS1_32segmented_reduce_config_selectorIfEEZNS1_21segmented_reduce_implIS3_PKfPfPKifN6hipcub16HIPCUB_304000_NS6detail27convert_result_type_wrapperIS8_S9_N2at6native12_GLOBAL__N_110CustomProdEEEEE10hipError_tPvRmT0_T1_jT2_SQ_T4_T3_P12ihipStream_tbEUlT_E_NS1_11comp_targetILNS1_3genE2ELNS1_11target_archE906ELNS1_3gpuE6ELNS1_3repE0EEENS1_30default_config_static_selectorELNS0_4arch9wavefront6targetE1EEEvSP_.private_seg_size, 0
	.set _ZN7rocprim17ROCPRIM_400000_NS6detail17trampoline_kernelINS0_14default_configENS1_32segmented_reduce_config_selectorIfEEZNS1_21segmented_reduce_implIS3_PKfPfPKifN6hipcub16HIPCUB_304000_NS6detail27convert_result_type_wrapperIS8_S9_N2at6native12_GLOBAL__N_110CustomProdEEEEE10hipError_tPvRmT0_T1_jT2_SQ_T4_T3_P12ihipStream_tbEUlT_E_NS1_11comp_targetILNS1_3genE2ELNS1_11target_archE906ELNS1_3gpuE6ELNS1_3repE0EEENS1_30default_config_static_selectorELNS0_4arch9wavefront6targetE1EEEvSP_.uses_vcc, 1
	.set _ZN7rocprim17ROCPRIM_400000_NS6detail17trampoline_kernelINS0_14default_configENS1_32segmented_reduce_config_selectorIfEEZNS1_21segmented_reduce_implIS3_PKfPfPKifN6hipcub16HIPCUB_304000_NS6detail27convert_result_type_wrapperIS8_S9_N2at6native12_GLOBAL__N_110CustomProdEEEEE10hipError_tPvRmT0_T1_jT2_SQ_T4_T3_P12ihipStream_tbEUlT_E_NS1_11comp_targetILNS1_3genE2ELNS1_11target_archE906ELNS1_3gpuE6ELNS1_3repE0EEENS1_30default_config_static_selectorELNS0_4arch9wavefront6targetE1EEEvSP_.uses_flat_scratch, 0
	.set _ZN7rocprim17ROCPRIM_400000_NS6detail17trampoline_kernelINS0_14default_configENS1_32segmented_reduce_config_selectorIfEEZNS1_21segmented_reduce_implIS3_PKfPfPKifN6hipcub16HIPCUB_304000_NS6detail27convert_result_type_wrapperIS8_S9_N2at6native12_GLOBAL__N_110CustomProdEEEEE10hipError_tPvRmT0_T1_jT2_SQ_T4_T3_P12ihipStream_tbEUlT_E_NS1_11comp_targetILNS1_3genE2ELNS1_11target_archE906ELNS1_3gpuE6ELNS1_3repE0EEENS1_30default_config_static_selectorELNS0_4arch9wavefront6targetE1EEEvSP_.has_dyn_sized_stack, 0
	.set _ZN7rocprim17ROCPRIM_400000_NS6detail17trampoline_kernelINS0_14default_configENS1_32segmented_reduce_config_selectorIfEEZNS1_21segmented_reduce_implIS3_PKfPfPKifN6hipcub16HIPCUB_304000_NS6detail27convert_result_type_wrapperIS8_S9_N2at6native12_GLOBAL__N_110CustomProdEEEEE10hipError_tPvRmT0_T1_jT2_SQ_T4_T3_P12ihipStream_tbEUlT_E_NS1_11comp_targetILNS1_3genE2ELNS1_11target_archE906ELNS1_3gpuE6ELNS1_3repE0EEENS1_30default_config_static_selectorELNS0_4arch9wavefront6targetE1EEEvSP_.has_recursion, 0
	.set _ZN7rocprim17ROCPRIM_400000_NS6detail17trampoline_kernelINS0_14default_configENS1_32segmented_reduce_config_selectorIfEEZNS1_21segmented_reduce_implIS3_PKfPfPKifN6hipcub16HIPCUB_304000_NS6detail27convert_result_type_wrapperIS8_S9_N2at6native12_GLOBAL__N_110CustomProdEEEEE10hipError_tPvRmT0_T1_jT2_SQ_T4_T3_P12ihipStream_tbEUlT_E_NS1_11comp_targetILNS1_3genE2ELNS1_11target_archE906ELNS1_3gpuE6ELNS1_3repE0EEENS1_30default_config_static_selectorELNS0_4arch9wavefront6targetE1EEEvSP_.has_indirect_call, 0
	.section	.AMDGPU.csdata,"",@progbits
; Kernel info:
; codeLenInByte = 2848
; TotalNumSgprs: 53
; NumVgprs: 23
; ScratchSize: 0
; MemoryBound: 0
; FloatMode: 240
; IeeeMode: 1
; LDSByteSize: 16 bytes/workgroup (compile time only)
; SGPRBlocks: 6
; VGPRBlocks: 5
; NumSGPRsForWavesPerEU: 53
; NumVGPRsForWavesPerEU: 23
; Occupancy: 10
; WaveLimiterHint : 1
; COMPUTE_PGM_RSRC2:SCRATCH_EN: 0
; COMPUTE_PGM_RSRC2:USER_SGPR: 6
; COMPUTE_PGM_RSRC2:TRAP_HANDLER: 0
; COMPUTE_PGM_RSRC2:TGID_X_EN: 1
; COMPUTE_PGM_RSRC2:TGID_Y_EN: 0
; COMPUTE_PGM_RSRC2:TGID_Z_EN: 0
; COMPUTE_PGM_RSRC2:TIDIG_COMP_CNT: 0
	.section	.text._ZN7rocprim17ROCPRIM_400000_NS6detail17trampoline_kernelINS0_14default_configENS1_32segmented_reduce_config_selectorIfEEZNS1_21segmented_reduce_implIS3_PKfPfPKifN6hipcub16HIPCUB_304000_NS6detail27convert_result_type_wrapperIS8_S9_N2at6native12_GLOBAL__N_110CustomProdEEEEE10hipError_tPvRmT0_T1_jT2_SQ_T4_T3_P12ihipStream_tbEUlT_E_NS1_11comp_targetILNS1_3genE9ELNS1_11target_archE1100ELNS1_3gpuE3ELNS1_3repE0EEENS1_30default_config_static_selectorELNS0_4arch9wavefront6targetE1EEEvSP_,"axG",@progbits,_ZN7rocprim17ROCPRIM_400000_NS6detail17trampoline_kernelINS0_14default_configENS1_32segmented_reduce_config_selectorIfEEZNS1_21segmented_reduce_implIS3_PKfPfPKifN6hipcub16HIPCUB_304000_NS6detail27convert_result_type_wrapperIS8_S9_N2at6native12_GLOBAL__N_110CustomProdEEEEE10hipError_tPvRmT0_T1_jT2_SQ_T4_T3_P12ihipStream_tbEUlT_E_NS1_11comp_targetILNS1_3genE9ELNS1_11target_archE1100ELNS1_3gpuE3ELNS1_3repE0EEENS1_30default_config_static_selectorELNS0_4arch9wavefront6targetE1EEEvSP_,comdat
	.globl	_ZN7rocprim17ROCPRIM_400000_NS6detail17trampoline_kernelINS0_14default_configENS1_32segmented_reduce_config_selectorIfEEZNS1_21segmented_reduce_implIS3_PKfPfPKifN6hipcub16HIPCUB_304000_NS6detail27convert_result_type_wrapperIS8_S9_N2at6native12_GLOBAL__N_110CustomProdEEEEE10hipError_tPvRmT0_T1_jT2_SQ_T4_T3_P12ihipStream_tbEUlT_E_NS1_11comp_targetILNS1_3genE9ELNS1_11target_archE1100ELNS1_3gpuE3ELNS1_3repE0EEENS1_30default_config_static_selectorELNS0_4arch9wavefront6targetE1EEEvSP_ ; -- Begin function _ZN7rocprim17ROCPRIM_400000_NS6detail17trampoline_kernelINS0_14default_configENS1_32segmented_reduce_config_selectorIfEEZNS1_21segmented_reduce_implIS3_PKfPfPKifN6hipcub16HIPCUB_304000_NS6detail27convert_result_type_wrapperIS8_S9_N2at6native12_GLOBAL__N_110CustomProdEEEEE10hipError_tPvRmT0_T1_jT2_SQ_T4_T3_P12ihipStream_tbEUlT_E_NS1_11comp_targetILNS1_3genE9ELNS1_11target_archE1100ELNS1_3gpuE3ELNS1_3repE0EEENS1_30default_config_static_selectorELNS0_4arch9wavefront6targetE1EEEvSP_
	.p2align	8
	.type	_ZN7rocprim17ROCPRIM_400000_NS6detail17trampoline_kernelINS0_14default_configENS1_32segmented_reduce_config_selectorIfEEZNS1_21segmented_reduce_implIS3_PKfPfPKifN6hipcub16HIPCUB_304000_NS6detail27convert_result_type_wrapperIS8_S9_N2at6native12_GLOBAL__N_110CustomProdEEEEE10hipError_tPvRmT0_T1_jT2_SQ_T4_T3_P12ihipStream_tbEUlT_E_NS1_11comp_targetILNS1_3genE9ELNS1_11target_archE1100ELNS1_3gpuE3ELNS1_3repE0EEENS1_30default_config_static_selectorELNS0_4arch9wavefront6targetE1EEEvSP_,@function
_ZN7rocprim17ROCPRIM_400000_NS6detail17trampoline_kernelINS0_14default_configENS1_32segmented_reduce_config_selectorIfEEZNS1_21segmented_reduce_implIS3_PKfPfPKifN6hipcub16HIPCUB_304000_NS6detail27convert_result_type_wrapperIS8_S9_N2at6native12_GLOBAL__N_110CustomProdEEEEE10hipError_tPvRmT0_T1_jT2_SQ_T4_T3_P12ihipStream_tbEUlT_E_NS1_11comp_targetILNS1_3genE9ELNS1_11target_archE1100ELNS1_3gpuE3ELNS1_3repE0EEENS1_30default_config_static_selectorELNS0_4arch9wavefront6targetE1EEEvSP_: ; @_ZN7rocprim17ROCPRIM_400000_NS6detail17trampoline_kernelINS0_14default_configENS1_32segmented_reduce_config_selectorIfEEZNS1_21segmented_reduce_implIS3_PKfPfPKifN6hipcub16HIPCUB_304000_NS6detail27convert_result_type_wrapperIS8_S9_N2at6native12_GLOBAL__N_110CustomProdEEEEE10hipError_tPvRmT0_T1_jT2_SQ_T4_T3_P12ihipStream_tbEUlT_E_NS1_11comp_targetILNS1_3genE9ELNS1_11target_archE1100ELNS1_3gpuE3ELNS1_3repE0EEENS1_30default_config_static_selectorELNS0_4arch9wavefront6targetE1EEEvSP_
; %bb.0:
	.section	.rodata,"a",@progbits
	.p2align	6, 0x0
	.amdhsa_kernel _ZN7rocprim17ROCPRIM_400000_NS6detail17trampoline_kernelINS0_14default_configENS1_32segmented_reduce_config_selectorIfEEZNS1_21segmented_reduce_implIS3_PKfPfPKifN6hipcub16HIPCUB_304000_NS6detail27convert_result_type_wrapperIS8_S9_N2at6native12_GLOBAL__N_110CustomProdEEEEE10hipError_tPvRmT0_T1_jT2_SQ_T4_T3_P12ihipStream_tbEUlT_E_NS1_11comp_targetILNS1_3genE9ELNS1_11target_archE1100ELNS1_3gpuE3ELNS1_3repE0EEENS1_30default_config_static_selectorELNS0_4arch9wavefront6targetE1EEEvSP_
		.amdhsa_group_segment_fixed_size 0
		.amdhsa_private_segment_fixed_size 0
		.amdhsa_kernarg_size 48
		.amdhsa_user_sgpr_count 6
		.amdhsa_user_sgpr_private_segment_buffer 1
		.amdhsa_user_sgpr_dispatch_ptr 0
		.amdhsa_user_sgpr_queue_ptr 0
		.amdhsa_user_sgpr_kernarg_segment_ptr 1
		.amdhsa_user_sgpr_dispatch_id 0
		.amdhsa_user_sgpr_flat_scratch_init 0
		.amdhsa_user_sgpr_private_segment_size 0
		.amdhsa_uses_dynamic_stack 0
		.amdhsa_system_sgpr_private_segment_wavefront_offset 0
		.amdhsa_system_sgpr_workgroup_id_x 1
		.amdhsa_system_sgpr_workgroup_id_y 0
		.amdhsa_system_sgpr_workgroup_id_z 0
		.amdhsa_system_sgpr_workgroup_info 0
		.amdhsa_system_vgpr_workitem_id 0
		.amdhsa_next_free_vgpr 1
		.amdhsa_next_free_sgpr 0
		.amdhsa_reserve_vcc 0
		.amdhsa_reserve_flat_scratch 0
		.amdhsa_float_round_mode_32 0
		.amdhsa_float_round_mode_16_64 0
		.amdhsa_float_denorm_mode_32 3
		.amdhsa_float_denorm_mode_16_64 3
		.amdhsa_dx10_clamp 1
		.amdhsa_ieee_mode 1
		.amdhsa_fp16_overflow 0
		.amdhsa_exception_fp_ieee_invalid_op 0
		.amdhsa_exception_fp_denorm_src 0
		.amdhsa_exception_fp_ieee_div_zero 0
		.amdhsa_exception_fp_ieee_overflow 0
		.amdhsa_exception_fp_ieee_underflow 0
		.amdhsa_exception_fp_ieee_inexact 0
		.amdhsa_exception_int_div_zero 0
	.end_amdhsa_kernel
	.section	.text._ZN7rocprim17ROCPRIM_400000_NS6detail17trampoline_kernelINS0_14default_configENS1_32segmented_reduce_config_selectorIfEEZNS1_21segmented_reduce_implIS3_PKfPfPKifN6hipcub16HIPCUB_304000_NS6detail27convert_result_type_wrapperIS8_S9_N2at6native12_GLOBAL__N_110CustomProdEEEEE10hipError_tPvRmT0_T1_jT2_SQ_T4_T3_P12ihipStream_tbEUlT_E_NS1_11comp_targetILNS1_3genE9ELNS1_11target_archE1100ELNS1_3gpuE3ELNS1_3repE0EEENS1_30default_config_static_selectorELNS0_4arch9wavefront6targetE1EEEvSP_,"axG",@progbits,_ZN7rocprim17ROCPRIM_400000_NS6detail17trampoline_kernelINS0_14default_configENS1_32segmented_reduce_config_selectorIfEEZNS1_21segmented_reduce_implIS3_PKfPfPKifN6hipcub16HIPCUB_304000_NS6detail27convert_result_type_wrapperIS8_S9_N2at6native12_GLOBAL__N_110CustomProdEEEEE10hipError_tPvRmT0_T1_jT2_SQ_T4_T3_P12ihipStream_tbEUlT_E_NS1_11comp_targetILNS1_3genE9ELNS1_11target_archE1100ELNS1_3gpuE3ELNS1_3repE0EEENS1_30default_config_static_selectorELNS0_4arch9wavefront6targetE1EEEvSP_,comdat
.Lfunc_end74:
	.size	_ZN7rocprim17ROCPRIM_400000_NS6detail17trampoline_kernelINS0_14default_configENS1_32segmented_reduce_config_selectorIfEEZNS1_21segmented_reduce_implIS3_PKfPfPKifN6hipcub16HIPCUB_304000_NS6detail27convert_result_type_wrapperIS8_S9_N2at6native12_GLOBAL__N_110CustomProdEEEEE10hipError_tPvRmT0_T1_jT2_SQ_T4_T3_P12ihipStream_tbEUlT_E_NS1_11comp_targetILNS1_3genE9ELNS1_11target_archE1100ELNS1_3gpuE3ELNS1_3repE0EEENS1_30default_config_static_selectorELNS0_4arch9wavefront6targetE1EEEvSP_, .Lfunc_end74-_ZN7rocprim17ROCPRIM_400000_NS6detail17trampoline_kernelINS0_14default_configENS1_32segmented_reduce_config_selectorIfEEZNS1_21segmented_reduce_implIS3_PKfPfPKifN6hipcub16HIPCUB_304000_NS6detail27convert_result_type_wrapperIS8_S9_N2at6native12_GLOBAL__N_110CustomProdEEEEE10hipError_tPvRmT0_T1_jT2_SQ_T4_T3_P12ihipStream_tbEUlT_E_NS1_11comp_targetILNS1_3genE9ELNS1_11target_archE1100ELNS1_3gpuE3ELNS1_3repE0EEENS1_30default_config_static_selectorELNS0_4arch9wavefront6targetE1EEEvSP_
                                        ; -- End function
	.set _ZN7rocprim17ROCPRIM_400000_NS6detail17trampoline_kernelINS0_14default_configENS1_32segmented_reduce_config_selectorIfEEZNS1_21segmented_reduce_implIS3_PKfPfPKifN6hipcub16HIPCUB_304000_NS6detail27convert_result_type_wrapperIS8_S9_N2at6native12_GLOBAL__N_110CustomProdEEEEE10hipError_tPvRmT0_T1_jT2_SQ_T4_T3_P12ihipStream_tbEUlT_E_NS1_11comp_targetILNS1_3genE9ELNS1_11target_archE1100ELNS1_3gpuE3ELNS1_3repE0EEENS1_30default_config_static_selectorELNS0_4arch9wavefront6targetE1EEEvSP_.num_vgpr, 0
	.set _ZN7rocprim17ROCPRIM_400000_NS6detail17trampoline_kernelINS0_14default_configENS1_32segmented_reduce_config_selectorIfEEZNS1_21segmented_reduce_implIS3_PKfPfPKifN6hipcub16HIPCUB_304000_NS6detail27convert_result_type_wrapperIS8_S9_N2at6native12_GLOBAL__N_110CustomProdEEEEE10hipError_tPvRmT0_T1_jT2_SQ_T4_T3_P12ihipStream_tbEUlT_E_NS1_11comp_targetILNS1_3genE9ELNS1_11target_archE1100ELNS1_3gpuE3ELNS1_3repE0EEENS1_30default_config_static_selectorELNS0_4arch9wavefront6targetE1EEEvSP_.num_agpr, 0
	.set _ZN7rocprim17ROCPRIM_400000_NS6detail17trampoline_kernelINS0_14default_configENS1_32segmented_reduce_config_selectorIfEEZNS1_21segmented_reduce_implIS3_PKfPfPKifN6hipcub16HIPCUB_304000_NS6detail27convert_result_type_wrapperIS8_S9_N2at6native12_GLOBAL__N_110CustomProdEEEEE10hipError_tPvRmT0_T1_jT2_SQ_T4_T3_P12ihipStream_tbEUlT_E_NS1_11comp_targetILNS1_3genE9ELNS1_11target_archE1100ELNS1_3gpuE3ELNS1_3repE0EEENS1_30default_config_static_selectorELNS0_4arch9wavefront6targetE1EEEvSP_.numbered_sgpr, 0
	.set _ZN7rocprim17ROCPRIM_400000_NS6detail17trampoline_kernelINS0_14default_configENS1_32segmented_reduce_config_selectorIfEEZNS1_21segmented_reduce_implIS3_PKfPfPKifN6hipcub16HIPCUB_304000_NS6detail27convert_result_type_wrapperIS8_S9_N2at6native12_GLOBAL__N_110CustomProdEEEEE10hipError_tPvRmT0_T1_jT2_SQ_T4_T3_P12ihipStream_tbEUlT_E_NS1_11comp_targetILNS1_3genE9ELNS1_11target_archE1100ELNS1_3gpuE3ELNS1_3repE0EEENS1_30default_config_static_selectorELNS0_4arch9wavefront6targetE1EEEvSP_.num_named_barrier, 0
	.set _ZN7rocprim17ROCPRIM_400000_NS6detail17trampoline_kernelINS0_14default_configENS1_32segmented_reduce_config_selectorIfEEZNS1_21segmented_reduce_implIS3_PKfPfPKifN6hipcub16HIPCUB_304000_NS6detail27convert_result_type_wrapperIS8_S9_N2at6native12_GLOBAL__N_110CustomProdEEEEE10hipError_tPvRmT0_T1_jT2_SQ_T4_T3_P12ihipStream_tbEUlT_E_NS1_11comp_targetILNS1_3genE9ELNS1_11target_archE1100ELNS1_3gpuE3ELNS1_3repE0EEENS1_30default_config_static_selectorELNS0_4arch9wavefront6targetE1EEEvSP_.private_seg_size, 0
	.set _ZN7rocprim17ROCPRIM_400000_NS6detail17trampoline_kernelINS0_14default_configENS1_32segmented_reduce_config_selectorIfEEZNS1_21segmented_reduce_implIS3_PKfPfPKifN6hipcub16HIPCUB_304000_NS6detail27convert_result_type_wrapperIS8_S9_N2at6native12_GLOBAL__N_110CustomProdEEEEE10hipError_tPvRmT0_T1_jT2_SQ_T4_T3_P12ihipStream_tbEUlT_E_NS1_11comp_targetILNS1_3genE9ELNS1_11target_archE1100ELNS1_3gpuE3ELNS1_3repE0EEENS1_30default_config_static_selectorELNS0_4arch9wavefront6targetE1EEEvSP_.uses_vcc, 0
	.set _ZN7rocprim17ROCPRIM_400000_NS6detail17trampoline_kernelINS0_14default_configENS1_32segmented_reduce_config_selectorIfEEZNS1_21segmented_reduce_implIS3_PKfPfPKifN6hipcub16HIPCUB_304000_NS6detail27convert_result_type_wrapperIS8_S9_N2at6native12_GLOBAL__N_110CustomProdEEEEE10hipError_tPvRmT0_T1_jT2_SQ_T4_T3_P12ihipStream_tbEUlT_E_NS1_11comp_targetILNS1_3genE9ELNS1_11target_archE1100ELNS1_3gpuE3ELNS1_3repE0EEENS1_30default_config_static_selectorELNS0_4arch9wavefront6targetE1EEEvSP_.uses_flat_scratch, 0
	.set _ZN7rocprim17ROCPRIM_400000_NS6detail17trampoline_kernelINS0_14default_configENS1_32segmented_reduce_config_selectorIfEEZNS1_21segmented_reduce_implIS3_PKfPfPKifN6hipcub16HIPCUB_304000_NS6detail27convert_result_type_wrapperIS8_S9_N2at6native12_GLOBAL__N_110CustomProdEEEEE10hipError_tPvRmT0_T1_jT2_SQ_T4_T3_P12ihipStream_tbEUlT_E_NS1_11comp_targetILNS1_3genE9ELNS1_11target_archE1100ELNS1_3gpuE3ELNS1_3repE0EEENS1_30default_config_static_selectorELNS0_4arch9wavefront6targetE1EEEvSP_.has_dyn_sized_stack, 0
	.set _ZN7rocprim17ROCPRIM_400000_NS6detail17trampoline_kernelINS0_14default_configENS1_32segmented_reduce_config_selectorIfEEZNS1_21segmented_reduce_implIS3_PKfPfPKifN6hipcub16HIPCUB_304000_NS6detail27convert_result_type_wrapperIS8_S9_N2at6native12_GLOBAL__N_110CustomProdEEEEE10hipError_tPvRmT0_T1_jT2_SQ_T4_T3_P12ihipStream_tbEUlT_E_NS1_11comp_targetILNS1_3genE9ELNS1_11target_archE1100ELNS1_3gpuE3ELNS1_3repE0EEENS1_30default_config_static_selectorELNS0_4arch9wavefront6targetE1EEEvSP_.has_recursion, 0
	.set _ZN7rocprim17ROCPRIM_400000_NS6detail17trampoline_kernelINS0_14default_configENS1_32segmented_reduce_config_selectorIfEEZNS1_21segmented_reduce_implIS3_PKfPfPKifN6hipcub16HIPCUB_304000_NS6detail27convert_result_type_wrapperIS8_S9_N2at6native12_GLOBAL__N_110CustomProdEEEEE10hipError_tPvRmT0_T1_jT2_SQ_T4_T3_P12ihipStream_tbEUlT_E_NS1_11comp_targetILNS1_3genE9ELNS1_11target_archE1100ELNS1_3gpuE3ELNS1_3repE0EEENS1_30default_config_static_selectorELNS0_4arch9wavefront6targetE1EEEvSP_.has_indirect_call, 0
	.section	.AMDGPU.csdata,"",@progbits
; Kernel info:
; codeLenInByte = 0
; TotalNumSgprs: 4
; NumVgprs: 0
; ScratchSize: 0
; MemoryBound: 0
; FloatMode: 240
; IeeeMode: 1
; LDSByteSize: 0 bytes/workgroup (compile time only)
; SGPRBlocks: 0
; VGPRBlocks: 0
; NumSGPRsForWavesPerEU: 4
; NumVGPRsForWavesPerEU: 1
; Occupancy: 10
; WaveLimiterHint : 0
; COMPUTE_PGM_RSRC2:SCRATCH_EN: 0
; COMPUTE_PGM_RSRC2:USER_SGPR: 6
; COMPUTE_PGM_RSRC2:TRAP_HANDLER: 0
; COMPUTE_PGM_RSRC2:TGID_X_EN: 1
; COMPUTE_PGM_RSRC2:TGID_Y_EN: 0
; COMPUTE_PGM_RSRC2:TGID_Z_EN: 0
; COMPUTE_PGM_RSRC2:TIDIG_COMP_CNT: 0
	.section	.text._ZN7rocprim17ROCPRIM_400000_NS6detail17trampoline_kernelINS0_14default_configENS1_32segmented_reduce_config_selectorIfEEZNS1_21segmented_reduce_implIS3_PKfPfPKifN6hipcub16HIPCUB_304000_NS6detail27convert_result_type_wrapperIS8_S9_N2at6native12_GLOBAL__N_110CustomProdEEEEE10hipError_tPvRmT0_T1_jT2_SQ_T4_T3_P12ihipStream_tbEUlT_E_NS1_11comp_targetILNS1_3genE8ELNS1_11target_archE1030ELNS1_3gpuE2ELNS1_3repE0EEENS1_30default_config_static_selectorELNS0_4arch9wavefront6targetE1EEEvSP_,"axG",@progbits,_ZN7rocprim17ROCPRIM_400000_NS6detail17trampoline_kernelINS0_14default_configENS1_32segmented_reduce_config_selectorIfEEZNS1_21segmented_reduce_implIS3_PKfPfPKifN6hipcub16HIPCUB_304000_NS6detail27convert_result_type_wrapperIS8_S9_N2at6native12_GLOBAL__N_110CustomProdEEEEE10hipError_tPvRmT0_T1_jT2_SQ_T4_T3_P12ihipStream_tbEUlT_E_NS1_11comp_targetILNS1_3genE8ELNS1_11target_archE1030ELNS1_3gpuE2ELNS1_3repE0EEENS1_30default_config_static_selectorELNS0_4arch9wavefront6targetE1EEEvSP_,comdat
	.globl	_ZN7rocprim17ROCPRIM_400000_NS6detail17trampoline_kernelINS0_14default_configENS1_32segmented_reduce_config_selectorIfEEZNS1_21segmented_reduce_implIS3_PKfPfPKifN6hipcub16HIPCUB_304000_NS6detail27convert_result_type_wrapperIS8_S9_N2at6native12_GLOBAL__N_110CustomProdEEEEE10hipError_tPvRmT0_T1_jT2_SQ_T4_T3_P12ihipStream_tbEUlT_E_NS1_11comp_targetILNS1_3genE8ELNS1_11target_archE1030ELNS1_3gpuE2ELNS1_3repE0EEENS1_30default_config_static_selectorELNS0_4arch9wavefront6targetE1EEEvSP_ ; -- Begin function _ZN7rocprim17ROCPRIM_400000_NS6detail17trampoline_kernelINS0_14default_configENS1_32segmented_reduce_config_selectorIfEEZNS1_21segmented_reduce_implIS3_PKfPfPKifN6hipcub16HIPCUB_304000_NS6detail27convert_result_type_wrapperIS8_S9_N2at6native12_GLOBAL__N_110CustomProdEEEEE10hipError_tPvRmT0_T1_jT2_SQ_T4_T3_P12ihipStream_tbEUlT_E_NS1_11comp_targetILNS1_3genE8ELNS1_11target_archE1030ELNS1_3gpuE2ELNS1_3repE0EEENS1_30default_config_static_selectorELNS0_4arch9wavefront6targetE1EEEvSP_
	.p2align	8
	.type	_ZN7rocprim17ROCPRIM_400000_NS6detail17trampoline_kernelINS0_14default_configENS1_32segmented_reduce_config_selectorIfEEZNS1_21segmented_reduce_implIS3_PKfPfPKifN6hipcub16HIPCUB_304000_NS6detail27convert_result_type_wrapperIS8_S9_N2at6native12_GLOBAL__N_110CustomProdEEEEE10hipError_tPvRmT0_T1_jT2_SQ_T4_T3_P12ihipStream_tbEUlT_E_NS1_11comp_targetILNS1_3genE8ELNS1_11target_archE1030ELNS1_3gpuE2ELNS1_3repE0EEENS1_30default_config_static_selectorELNS0_4arch9wavefront6targetE1EEEvSP_,@function
_ZN7rocprim17ROCPRIM_400000_NS6detail17trampoline_kernelINS0_14default_configENS1_32segmented_reduce_config_selectorIfEEZNS1_21segmented_reduce_implIS3_PKfPfPKifN6hipcub16HIPCUB_304000_NS6detail27convert_result_type_wrapperIS8_S9_N2at6native12_GLOBAL__N_110CustomProdEEEEE10hipError_tPvRmT0_T1_jT2_SQ_T4_T3_P12ihipStream_tbEUlT_E_NS1_11comp_targetILNS1_3genE8ELNS1_11target_archE1030ELNS1_3gpuE2ELNS1_3repE0EEENS1_30default_config_static_selectorELNS0_4arch9wavefront6targetE1EEEvSP_: ; @_ZN7rocprim17ROCPRIM_400000_NS6detail17trampoline_kernelINS0_14default_configENS1_32segmented_reduce_config_selectorIfEEZNS1_21segmented_reduce_implIS3_PKfPfPKifN6hipcub16HIPCUB_304000_NS6detail27convert_result_type_wrapperIS8_S9_N2at6native12_GLOBAL__N_110CustomProdEEEEE10hipError_tPvRmT0_T1_jT2_SQ_T4_T3_P12ihipStream_tbEUlT_E_NS1_11comp_targetILNS1_3genE8ELNS1_11target_archE1030ELNS1_3gpuE2ELNS1_3repE0EEENS1_30default_config_static_selectorELNS0_4arch9wavefront6targetE1EEEvSP_
; %bb.0:
	.section	.rodata,"a",@progbits
	.p2align	6, 0x0
	.amdhsa_kernel _ZN7rocprim17ROCPRIM_400000_NS6detail17trampoline_kernelINS0_14default_configENS1_32segmented_reduce_config_selectorIfEEZNS1_21segmented_reduce_implIS3_PKfPfPKifN6hipcub16HIPCUB_304000_NS6detail27convert_result_type_wrapperIS8_S9_N2at6native12_GLOBAL__N_110CustomProdEEEEE10hipError_tPvRmT0_T1_jT2_SQ_T4_T3_P12ihipStream_tbEUlT_E_NS1_11comp_targetILNS1_3genE8ELNS1_11target_archE1030ELNS1_3gpuE2ELNS1_3repE0EEENS1_30default_config_static_selectorELNS0_4arch9wavefront6targetE1EEEvSP_
		.amdhsa_group_segment_fixed_size 0
		.amdhsa_private_segment_fixed_size 0
		.amdhsa_kernarg_size 48
		.amdhsa_user_sgpr_count 6
		.amdhsa_user_sgpr_private_segment_buffer 1
		.amdhsa_user_sgpr_dispatch_ptr 0
		.amdhsa_user_sgpr_queue_ptr 0
		.amdhsa_user_sgpr_kernarg_segment_ptr 1
		.amdhsa_user_sgpr_dispatch_id 0
		.amdhsa_user_sgpr_flat_scratch_init 0
		.amdhsa_user_sgpr_private_segment_size 0
		.amdhsa_uses_dynamic_stack 0
		.amdhsa_system_sgpr_private_segment_wavefront_offset 0
		.amdhsa_system_sgpr_workgroup_id_x 1
		.amdhsa_system_sgpr_workgroup_id_y 0
		.amdhsa_system_sgpr_workgroup_id_z 0
		.amdhsa_system_sgpr_workgroup_info 0
		.amdhsa_system_vgpr_workitem_id 0
		.amdhsa_next_free_vgpr 1
		.amdhsa_next_free_sgpr 0
		.amdhsa_reserve_vcc 0
		.amdhsa_reserve_flat_scratch 0
		.amdhsa_float_round_mode_32 0
		.amdhsa_float_round_mode_16_64 0
		.amdhsa_float_denorm_mode_32 3
		.amdhsa_float_denorm_mode_16_64 3
		.amdhsa_dx10_clamp 1
		.amdhsa_ieee_mode 1
		.amdhsa_fp16_overflow 0
		.amdhsa_exception_fp_ieee_invalid_op 0
		.amdhsa_exception_fp_denorm_src 0
		.amdhsa_exception_fp_ieee_div_zero 0
		.amdhsa_exception_fp_ieee_overflow 0
		.amdhsa_exception_fp_ieee_underflow 0
		.amdhsa_exception_fp_ieee_inexact 0
		.amdhsa_exception_int_div_zero 0
	.end_amdhsa_kernel
	.section	.text._ZN7rocprim17ROCPRIM_400000_NS6detail17trampoline_kernelINS0_14default_configENS1_32segmented_reduce_config_selectorIfEEZNS1_21segmented_reduce_implIS3_PKfPfPKifN6hipcub16HIPCUB_304000_NS6detail27convert_result_type_wrapperIS8_S9_N2at6native12_GLOBAL__N_110CustomProdEEEEE10hipError_tPvRmT0_T1_jT2_SQ_T4_T3_P12ihipStream_tbEUlT_E_NS1_11comp_targetILNS1_3genE8ELNS1_11target_archE1030ELNS1_3gpuE2ELNS1_3repE0EEENS1_30default_config_static_selectorELNS0_4arch9wavefront6targetE1EEEvSP_,"axG",@progbits,_ZN7rocprim17ROCPRIM_400000_NS6detail17trampoline_kernelINS0_14default_configENS1_32segmented_reduce_config_selectorIfEEZNS1_21segmented_reduce_implIS3_PKfPfPKifN6hipcub16HIPCUB_304000_NS6detail27convert_result_type_wrapperIS8_S9_N2at6native12_GLOBAL__N_110CustomProdEEEEE10hipError_tPvRmT0_T1_jT2_SQ_T4_T3_P12ihipStream_tbEUlT_E_NS1_11comp_targetILNS1_3genE8ELNS1_11target_archE1030ELNS1_3gpuE2ELNS1_3repE0EEENS1_30default_config_static_selectorELNS0_4arch9wavefront6targetE1EEEvSP_,comdat
.Lfunc_end75:
	.size	_ZN7rocprim17ROCPRIM_400000_NS6detail17trampoline_kernelINS0_14default_configENS1_32segmented_reduce_config_selectorIfEEZNS1_21segmented_reduce_implIS3_PKfPfPKifN6hipcub16HIPCUB_304000_NS6detail27convert_result_type_wrapperIS8_S9_N2at6native12_GLOBAL__N_110CustomProdEEEEE10hipError_tPvRmT0_T1_jT2_SQ_T4_T3_P12ihipStream_tbEUlT_E_NS1_11comp_targetILNS1_3genE8ELNS1_11target_archE1030ELNS1_3gpuE2ELNS1_3repE0EEENS1_30default_config_static_selectorELNS0_4arch9wavefront6targetE1EEEvSP_, .Lfunc_end75-_ZN7rocprim17ROCPRIM_400000_NS6detail17trampoline_kernelINS0_14default_configENS1_32segmented_reduce_config_selectorIfEEZNS1_21segmented_reduce_implIS3_PKfPfPKifN6hipcub16HIPCUB_304000_NS6detail27convert_result_type_wrapperIS8_S9_N2at6native12_GLOBAL__N_110CustomProdEEEEE10hipError_tPvRmT0_T1_jT2_SQ_T4_T3_P12ihipStream_tbEUlT_E_NS1_11comp_targetILNS1_3genE8ELNS1_11target_archE1030ELNS1_3gpuE2ELNS1_3repE0EEENS1_30default_config_static_selectorELNS0_4arch9wavefront6targetE1EEEvSP_
                                        ; -- End function
	.set _ZN7rocprim17ROCPRIM_400000_NS6detail17trampoline_kernelINS0_14default_configENS1_32segmented_reduce_config_selectorIfEEZNS1_21segmented_reduce_implIS3_PKfPfPKifN6hipcub16HIPCUB_304000_NS6detail27convert_result_type_wrapperIS8_S9_N2at6native12_GLOBAL__N_110CustomProdEEEEE10hipError_tPvRmT0_T1_jT2_SQ_T4_T3_P12ihipStream_tbEUlT_E_NS1_11comp_targetILNS1_3genE8ELNS1_11target_archE1030ELNS1_3gpuE2ELNS1_3repE0EEENS1_30default_config_static_selectorELNS0_4arch9wavefront6targetE1EEEvSP_.num_vgpr, 0
	.set _ZN7rocprim17ROCPRIM_400000_NS6detail17trampoline_kernelINS0_14default_configENS1_32segmented_reduce_config_selectorIfEEZNS1_21segmented_reduce_implIS3_PKfPfPKifN6hipcub16HIPCUB_304000_NS6detail27convert_result_type_wrapperIS8_S9_N2at6native12_GLOBAL__N_110CustomProdEEEEE10hipError_tPvRmT0_T1_jT2_SQ_T4_T3_P12ihipStream_tbEUlT_E_NS1_11comp_targetILNS1_3genE8ELNS1_11target_archE1030ELNS1_3gpuE2ELNS1_3repE0EEENS1_30default_config_static_selectorELNS0_4arch9wavefront6targetE1EEEvSP_.num_agpr, 0
	.set _ZN7rocprim17ROCPRIM_400000_NS6detail17trampoline_kernelINS0_14default_configENS1_32segmented_reduce_config_selectorIfEEZNS1_21segmented_reduce_implIS3_PKfPfPKifN6hipcub16HIPCUB_304000_NS6detail27convert_result_type_wrapperIS8_S9_N2at6native12_GLOBAL__N_110CustomProdEEEEE10hipError_tPvRmT0_T1_jT2_SQ_T4_T3_P12ihipStream_tbEUlT_E_NS1_11comp_targetILNS1_3genE8ELNS1_11target_archE1030ELNS1_3gpuE2ELNS1_3repE0EEENS1_30default_config_static_selectorELNS0_4arch9wavefront6targetE1EEEvSP_.numbered_sgpr, 0
	.set _ZN7rocprim17ROCPRIM_400000_NS6detail17trampoline_kernelINS0_14default_configENS1_32segmented_reduce_config_selectorIfEEZNS1_21segmented_reduce_implIS3_PKfPfPKifN6hipcub16HIPCUB_304000_NS6detail27convert_result_type_wrapperIS8_S9_N2at6native12_GLOBAL__N_110CustomProdEEEEE10hipError_tPvRmT0_T1_jT2_SQ_T4_T3_P12ihipStream_tbEUlT_E_NS1_11comp_targetILNS1_3genE8ELNS1_11target_archE1030ELNS1_3gpuE2ELNS1_3repE0EEENS1_30default_config_static_selectorELNS0_4arch9wavefront6targetE1EEEvSP_.num_named_barrier, 0
	.set _ZN7rocprim17ROCPRIM_400000_NS6detail17trampoline_kernelINS0_14default_configENS1_32segmented_reduce_config_selectorIfEEZNS1_21segmented_reduce_implIS3_PKfPfPKifN6hipcub16HIPCUB_304000_NS6detail27convert_result_type_wrapperIS8_S9_N2at6native12_GLOBAL__N_110CustomProdEEEEE10hipError_tPvRmT0_T1_jT2_SQ_T4_T3_P12ihipStream_tbEUlT_E_NS1_11comp_targetILNS1_3genE8ELNS1_11target_archE1030ELNS1_3gpuE2ELNS1_3repE0EEENS1_30default_config_static_selectorELNS0_4arch9wavefront6targetE1EEEvSP_.private_seg_size, 0
	.set _ZN7rocprim17ROCPRIM_400000_NS6detail17trampoline_kernelINS0_14default_configENS1_32segmented_reduce_config_selectorIfEEZNS1_21segmented_reduce_implIS3_PKfPfPKifN6hipcub16HIPCUB_304000_NS6detail27convert_result_type_wrapperIS8_S9_N2at6native12_GLOBAL__N_110CustomProdEEEEE10hipError_tPvRmT0_T1_jT2_SQ_T4_T3_P12ihipStream_tbEUlT_E_NS1_11comp_targetILNS1_3genE8ELNS1_11target_archE1030ELNS1_3gpuE2ELNS1_3repE0EEENS1_30default_config_static_selectorELNS0_4arch9wavefront6targetE1EEEvSP_.uses_vcc, 0
	.set _ZN7rocprim17ROCPRIM_400000_NS6detail17trampoline_kernelINS0_14default_configENS1_32segmented_reduce_config_selectorIfEEZNS1_21segmented_reduce_implIS3_PKfPfPKifN6hipcub16HIPCUB_304000_NS6detail27convert_result_type_wrapperIS8_S9_N2at6native12_GLOBAL__N_110CustomProdEEEEE10hipError_tPvRmT0_T1_jT2_SQ_T4_T3_P12ihipStream_tbEUlT_E_NS1_11comp_targetILNS1_3genE8ELNS1_11target_archE1030ELNS1_3gpuE2ELNS1_3repE0EEENS1_30default_config_static_selectorELNS0_4arch9wavefront6targetE1EEEvSP_.uses_flat_scratch, 0
	.set _ZN7rocprim17ROCPRIM_400000_NS6detail17trampoline_kernelINS0_14default_configENS1_32segmented_reduce_config_selectorIfEEZNS1_21segmented_reduce_implIS3_PKfPfPKifN6hipcub16HIPCUB_304000_NS6detail27convert_result_type_wrapperIS8_S9_N2at6native12_GLOBAL__N_110CustomProdEEEEE10hipError_tPvRmT0_T1_jT2_SQ_T4_T3_P12ihipStream_tbEUlT_E_NS1_11comp_targetILNS1_3genE8ELNS1_11target_archE1030ELNS1_3gpuE2ELNS1_3repE0EEENS1_30default_config_static_selectorELNS0_4arch9wavefront6targetE1EEEvSP_.has_dyn_sized_stack, 0
	.set _ZN7rocprim17ROCPRIM_400000_NS6detail17trampoline_kernelINS0_14default_configENS1_32segmented_reduce_config_selectorIfEEZNS1_21segmented_reduce_implIS3_PKfPfPKifN6hipcub16HIPCUB_304000_NS6detail27convert_result_type_wrapperIS8_S9_N2at6native12_GLOBAL__N_110CustomProdEEEEE10hipError_tPvRmT0_T1_jT2_SQ_T4_T3_P12ihipStream_tbEUlT_E_NS1_11comp_targetILNS1_3genE8ELNS1_11target_archE1030ELNS1_3gpuE2ELNS1_3repE0EEENS1_30default_config_static_selectorELNS0_4arch9wavefront6targetE1EEEvSP_.has_recursion, 0
	.set _ZN7rocprim17ROCPRIM_400000_NS6detail17trampoline_kernelINS0_14default_configENS1_32segmented_reduce_config_selectorIfEEZNS1_21segmented_reduce_implIS3_PKfPfPKifN6hipcub16HIPCUB_304000_NS6detail27convert_result_type_wrapperIS8_S9_N2at6native12_GLOBAL__N_110CustomProdEEEEE10hipError_tPvRmT0_T1_jT2_SQ_T4_T3_P12ihipStream_tbEUlT_E_NS1_11comp_targetILNS1_3genE8ELNS1_11target_archE1030ELNS1_3gpuE2ELNS1_3repE0EEENS1_30default_config_static_selectorELNS0_4arch9wavefront6targetE1EEEvSP_.has_indirect_call, 0
	.section	.AMDGPU.csdata,"",@progbits
; Kernel info:
; codeLenInByte = 0
; TotalNumSgprs: 4
; NumVgprs: 0
; ScratchSize: 0
; MemoryBound: 0
; FloatMode: 240
; IeeeMode: 1
; LDSByteSize: 0 bytes/workgroup (compile time only)
; SGPRBlocks: 0
; VGPRBlocks: 0
; NumSGPRsForWavesPerEU: 4
; NumVGPRsForWavesPerEU: 1
; Occupancy: 10
; WaveLimiterHint : 0
; COMPUTE_PGM_RSRC2:SCRATCH_EN: 0
; COMPUTE_PGM_RSRC2:USER_SGPR: 6
; COMPUTE_PGM_RSRC2:TRAP_HANDLER: 0
; COMPUTE_PGM_RSRC2:TGID_X_EN: 1
; COMPUTE_PGM_RSRC2:TGID_Y_EN: 0
; COMPUTE_PGM_RSRC2:TGID_Z_EN: 0
; COMPUTE_PGM_RSRC2:TIDIG_COMP_CNT: 0
	.section	.text._ZN2at6native12_GLOBAL__N_129segment_reduce_forward_kernelIN3c104HalfEiEEvNS0_13ReductionTypeEPT_PKS6_PKT0_SC_llbS6_lllllll,"axG",@progbits,_ZN2at6native12_GLOBAL__N_129segment_reduce_forward_kernelIN3c104HalfEiEEvNS0_13ReductionTypeEPT_PKS6_PKT0_SC_llbS6_lllllll,comdat
	.globl	_ZN2at6native12_GLOBAL__N_129segment_reduce_forward_kernelIN3c104HalfEiEEvNS0_13ReductionTypeEPT_PKS6_PKT0_SC_llbS6_lllllll ; -- Begin function _ZN2at6native12_GLOBAL__N_129segment_reduce_forward_kernelIN3c104HalfEiEEvNS0_13ReductionTypeEPT_PKS6_PKT0_SC_llbS6_lllllll
	.p2align	8
	.type	_ZN2at6native12_GLOBAL__N_129segment_reduce_forward_kernelIN3c104HalfEiEEvNS0_13ReductionTypeEPT_PKS6_PKT0_SC_llbS6_lllllll,@function
_ZN2at6native12_GLOBAL__N_129segment_reduce_forward_kernelIN3c104HalfEiEEvNS0_13ReductionTypeEPT_PKS6_PKT0_SC_llbS6_lllllll: ; @_ZN2at6native12_GLOBAL__N_129segment_reduce_forward_kernelIN3c104HalfEiEEvNS0_13ReductionTypeEPT_PKS6_PKT0_SC_llbS6_lllllll
; %bb.0:
	s_load_dword s0, s[4:5], 0x84
	s_load_dwordx4 s[36:39], s[4:5], 0x28
	s_load_dwordx8 s[24:31], s[4:5], 0x40
	v_mov_b32_e32 v2, 0
	v_mov_b32_e32 v1, v2
	s_waitcnt lgkmcnt(0)
	s_and_b32 s0, s0, 0xffff
	v_mov_b32_e32 v3, s6
	v_mad_u64_u32 v[0:1], s[0:1], s0, v3, v[0:1]
	s_mul_i32 s0, s24, s37
	s_mul_hi_u32 s1, s24, s36
	s_add_i32 s0, s1, s0
	s_mul_i32 s1, s25, s36
	s_mul_i32 s2, s24, s36
	s_add_i32 s0, s0, s1
	s_mul_i32 s1, s2, s27
	s_mul_hi_u32 s3, s2, s26
	s_add_i32 s1, s3, s1
	s_mul_i32 s0, s0, s26
	s_add_i32 s1, s1, s0
	s_mul_i32 s0, s2, s26
	v_cmp_gt_i64_e32 vcc, s[0:1], v[0:1]
	s_and_saveexec_b64 s[0:1], vcc
	s_cbranch_execz .LBB76_37
; %bb.1:
	v_or_b32_e32 v3, s27, v1
	v_cmp_ne_u64_e32 vcc, 0, v[2:3]
                                        ; implicit-def: $vgpr6_vgpr7
	s_and_saveexec_b64 s[0:1], vcc
	s_xor_b64 s[2:3], exec, s[0:1]
	s_cbranch_execz .LBB76_3
; %bb.2:
	s_ashr_i32 s6, s27, 31
	s_add_u32 s0, s26, s6
	s_mov_b32 s7, s6
	s_addc_u32 s1, s27, s6
	s_xor_b64 s[8:9], s[0:1], s[6:7]
	v_cvt_f32_u32_e32 v2, s8
	v_cvt_f32_u32_e32 v3, s9
	s_sub_u32 s7, 0, s8
	s_subb_u32 s10, 0, s9
	v_ashrrev_i32_e32 v6, 31, v1
	v_madmk_f32 v2, v3, 0x4f800000, v2
	v_rcp_f32_e32 v2, v2
	v_mul_f32_e32 v2, 0x5f7ffffc, v2
	v_mul_f32_e32 v3, 0x2f800000, v2
	v_trunc_f32_e32 v3, v3
	v_madmk_f32 v2, v3, 0xcf800000, v2
	v_cvt_u32_f32_e32 v3, v3
	v_cvt_u32_f32_e32 v2, v2
	v_readfirstlane_b32 s11, v3
	v_readfirstlane_b32 s0, v2
	s_mul_i32 s1, s7, s11
	s_mul_hi_u32 s13, s7, s0
	s_mul_i32 s12, s10, s0
	s_add_i32 s1, s13, s1
	s_add_i32 s1, s1, s12
	s_mul_i32 s14, s7, s0
	s_mul_i32 s13, s0, s1
	s_mul_hi_u32 s15, s0, s14
	s_mul_hi_u32 s12, s0, s1
	s_add_u32 s13, s15, s13
	s_addc_u32 s12, 0, s12
	s_mul_hi_u32 s16, s11, s14
	s_mul_i32 s14, s11, s14
	s_add_u32 s13, s13, s14
	s_mul_hi_u32 s15, s11, s1
	s_addc_u32 s12, s12, s16
	s_addc_u32 s13, s15, 0
	s_mul_i32 s1, s11, s1
	s_add_u32 s1, s12, s1
	s_addc_u32 s12, 0, s13
	s_add_u32 s13, s0, s1
	s_cselect_b64 s[0:1], -1, 0
	s_cmp_lg_u64 s[0:1], 0
	s_addc_u32 s11, s11, s12
	s_mul_i32 s0, s7, s11
	s_mul_hi_u32 s1, s7, s13
	s_add_i32 s0, s1, s0
	s_mul_i32 s10, s10, s13
	s_add_i32 s0, s0, s10
	s_mul_i32 s7, s7, s13
	s_mul_hi_u32 s10, s11, s7
	s_mul_i32 s12, s11, s7
	s_mul_i32 s15, s13, s0
	s_mul_hi_u32 s7, s13, s7
	s_mul_hi_u32 s14, s13, s0
	s_add_u32 s7, s7, s15
	s_addc_u32 s14, 0, s14
	s_add_u32 s7, s7, s12
	s_mul_hi_u32 s1, s11, s0
	s_addc_u32 s7, s14, s10
	s_addc_u32 s1, s1, 0
	s_mul_i32 s0, s11, s0
	s_add_u32 s0, s7, s0
	s_addc_u32 s7, 0, s1
	s_add_u32 s10, s13, s0
	s_cselect_b64 s[0:1], -1, 0
	s_cmp_lg_u64 s[0:1], 0
	v_add_co_u32_e32 v2, vcc, v0, v6
	s_addc_u32 s7, s11, s7
	v_xor_b32_e32 v7, v2, v6
	v_mad_u64_u32 v[2:3], s[0:1], v7, s7, 0
	v_mul_hi_u32 v5, v7, s10
	v_addc_co_u32_e32 v4, vcc, v1, v6, vcc
	v_xor_b32_e32 v8, v4, v6
	v_add_co_u32_e32 v9, vcc, v5, v2
	v_addc_co_u32_e32 v10, vcc, 0, v3, vcc
	v_mad_u64_u32 v[2:3], s[0:1], v8, s10, 0
	v_mad_u64_u32 v[4:5], s[0:1], v8, s7, 0
	v_add_co_u32_e32 v2, vcc, v9, v2
	v_addc_co_u32_e32 v2, vcc, v10, v3, vcc
	v_addc_co_u32_e32 v3, vcc, 0, v5, vcc
	v_add_co_u32_e32 v4, vcc, v2, v4
	v_addc_co_u32_e32 v5, vcc, 0, v3, vcc
	v_mul_lo_u32 v9, s9, v4
	v_mul_lo_u32 v10, s8, v5
	v_mad_u64_u32 v[2:3], s[0:1], s8, v4, 0
	v_add3_u32 v3, v3, v10, v9
	v_sub_u32_e32 v9, v8, v3
	v_mov_b32_e32 v10, s9
	v_sub_co_u32_e32 v2, vcc, v7, v2
	v_subb_co_u32_e64 v7, s[0:1], v9, v10, vcc
	v_subrev_co_u32_e64 v9, s[0:1], s8, v2
	v_subbrev_co_u32_e64 v7, s[0:1], 0, v7, s[0:1]
	v_cmp_le_u32_e64 s[0:1], s9, v7
	v_cndmask_b32_e64 v10, 0, -1, s[0:1]
	v_cmp_le_u32_e64 s[0:1], s8, v9
	v_cndmask_b32_e64 v9, 0, -1, s[0:1]
	v_cmp_eq_u32_e64 s[0:1], s9, v7
	v_cndmask_b32_e64 v7, v10, v9, s[0:1]
	v_add_co_u32_e64 v9, s[0:1], 2, v4
	v_subb_co_u32_e32 v3, vcc, v8, v3, vcc
	v_addc_co_u32_e64 v10, s[0:1], 0, v5, s[0:1]
	v_cmp_le_u32_e32 vcc, s9, v3
	v_add_co_u32_e64 v11, s[0:1], 1, v4
	v_cndmask_b32_e64 v8, 0, -1, vcc
	v_cmp_le_u32_e32 vcc, s8, v2
	v_addc_co_u32_e64 v12, s[0:1], 0, v5, s[0:1]
	v_cndmask_b32_e64 v2, 0, -1, vcc
	v_cmp_eq_u32_e32 vcc, s9, v3
	v_cmp_ne_u32_e64 s[0:1], 0, v7
	v_cndmask_b32_e32 v2, v8, v2, vcc
	v_cmp_ne_u32_e32 vcc, 0, v2
	v_cndmask_b32_e64 v3, v11, v9, s[0:1]
	v_cndmask_b32_e64 v7, v12, v10, s[0:1]
	v_cndmask_b32_e32 v3, v4, v3, vcc
	v_xor_b32_e32 v4, s6, v6
	v_cndmask_b32_e32 v2, v5, v7, vcc
	v_xor_b32_e32 v3, v3, v4
	v_xor_b32_e32 v2, v2, v4
	v_sub_co_u32_e32 v6, vcc, v3, v4
	v_subb_co_u32_e32 v7, vcc, v2, v4, vcc
.LBB76_3:
	s_or_saveexec_b64 s[0:1], s[2:3]
	s_load_dwordx8 s[8:15], s[4:5], 0x8
	s_load_dwordx8 s[16:23], s[4:5], 0x60
	s_xor_b64 exec, exec, s[0:1]
	s_cbranch_execz .LBB76_5
; %bb.4:
	v_cvt_f32_u32_e32 v2, s26
	s_sub_i32 s2, 0, s26
	v_mov_b32_e32 v7, 0
	v_rcp_iflag_f32_e32 v2, v2
	v_mul_f32_e32 v2, 0x4f7ffffe, v2
	v_cvt_u32_f32_e32 v2, v2
	v_mul_lo_u32 v3, s2, v2
	v_mul_hi_u32 v3, v2, v3
	v_add_u32_e32 v2, v2, v3
	v_mul_hi_u32 v2, v0, v2
	v_mul_lo_u32 v3, v2, s26
	v_add_u32_e32 v4, 1, v2
	v_sub_u32_e32 v3, v0, v3
	v_subrev_u32_e32 v5, s26, v3
	v_cmp_le_u32_e32 vcc, s26, v3
	v_cndmask_b32_e32 v3, v3, v5, vcc
	v_cndmask_b32_e32 v2, v2, v4, vcc
	v_add_u32_e32 v4, 1, v2
	v_cmp_le_u32_e32 vcc, s26, v3
	v_cndmask_b32_e32 v6, v2, v4, vcc
.LBB76_5:
	s_or_b64 exec, exec, s[0:1]
	v_or_b32_e32 v3, s37, v7
	v_mov_b32_e32 v2, 0
	v_cmp_ne_u64_e32 vcc, 0, v[2:3]
                                        ; implicit-def: $vgpr2_vgpr3
	s_and_saveexec_b64 s[0:1], vcc
	s_xor_b64 s[2:3], exec, s[0:1]
	s_cbranch_execz .LBB76_7
; %bb.6:
	s_ashr_i32 s6, s37, 31
	s_add_u32 s0, s36, s6
	s_mov_b32 s7, s6
	s_addc_u32 s1, s37, s6
	s_waitcnt lgkmcnt(0)
	s_xor_b64 s[22:23], s[0:1], s[6:7]
	v_cvt_f32_u32_e32 v2, s22
	v_cvt_f32_u32_e32 v3, s23
	s_sub_u32 s7, 0, s22
	s_subb_u32 s24, 0, s23
	v_ashrrev_i32_e32 v8, 31, v7
	v_madmk_f32 v2, v3, 0x4f800000, v2
	v_rcp_f32_e32 v2, v2
	v_mul_f32_e32 v2, 0x5f7ffffc, v2
	v_mul_f32_e32 v3, 0x2f800000, v2
	v_trunc_f32_e32 v3, v3
	v_madmk_f32 v2, v3, 0xcf800000, v2
	v_cvt_u32_f32_e32 v3, v3
	v_cvt_u32_f32_e32 v2, v2
	v_readfirstlane_b32 s25, v3
	v_readfirstlane_b32 s0, v2
	s_mul_i32 s1, s7, s25
	s_mul_hi_u32 s34, s7, s0
	s_mul_i32 s33, s24, s0
	s_add_i32 s1, s34, s1
	s_add_i32 s1, s1, s33
	s_mul_i32 s35, s7, s0
	s_mul_i32 s34, s0, s1
	s_mul_hi_u32 s40, s0, s35
	s_mul_hi_u32 s33, s0, s1
	s_add_u32 s34, s40, s34
	s_addc_u32 s33, 0, s33
	s_mul_hi_u32 s41, s25, s35
	s_mul_i32 s35, s25, s35
	s_add_u32 s34, s34, s35
	s_mul_hi_u32 s40, s25, s1
	s_addc_u32 s33, s33, s41
	s_addc_u32 s34, s40, 0
	s_mul_i32 s1, s25, s1
	s_add_u32 s1, s33, s1
	s_addc_u32 s33, 0, s34
	s_add_u32 s34, s0, s1
	s_cselect_b64 s[0:1], -1, 0
	s_cmp_lg_u64 s[0:1], 0
	s_addc_u32 s25, s25, s33
	s_mul_i32 s0, s7, s25
	s_mul_hi_u32 s1, s7, s34
	s_add_i32 s0, s1, s0
	s_mul_i32 s24, s24, s34
	s_add_i32 s0, s0, s24
	s_mul_i32 s7, s7, s34
	s_mul_hi_u32 s24, s25, s7
	s_mul_i32 s33, s25, s7
	s_mul_i32 s40, s34, s0
	s_mul_hi_u32 s7, s34, s7
	s_mul_hi_u32 s35, s34, s0
	s_add_u32 s7, s7, s40
	s_addc_u32 s35, 0, s35
	s_add_u32 s7, s7, s33
	s_mul_hi_u32 s1, s25, s0
	s_addc_u32 s7, s35, s24
	s_addc_u32 s1, s1, 0
	s_mul_i32 s0, s25, s0
	s_add_u32 s0, s7, s0
	s_addc_u32 s7, 0, s1
	s_add_u32 s24, s34, s0
	s_cselect_b64 s[0:1], -1, 0
	s_cmp_lg_u64 s[0:1], 0
	v_add_co_u32_e32 v2, vcc, v6, v8
	s_addc_u32 s7, s25, s7
	v_xor_b32_e32 v9, v2, v8
	v_mad_u64_u32 v[2:3], s[0:1], v9, s7, 0
	v_mul_hi_u32 v5, v9, s24
	v_addc_co_u32_e32 v4, vcc, v7, v8, vcc
	v_xor_b32_e32 v10, v4, v8
	v_add_co_u32_e32 v11, vcc, v5, v2
	v_addc_co_u32_e32 v12, vcc, 0, v3, vcc
	v_mad_u64_u32 v[2:3], s[0:1], v10, s24, 0
	v_mad_u64_u32 v[4:5], s[0:1], v10, s7, 0
	v_add_co_u32_e32 v2, vcc, v11, v2
	v_addc_co_u32_e32 v2, vcc, v12, v3, vcc
	v_addc_co_u32_e32 v3, vcc, 0, v5, vcc
	v_add_co_u32_e32 v4, vcc, v2, v4
	v_addc_co_u32_e32 v5, vcc, 0, v3, vcc
	v_mul_lo_u32 v11, s23, v4
	v_mul_lo_u32 v12, s22, v5
	v_mad_u64_u32 v[2:3], s[0:1], s22, v4, 0
	v_add3_u32 v3, v3, v12, v11
	v_sub_u32_e32 v11, v10, v3
	v_mov_b32_e32 v12, s23
	v_sub_co_u32_e32 v2, vcc, v9, v2
	v_subb_co_u32_e64 v9, s[0:1], v11, v12, vcc
	v_subrev_co_u32_e64 v11, s[0:1], s22, v2
	v_subbrev_co_u32_e64 v9, s[0:1], 0, v9, s[0:1]
	v_cmp_le_u32_e64 s[0:1], s23, v9
	v_cndmask_b32_e64 v12, 0, -1, s[0:1]
	v_cmp_le_u32_e64 s[0:1], s22, v11
	v_cndmask_b32_e64 v11, 0, -1, s[0:1]
	v_cmp_eq_u32_e64 s[0:1], s23, v9
	v_cndmask_b32_e64 v9, v12, v11, s[0:1]
	v_add_co_u32_e64 v11, s[0:1], 2, v4
	v_subb_co_u32_e32 v3, vcc, v10, v3, vcc
	v_addc_co_u32_e64 v12, s[0:1], 0, v5, s[0:1]
	v_cmp_le_u32_e32 vcc, s23, v3
	v_add_co_u32_e64 v13, s[0:1], 1, v4
	v_cndmask_b32_e64 v10, 0, -1, vcc
	v_cmp_le_u32_e32 vcc, s22, v2
	v_addc_co_u32_e64 v14, s[0:1], 0, v5, s[0:1]
	v_cndmask_b32_e64 v2, 0, -1, vcc
	v_cmp_eq_u32_e32 vcc, s23, v3
	v_cmp_ne_u32_e64 s[0:1], 0, v9
	v_cndmask_b32_e32 v2, v10, v2, vcc
	v_cndmask_b32_e64 v9, v14, v12, s[0:1]
	v_cmp_ne_u32_e32 vcc, 0, v2
	v_cndmask_b32_e64 v3, v13, v11, s[0:1]
	v_cndmask_b32_e32 v2, v5, v9, vcc
	v_cndmask_b32_e32 v3, v4, v3, vcc
	v_xor_b32_e32 v4, s6, v8
	v_xor_b32_e32 v5, v2, v4
	;; [unrolled: 1-line block ×3, first 2 shown]
	v_sub_co_u32_e32 v2, vcc, v2, v4
	v_subb_co_u32_e32 v3, vcc, v5, v4, vcc
.LBB76_7:
	s_andn2_saveexec_b64 s[0:1], s[2:3]
	s_cbranch_execz .LBB76_9
; %bb.8:
	v_cvt_f32_u32_e32 v2, s36
	s_sub_i32 s2, 0, s36
	v_rcp_iflag_f32_e32 v2, v2
	v_mul_f32_e32 v2, 0x4f7ffffe, v2
	v_cvt_u32_f32_e32 v2, v2
	v_mul_lo_u32 v3, s2, v2
	v_mul_hi_u32 v3, v2, v3
	v_add_u32_e32 v2, v2, v3
	v_mul_hi_u32 v2, v6, v2
	v_mul_lo_u32 v3, v2, s36
	v_add_u32_e32 v4, 1, v2
	v_sub_u32_e32 v3, v6, v3
	v_subrev_u32_e32 v5, s36, v3
	v_cmp_le_u32_e32 vcc, s36, v3
	v_cndmask_b32_e32 v3, v3, v5, vcc
	v_cndmask_b32_e32 v2, v2, v4, vcc
	v_add_u32_e32 v4, 1, v2
	v_cmp_le_u32_e32 vcc, s36, v3
	v_cndmask_b32_e32 v2, v2, v4, vcc
	v_mov_b32_e32 v3, 0
.LBB76_9:
	s_or_b64 exec, exec, s[0:1]
	s_waitcnt lgkmcnt(0)
	s_load_dword s22, s[4:5], 0x38
	v_mad_u64_u32 v[8:9], s[0:1], v2, s36, 0
	v_mul_lo_u32 v4, v3, s36
	v_mul_lo_u32 v5, v2, s37
	s_waitcnt lgkmcnt(0)
	s_lshr_b32 s0, s22, 16
	s_add_u32 s1, s36, 1
	s_addc_u32 s2, s37, 0
	s_mul_i32 s2, s20, s2
	s_mul_hi_u32 s3, s20, s1
	s_add_i32 s2, s3, s2
	s_mul_i32 s3, s21, s1
	s_add_i32 s2, s2, s3
	s_mul_i32 s1, s20, s1
	v_mul_lo_u32 v12, s2, v2
	v_mul_lo_u32 v13, s1, v3
	v_mad_u64_u32 v[10:11], s[2:3], s1, v2, 0
	v_add3_u32 v9, v9, v5, v4
	v_sub_co_u32_e32 v4, vcc, v6, v8
	v_add3_u32 v11, v11, v13, v12
	v_lshlrev_b64 v[10:11], 2, v[10:11]
	v_subb_co_u32_e32 v5, vcc, v7, v9, vcc
	v_mov_b32_e32 v12, s15
	v_add_co_u32_e32 v13, vcc, s14, v10
	v_addc_co_u32_e32 v14, vcc, v12, v11, vcc
	v_lshlrev_b64 v[10:11], 2, v[4:5]
	v_mul_lo_u32 v15, v6, s27
	v_add_co_u32_e32 v12, vcc, v13, v10
	v_addc_co_u32_e32 v13, vcc, v14, v11, vcc
	global_load_dwordx2 v[12:13], v[12:13], off
	v_mul_lo_u32 v14, v7, s26
	v_mad_u64_u32 v[6:7], s[2:3], v6, s26, 0
	s_load_dword s20, s[4:5], 0x0
	v_mov_b32_e32 v16, s0
	v_add3_u32 v7, v7, v15, v14
	s_waitcnt vmcnt(0)
	v_cmp_lt_i32_e32 vcc, v12, v13
	s_and_saveexec_b64 s[2:3], vcc
	s_cbranch_execz .LBB76_28
; %bb.10:
	v_mul_lo_u32 v16, v3, s30
	v_mul_lo_u32 v17, v2, s31
	v_mad_u64_u32 v[14:15], s[4:5], v2, s30, 0
	s_waitcnt lgkmcnt(0)
	s_cmp_lg_u32 s20, 0
	s_cselect_b64 s[4:5], -1, 0
	v_add3_u32 v15, v15, v17, v16
	v_ashrrev_i32_e32 v17, 31, v12
	v_mov_b32_e32 v16, v12
	v_lshlrev_b64 v[14:15], 1, v[14:15]
	v_lshlrev_b64 v[16:17], 1, v[16:17]
	s_and_b32 s1, s20, -3
	v_add_co_u32_e32 v16, vcc, v14, v16
	v_addc_co_u32_e32 v17, vcc, v15, v17, vcc
	v_lshlrev_b64 v[14:15], 1, v[0:1]
	v_mul_lo_u32 v17, s28, v17
	v_mul_lo_u32 v18, s29, v16
	v_mad_u64_u32 v[14:15], s[6:7], s28, v16, v[14:15]
	s_cmp_lg_u32 s1, 1
	s_cselect_b64 s[6:7], -1, 0
	v_add3_u32 v17, v18, v15, v17
	v_lshlrev_b64 v[15:16], 1, v[6:7]
	s_lshl_b64 s[14:15], s[28:29], 1
	v_sub_co_u32_e32 v14, vcc, v14, v15
	v_subb_co_u32_e32 v15, vcc, v17, v16, vcc
	v_mov_b32_e32 v16, s11
	v_add_co_u32_e32 v14, vcc, s10, v14
	v_addc_co_u32_e32 v15, vcc, v16, v15, vcc
	s_mov_b64 s[10:11], 0
	v_mov_b32_e32 v17, s0
	s_branch .LBB76_12
.LBB76_11:                              ;   in Loop: Header=BB76_12 Depth=1
	v_mov_b32_e32 v17, s15
	v_add_co_u32_e32 v14, vcc, s14, v14
	v_add_u32_e32 v12, 1, v12
	v_addc_co_u32_e32 v15, vcc, v15, v17, vcc
	v_cmp_ge_i32_e32 vcc, v12, v13
	s_or_b64 s[10:11], vcc, s[10:11]
	v_mov_b32_e32 v17, v16
	s_andn2_b64 exec, exec, s[10:11]
	s_cbranch_execz .LBB76_27
.LBB76_12:                              ; =>This Inner Loop Header: Depth=1
	global_load_ushort v18, v[14:15], off
	s_mov_b64 s[0:1], -1
	s_and_b64 vcc, exec, s[4:5]
	s_cbranch_vccz .LBB76_25
; %bb.13:                               ;   in Loop: Header=BB76_12 Depth=1
	s_and_b64 vcc, exec, s[6:7]
                                        ; implicit-def: $vgpr16
	s_cbranch_vccz .LBB76_22
; %bb.14:                               ;   in Loop: Header=BB76_12 Depth=1
	s_cmp_lt_i32 s20, 4
                                        ; implicit-def: $vgpr16
	s_cbranch_scc1 .LBB76_18
; %bb.15:                               ;   in Loop: Header=BB76_12 Depth=1
	s_cmp_eq_u32 s20, 4
	v_mov_b32_e32 v16, v17
	s_cbranch_scc0 .LBB76_17
; %bb.16:                               ;   in Loop: Header=BB76_12 Depth=1
	s_waitcnt vmcnt(0)
	v_mul_f16_e32 v16, v17, v18
.LBB76_17:                              ;   in Loop: Header=BB76_12 Depth=1
	s_mov_b64 s[0:1], 0
.LBB76_18:                              ;   in Loop: Header=BB76_12 Depth=1
	s_andn2_b64 vcc, exec, s[0:1]
	s_cbranch_vccnz .LBB76_21
; %bb.19:                               ;   in Loop: Header=BB76_12 Depth=1
	s_cmp_lg_u32 s20, 2
	v_mov_b32_e32 v16, v17
	s_cbranch_scc1 .LBB76_21
; %bb.20:                               ;   in Loop: Header=BB76_12 Depth=1
	s_waitcnt vmcnt(0)
	v_cmp_u_f16_e32 vcc, v18, v18
	v_cmp_gt_f16_e64 s[0:1], v17, v18
	s_or_b64 vcc, vcc, s[0:1]
	v_cndmask_b32_e32 v16, v17, v18, vcc
.LBB76_21:                              ;   in Loop: Header=BB76_12 Depth=1
	s_mov_b64 s[0:1], 0
.LBB76_22:                              ;   in Loop: Header=BB76_12 Depth=1
	s_and_b64 vcc, exec, s[0:1]
	s_cbranch_vccz .LBB76_24
; %bb.23:                               ;   in Loop: Header=BB76_12 Depth=1
	s_waitcnt vmcnt(0)
	v_add_f16_e32 v16, v17, v18
.LBB76_24:                              ;   in Loop: Header=BB76_12 Depth=1
	s_cbranch_execnz .LBB76_11
	s_branch .LBB76_26
.LBB76_25:                              ;   in Loop: Header=BB76_12 Depth=1
                                        ; implicit-def: $vgpr16
	s_andn2_b64 vcc, exec, s[0:1]
	s_cbranch_vccnz .LBB76_11
.LBB76_26:                              ;   in Loop: Header=BB76_12 Depth=1
	s_waitcnt vmcnt(0)
	v_cmp_u_f16_e32 vcc, v18, v18
	v_cmp_lt_f16_e64 s[0:1], v17, v18
	s_or_b64 vcc, vcc, s[0:1]
	v_cndmask_b32_e32 v16, v17, v18, vcc
	s_branch .LBB76_11
.LBB76_27:
	s_or_b64 exec, exec, s[10:11]
.LBB76_28:
	s_or_b64 exec, exec, s[2:3]
	v_mul_lo_u32 v12, v9, s38
	v_mul_lo_u32 v13, v8, s39
	v_mad_u64_u32 v[8:9], s[0:1], v8, s38, 0
	v_add3_u32 v9, v9, v13, v12
	v_lshlrev_b64 v[8:9], 2, v[8:9]
	v_mov_b32_e32 v12, s13
	v_add_co_u32_e32 v8, vcc, s12, v8
	v_addc_co_u32_e32 v9, vcc, v12, v9, vcc
	v_add_co_u32_e32 v8, vcc, v8, v10
	v_addc_co_u32_e32 v9, vcc, v9, v11, vcc
	global_load_dword v9, v[8:9], off
	s_waitcnt vmcnt(0)
	v_cmp_lt_i32_e32 vcc, -1, v9
	s_and_saveexec_b64 s[0:1], vcc
	s_xor_b64 s[0:1], exec, s[0:1]
	s_cbranch_execz .LBB76_36
; %bb.29:
	s_bitcmp1_b32 s22, 0
	s_cselect_b64 s[2:3], -1, 0
	v_cmp_ne_u32_e32 vcc, 0, v9
	s_or_b64 s[2:3], s[2:3], vcc
	s_waitcnt lgkmcnt(0)
	s_cmp_lg_u32 s20, 1
	s_cselect_b64 s[4:5], -1, 0
	s_or_b64 s[6:7], s[4:5], s[2:3]
	v_mov_b32_e32 v8, 0x7e00
	s_and_saveexec_b64 s[2:3], s[6:7]
	s_cbranch_execz .LBB76_35
; %bb.30:
	v_cmp_ne_u32_e32 vcc, 0, v9
	s_xor_b64 s[4:5], s[4:5], -1
	s_and_b64 s[6:7], s[4:5], vcc
	s_and_saveexec_b64 s[4:5], s[6:7]
	s_cbranch_execz .LBB76_34
; %bb.31:
	v_cmp_o_f16_e32 vcc, v16, v16
	s_and_saveexec_b64 s[6:7], vcc
	s_cbranch_execz .LBB76_33
; %bb.32:
	v_cvt_f32_u32_e32 v8, v9
	v_cvt_f32_f16_e32 v10, v16
	v_cvt_f16_f32_e32 v8, v8
	v_cvt_f32_f16_e32 v9, v8
	v_rcp_f32_e32 v11, v9
	v_mul_f32_e32 v12, v10, v11
	v_mad_f32 v13, -v9, v12, v10
	v_mac_f32_e32 v12, v13, v11
	v_mad_f32 v9, -v9, v12, v10
	v_mul_f32_e32 v9, v9, v11
	v_and_b32_e32 v9, 0xff800000, v9
	v_add_f32_e32 v9, v9, v12
	v_cvt_f16_f32_e32 v9, v9
	v_div_fixup_f16 v16, v9, v8, v16
.LBB76_33:
	s_or_b64 exec, exec, s[6:7]
.LBB76_34:
	s_or_b64 exec, exec, s[4:5]
	v_mov_b32_e32 v8, v16
.LBB76_35:
	s_or_b64 exec, exec, s[2:3]
	s_mul_i32 s2, s18, s17
	s_mul_hi_u32 s3, s18, s16
	s_add_i32 s2, s3, s2
	s_mul_i32 s3, s19, s16
	s_add_i32 s2, s2, s3
	s_mul_i32 s3, s18, s16
	v_mul_lo_u32 v9, s2, v2
	v_mul_lo_u32 v10, s3, v3
	v_mad_u64_u32 v[2:3], s[2:3], s3, v2, 0
	v_mul_lo_u32 v11, v5, s16
	v_mul_lo_u32 v12, v4, s17
	v_mad_u64_u32 v[4:5], s[2:3], v4, s16, 0
	v_add3_u32 v3, v3, v10, v9
	v_sub_co_u32_e32 v0, vcc, v0, v6
	v_lshlrev_b64 v[2:3], 1, v[2:3]
	v_subb_co_u32_e32 v1, vcc, v1, v7, vcc
	v_add3_u32 v5, v5, v12, v11
	v_mov_b32_e32 v6, s9
	v_add_co_u32_e32 v7, vcc, s8, v2
	v_addc_co_u32_e32 v6, vcc, v6, v3, vcc
	v_lshlrev_b64 v[2:3], 1, v[4:5]
	v_lshlrev_b64 v[0:1], 1, v[0:1]
	v_add_co_u32_e32 v2, vcc, v7, v2
	v_addc_co_u32_e32 v3, vcc, v6, v3, vcc
	v_add_co_u32_e32 v0, vcc, v2, v0
	v_addc_co_u32_e32 v1, vcc, v3, v1, vcc
	global_store_short v[0:1], v8, off
.LBB76_36:
	s_andn2_saveexec_b64 s[0:1], s[0:1]
	s_cbranch_execnz .LBB76_38
.LBB76_37:
	s_endpgm
.LBB76_38:
	s_trap 2
	; divergent unreachable
	s_endpgm
	.section	.rodata,"a",@progbits
	.p2align	6, 0x0
	.amdhsa_kernel _ZN2at6native12_GLOBAL__N_129segment_reduce_forward_kernelIN3c104HalfEiEEvNS0_13ReductionTypeEPT_PKS6_PKT0_SC_llbS6_lllllll
		.amdhsa_group_segment_fixed_size 0
		.amdhsa_private_segment_fixed_size 0
		.amdhsa_kernarg_size 376
		.amdhsa_user_sgpr_count 6
		.amdhsa_user_sgpr_private_segment_buffer 1
		.amdhsa_user_sgpr_dispatch_ptr 0
		.amdhsa_user_sgpr_queue_ptr 0
		.amdhsa_user_sgpr_kernarg_segment_ptr 1
		.amdhsa_user_sgpr_dispatch_id 0
		.amdhsa_user_sgpr_flat_scratch_init 0
		.amdhsa_user_sgpr_private_segment_size 0
		.amdhsa_uses_dynamic_stack 0
		.amdhsa_system_sgpr_private_segment_wavefront_offset 0
		.amdhsa_system_sgpr_workgroup_id_x 1
		.amdhsa_system_sgpr_workgroup_id_y 0
		.amdhsa_system_sgpr_workgroup_id_z 0
		.amdhsa_system_sgpr_workgroup_info 0
		.amdhsa_system_vgpr_workitem_id 0
		.amdhsa_next_free_vgpr 19
		.amdhsa_next_free_sgpr 42
		.amdhsa_reserve_vcc 1
		.amdhsa_reserve_flat_scratch 0
		.amdhsa_float_round_mode_32 0
		.amdhsa_float_round_mode_16_64 0
		.amdhsa_float_denorm_mode_32 3
		.amdhsa_float_denorm_mode_16_64 3
		.amdhsa_dx10_clamp 1
		.amdhsa_ieee_mode 1
		.amdhsa_fp16_overflow 0
		.amdhsa_exception_fp_ieee_invalid_op 0
		.amdhsa_exception_fp_denorm_src 0
		.amdhsa_exception_fp_ieee_div_zero 0
		.amdhsa_exception_fp_ieee_overflow 0
		.amdhsa_exception_fp_ieee_underflow 0
		.amdhsa_exception_fp_ieee_inexact 0
		.amdhsa_exception_int_div_zero 0
	.end_amdhsa_kernel
	.section	.text._ZN2at6native12_GLOBAL__N_129segment_reduce_forward_kernelIN3c104HalfEiEEvNS0_13ReductionTypeEPT_PKS6_PKT0_SC_llbS6_lllllll,"axG",@progbits,_ZN2at6native12_GLOBAL__N_129segment_reduce_forward_kernelIN3c104HalfEiEEvNS0_13ReductionTypeEPT_PKS6_PKT0_SC_llbS6_lllllll,comdat
.Lfunc_end76:
	.size	_ZN2at6native12_GLOBAL__N_129segment_reduce_forward_kernelIN3c104HalfEiEEvNS0_13ReductionTypeEPT_PKS6_PKT0_SC_llbS6_lllllll, .Lfunc_end76-_ZN2at6native12_GLOBAL__N_129segment_reduce_forward_kernelIN3c104HalfEiEEvNS0_13ReductionTypeEPT_PKS6_PKT0_SC_llbS6_lllllll
                                        ; -- End function
	.set _ZN2at6native12_GLOBAL__N_129segment_reduce_forward_kernelIN3c104HalfEiEEvNS0_13ReductionTypeEPT_PKS6_PKT0_SC_llbS6_lllllll.num_vgpr, 19
	.set _ZN2at6native12_GLOBAL__N_129segment_reduce_forward_kernelIN3c104HalfEiEEvNS0_13ReductionTypeEPT_PKS6_PKT0_SC_llbS6_lllllll.num_agpr, 0
	.set _ZN2at6native12_GLOBAL__N_129segment_reduce_forward_kernelIN3c104HalfEiEEvNS0_13ReductionTypeEPT_PKS6_PKT0_SC_llbS6_lllllll.numbered_sgpr, 42
	.set _ZN2at6native12_GLOBAL__N_129segment_reduce_forward_kernelIN3c104HalfEiEEvNS0_13ReductionTypeEPT_PKS6_PKT0_SC_llbS6_lllllll.num_named_barrier, 0
	.set _ZN2at6native12_GLOBAL__N_129segment_reduce_forward_kernelIN3c104HalfEiEEvNS0_13ReductionTypeEPT_PKS6_PKT0_SC_llbS6_lllllll.private_seg_size, 0
	.set _ZN2at6native12_GLOBAL__N_129segment_reduce_forward_kernelIN3c104HalfEiEEvNS0_13ReductionTypeEPT_PKS6_PKT0_SC_llbS6_lllllll.uses_vcc, 1
	.set _ZN2at6native12_GLOBAL__N_129segment_reduce_forward_kernelIN3c104HalfEiEEvNS0_13ReductionTypeEPT_PKS6_PKT0_SC_llbS6_lllllll.uses_flat_scratch, 0
	.set _ZN2at6native12_GLOBAL__N_129segment_reduce_forward_kernelIN3c104HalfEiEEvNS0_13ReductionTypeEPT_PKS6_PKT0_SC_llbS6_lllllll.has_dyn_sized_stack, 0
	.set _ZN2at6native12_GLOBAL__N_129segment_reduce_forward_kernelIN3c104HalfEiEEvNS0_13ReductionTypeEPT_PKS6_PKT0_SC_llbS6_lllllll.has_recursion, 0
	.set _ZN2at6native12_GLOBAL__N_129segment_reduce_forward_kernelIN3c104HalfEiEEvNS0_13ReductionTypeEPT_PKS6_PKT0_SC_llbS6_lllllll.has_indirect_call, 0
	.section	.AMDGPU.csdata,"",@progbits
; Kernel info:
; codeLenInByte = 2676
; TotalNumSgprs: 46
; NumVgprs: 19
; ScratchSize: 0
; MemoryBound: 0
; FloatMode: 240
; IeeeMode: 1
; LDSByteSize: 0 bytes/workgroup (compile time only)
; SGPRBlocks: 5
; VGPRBlocks: 4
; NumSGPRsForWavesPerEU: 46
; NumVGPRsForWavesPerEU: 19
; Occupancy: 10
; WaveLimiterHint : 0
; COMPUTE_PGM_RSRC2:SCRATCH_EN: 0
; COMPUTE_PGM_RSRC2:USER_SGPR: 6
; COMPUTE_PGM_RSRC2:TRAP_HANDLER: 0
; COMPUTE_PGM_RSRC2:TGID_X_EN: 1
; COMPUTE_PGM_RSRC2:TGID_Y_EN: 0
; COMPUTE_PGM_RSRC2:TGID_Z_EN: 0
; COMPUTE_PGM_RSRC2:TIDIG_COMP_CNT: 0
	.section	.text._ZN7rocprim17ROCPRIM_400000_NS6detail17trampoline_kernelINS0_14default_configENS1_32segmented_reduce_config_selectorIN3c104HalfEEEZNS1_21segmented_reduce_implIS3_PKS6_PS6_PKiS6_N6hipcub16HIPCUB_304000_NS6detail27convert_result_type_wrapperISA_SB_N2at6native12_GLOBAL__N_19CustomMaxEEEEE10hipError_tPvRmT0_T1_jT2_SS_T4_T3_P12ihipStream_tbEUlT_E_NS1_11comp_targetILNS1_3genE0ELNS1_11target_archE4294967295ELNS1_3gpuE0ELNS1_3repE0EEENS1_30default_config_static_selectorELNS0_4arch9wavefront6targetE1EEEvSR_,"axG",@progbits,_ZN7rocprim17ROCPRIM_400000_NS6detail17trampoline_kernelINS0_14default_configENS1_32segmented_reduce_config_selectorIN3c104HalfEEEZNS1_21segmented_reduce_implIS3_PKS6_PS6_PKiS6_N6hipcub16HIPCUB_304000_NS6detail27convert_result_type_wrapperISA_SB_N2at6native12_GLOBAL__N_19CustomMaxEEEEE10hipError_tPvRmT0_T1_jT2_SS_T4_T3_P12ihipStream_tbEUlT_E_NS1_11comp_targetILNS1_3genE0ELNS1_11target_archE4294967295ELNS1_3gpuE0ELNS1_3repE0EEENS1_30default_config_static_selectorELNS0_4arch9wavefront6targetE1EEEvSR_,comdat
	.globl	_ZN7rocprim17ROCPRIM_400000_NS6detail17trampoline_kernelINS0_14default_configENS1_32segmented_reduce_config_selectorIN3c104HalfEEEZNS1_21segmented_reduce_implIS3_PKS6_PS6_PKiS6_N6hipcub16HIPCUB_304000_NS6detail27convert_result_type_wrapperISA_SB_N2at6native12_GLOBAL__N_19CustomMaxEEEEE10hipError_tPvRmT0_T1_jT2_SS_T4_T3_P12ihipStream_tbEUlT_E_NS1_11comp_targetILNS1_3genE0ELNS1_11target_archE4294967295ELNS1_3gpuE0ELNS1_3repE0EEENS1_30default_config_static_selectorELNS0_4arch9wavefront6targetE1EEEvSR_ ; -- Begin function _ZN7rocprim17ROCPRIM_400000_NS6detail17trampoline_kernelINS0_14default_configENS1_32segmented_reduce_config_selectorIN3c104HalfEEEZNS1_21segmented_reduce_implIS3_PKS6_PS6_PKiS6_N6hipcub16HIPCUB_304000_NS6detail27convert_result_type_wrapperISA_SB_N2at6native12_GLOBAL__N_19CustomMaxEEEEE10hipError_tPvRmT0_T1_jT2_SS_T4_T3_P12ihipStream_tbEUlT_E_NS1_11comp_targetILNS1_3genE0ELNS1_11target_archE4294967295ELNS1_3gpuE0ELNS1_3repE0EEENS1_30default_config_static_selectorELNS0_4arch9wavefront6targetE1EEEvSR_
	.p2align	8
	.type	_ZN7rocprim17ROCPRIM_400000_NS6detail17trampoline_kernelINS0_14default_configENS1_32segmented_reduce_config_selectorIN3c104HalfEEEZNS1_21segmented_reduce_implIS3_PKS6_PS6_PKiS6_N6hipcub16HIPCUB_304000_NS6detail27convert_result_type_wrapperISA_SB_N2at6native12_GLOBAL__N_19CustomMaxEEEEE10hipError_tPvRmT0_T1_jT2_SS_T4_T3_P12ihipStream_tbEUlT_E_NS1_11comp_targetILNS1_3genE0ELNS1_11target_archE4294967295ELNS1_3gpuE0ELNS1_3repE0EEENS1_30default_config_static_selectorELNS0_4arch9wavefront6targetE1EEEvSR_,@function
_ZN7rocprim17ROCPRIM_400000_NS6detail17trampoline_kernelINS0_14default_configENS1_32segmented_reduce_config_selectorIN3c104HalfEEEZNS1_21segmented_reduce_implIS3_PKS6_PS6_PKiS6_N6hipcub16HIPCUB_304000_NS6detail27convert_result_type_wrapperISA_SB_N2at6native12_GLOBAL__N_19CustomMaxEEEEE10hipError_tPvRmT0_T1_jT2_SS_T4_T3_P12ihipStream_tbEUlT_E_NS1_11comp_targetILNS1_3genE0ELNS1_11target_archE4294967295ELNS1_3gpuE0ELNS1_3repE0EEENS1_30default_config_static_selectorELNS0_4arch9wavefront6targetE1EEEvSR_: ; @_ZN7rocprim17ROCPRIM_400000_NS6detail17trampoline_kernelINS0_14default_configENS1_32segmented_reduce_config_selectorIN3c104HalfEEEZNS1_21segmented_reduce_implIS3_PKS6_PS6_PKiS6_N6hipcub16HIPCUB_304000_NS6detail27convert_result_type_wrapperISA_SB_N2at6native12_GLOBAL__N_19CustomMaxEEEEE10hipError_tPvRmT0_T1_jT2_SS_T4_T3_P12ihipStream_tbEUlT_E_NS1_11comp_targetILNS1_3genE0ELNS1_11target_archE4294967295ELNS1_3gpuE0ELNS1_3repE0EEENS1_30default_config_static_selectorELNS0_4arch9wavefront6targetE1EEEvSR_
; %bb.0:
	.section	.rodata,"a",@progbits
	.p2align	6, 0x0
	.amdhsa_kernel _ZN7rocprim17ROCPRIM_400000_NS6detail17trampoline_kernelINS0_14default_configENS1_32segmented_reduce_config_selectorIN3c104HalfEEEZNS1_21segmented_reduce_implIS3_PKS6_PS6_PKiS6_N6hipcub16HIPCUB_304000_NS6detail27convert_result_type_wrapperISA_SB_N2at6native12_GLOBAL__N_19CustomMaxEEEEE10hipError_tPvRmT0_T1_jT2_SS_T4_T3_P12ihipStream_tbEUlT_E_NS1_11comp_targetILNS1_3genE0ELNS1_11target_archE4294967295ELNS1_3gpuE0ELNS1_3repE0EEENS1_30default_config_static_selectorELNS0_4arch9wavefront6targetE1EEEvSR_
		.amdhsa_group_segment_fixed_size 0
		.amdhsa_private_segment_fixed_size 0
		.amdhsa_kernarg_size 48
		.amdhsa_user_sgpr_count 6
		.amdhsa_user_sgpr_private_segment_buffer 1
		.amdhsa_user_sgpr_dispatch_ptr 0
		.amdhsa_user_sgpr_queue_ptr 0
		.amdhsa_user_sgpr_kernarg_segment_ptr 1
		.amdhsa_user_sgpr_dispatch_id 0
		.amdhsa_user_sgpr_flat_scratch_init 0
		.amdhsa_user_sgpr_private_segment_size 0
		.amdhsa_uses_dynamic_stack 0
		.amdhsa_system_sgpr_private_segment_wavefront_offset 0
		.amdhsa_system_sgpr_workgroup_id_x 1
		.amdhsa_system_sgpr_workgroup_id_y 0
		.amdhsa_system_sgpr_workgroup_id_z 0
		.amdhsa_system_sgpr_workgroup_info 0
		.amdhsa_system_vgpr_workitem_id 0
		.amdhsa_next_free_vgpr 1
		.amdhsa_next_free_sgpr 0
		.amdhsa_reserve_vcc 0
		.amdhsa_reserve_flat_scratch 0
		.amdhsa_float_round_mode_32 0
		.amdhsa_float_round_mode_16_64 0
		.amdhsa_float_denorm_mode_32 3
		.amdhsa_float_denorm_mode_16_64 3
		.amdhsa_dx10_clamp 1
		.amdhsa_ieee_mode 1
		.amdhsa_fp16_overflow 0
		.amdhsa_exception_fp_ieee_invalid_op 0
		.amdhsa_exception_fp_denorm_src 0
		.amdhsa_exception_fp_ieee_div_zero 0
		.amdhsa_exception_fp_ieee_overflow 0
		.amdhsa_exception_fp_ieee_underflow 0
		.amdhsa_exception_fp_ieee_inexact 0
		.amdhsa_exception_int_div_zero 0
	.end_amdhsa_kernel
	.section	.text._ZN7rocprim17ROCPRIM_400000_NS6detail17trampoline_kernelINS0_14default_configENS1_32segmented_reduce_config_selectorIN3c104HalfEEEZNS1_21segmented_reduce_implIS3_PKS6_PS6_PKiS6_N6hipcub16HIPCUB_304000_NS6detail27convert_result_type_wrapperISA_SB_N2at6native12_GLOBAL__N_19CustomMaxEEEEE10hipError_tPvRmT0_T1_jT2_SS_T4_T3_P12ihipStream_tbEUlT_E_NS1_11comp_targetILNS1_3genE0ELNS1_11target_archE4294967295ELNS1_3gpuE0ELNS1_3repE0EEENS1_30default_config_static_selectorELNS0_4arch9wavefront6targetE1EEEvSR_,"axG",@progbits,_ZN7rocprim17ROCPRIM_400000_NS6detail17trampoline_kernelINS0_14default_configENS1_32segmented_reduce_config_selectorIN3c104HalfEEEZNS1_21segmented_reduce_implIS3_PKS6_PS6_PKiS6_N6hipcub16HIPCUB_304000_NS6detail27convert_result_type_wrapperISA_SB_N2at6native12_GLOBAL__N_19CustomMaxEEEEE10hipError_tPvRmT0_T1_jT2_SS_T4_T3_P12ihipStream_tbEUlT_E_NS1_11comp_targetILNS1_3genE0ELNS1_11target_archE4294967295ELNS1_3gpuE0ELNS1_3repE0EEENS1_30default_config_static_selectorELNS0_4arch9wavefront6targetE1EEEvSR_,comdat
.Lfunc_end77:
	.size	_ZN7rocprim17ROCPRIM_400000_NS6detail17trampoline_kernelINS0_14default_configENS1_32segmented_reduce_config_selectorIN3c104HalfEEEZNS1_21segmented_reduce_implIS3_PKS6_PS6_PKiS6_N6hipcub16HIPCUB_304000_NS6detail27convert_result_type_wrapperISA_SB_N2at6native12_GLOBAL__N_19CustomMaxEEEEE10hipError_tPvRmT0_T1_jT2_SS_T4_T3_P12ihipStream_tbEUlT_E_NS1_11comp_targetILNS1_3genE0ELNS1_11target_archE4294967295ELNS1_3gpuE0ELNS1_3repE0EEENS1_30default_config_static_selectorELNS0_4arch9wavefront6targetE1EEEvSR_, .Lfunc_end77-_ZN7rocprim17ROCPRIM_400000_NS6detail17trampoline_kernelINS0_14default_configENS1_32segmented_reduce_config_selectorIN3c104HalfEEEZNS1_21segmented_reduce_implIS3_PKS6_PS6_PKiS6_N6hipcub16HIPCUB_304000_NS6detail27convert_result_type_wrapperISA_SB_N2at6native12_GLOBAL__N_19CustomMaxEEEEE10hipError_tPvRmT0_T1_jT2_SS_T4_T3_P12ihipStream_tbEUlT_E_NS1_11comp_targetILNS1_3genE0ELNS1_11target_archE4294967295ELNS1_3gpuE0ELNS1_3repE0EEENS1_30default_config_static_selectorELNS0_4arch9wavefront6targetE1EEEvSR_
                                        ; -- End function
	.set _ZN7rocprim17ROCPRIM_400000_NS6detail17trampoline_kernelINS0_14default_configENS1_32segmented_reduce_config_selectorIN3c104HalfEEEZNS1_21segmented_reduce_implIS3_PKS6_PS6_PKiS6_N6hipcub16HIPCUB_304000_NS6detail27convert_result_type_wrapperISA_SB_N2at6native12_GLOBAL__N_19CustomMaxEEEEE10hipError_tPvRmT0_T1_jT2_SS_T4_T3_P12ihipStream_tbEUlT_E_NS1_11comp_targetILNS1_3genE0ELNS1_11target_archE4294967295ELNS1_3gpuE0ELNS1_3repE0EEENS1_30default_config_static_selectorELNS0_4arch9wavefront6targetE1EEEvSR_.num_vgpr, 0
	.set _ZN7rocprim17ROCPRIM_400000_NS6detail17trampoline_kernelINS0_14default_configENS1_32segmented_reduce_config_selectorIN3c104HalfEEEZNS1_21segmented_reduce_implIS3_PKS6_PS6_PKiS6_N6hipcub16HIPCUB_304000_NS6detail27convert_result_type_wrapperISA_SB_N2at6native12_GLOBAL__N_19CustomMaxEEEEE10hipError_tPvRmT0_T1_jT2_SS_T4_T3_P12ihipStream_tbEUlT_E_NS1_11comp_targetILNS1_3genE0ELNS1_11target_archE4294967295ELNS1_3gpuE0ELNS1_3repE0EEENS1_30default_config_static_selectorELNS0_4arch9wavefront6targetE1EEEvSR_.num_agpr, 0
	.set _ZN7rocprim17ROCPRIM_400000_NS6detail17trampoline_kernelINS0_14default_configENS1_32segmented_reduce_config_selectorIN3c104HalfEEEZNS1_21segmented_reduce_implIS3_PKS6_PS6_PKiS6_N6hipcub16HIPCUB_304000_NS6detail27convert_result_type_wrapperISA_SB_N2at6native12_GLOBAL__N_19CustomMaxEEEEE10hipError_tPvRmT0_T1_jT2_SS_T4_T3_P12ihipStream_tbEUlT_E_NS1_11comp_targetILNS1_3genE0ELNS1_11target_archE4294967295ELNS1_3gpuE0ELNS1_3repE0EEENS1_30default_config_static_selectorELNS0_4arch9wavefront6targetE1EEEvSR_.numbered_sgpr, 0
	.set _ZN7rocprim17ROCPRIM_400000_NS6detail17trampoline_kernelINS0_14default_configENS1_32segmented_reduce_config_selectorIN3c104HalfEEEZNS1_21segmented_reduce_implIS3_PKS6_PS6_PKiS6_N6hipcub16HIPCUB_304000_NS6detail27convert_result_type_wrapperISA_SB_N2at6native12_GLOBAL__N_19CustomMaxEEEEE10hipError_tPvRmT0_T1_jT2_SS_T4_T3_P12ihipStream_tbEUlT_E_NS1_11comp_targetILNS1_3genE0ELNS1_11target_archE4294967295ELNS1_3gpuE0ELNS1_3repE0EEENS1_30default_config_static_selectorELNS0_4arch9wavefront6targetE1EEEvSR_.num_named_barrier, 0
	.set _ZN7rocprim17ROCPRIM_400000_NS6detail17trampoline_kernelINS0_14default_configENS1_32segmented_reduce_config_selectorIN3c104HalfEEEZNS1_21segmented_reduce_implIS3_PKS6_PS6_PKiS6_N6hipcub16HIPCUB_304000_NS6detail27convert_result_type_wrapperISA_SB_N2at6native12_GLOBAL__N_19CustomMaxEEEEE10hipError_tPvRmT0_T1_jT2_SS_T4_T3_P12ihipStream_tbEUlT_E_NS1_11comp_targetILNS1_3genE0ELNS1_11target_archE4294967295ELNS1_3gpuE0ELNS1_3repE0EEENS1_30default_config_static_selectorELNS0_4arch9wavefront6targetE1EEEvSR_.private_seg_size, 0
	.set _ZN7rocprim17ROCPRIM_400000_NS6detail17trampoline_kernelINS0_14default_configENS1_32segmented_reduce_config_selectorIN3c104HalfEEEZNS1_21segmented_reduce_implIS3_PKS6_PS6_PKiS6_N6hipcub16HIPCUB_304000_NS6detail27convert_result_type_wrapperISA_SB_N2at6native12_GLOBAL__N_19CustomMaxEEEEE10hipError_tPvRmT0_T1_jT2_SS_T4_T3_P12ihipStream_tbEUlT_E_NS1_11comp_targetILNS1_3genE0ELNS1_11target_archE4294967295ELNS1_3gpuE0ELNS1_3repE0EEENS1_30default_config_static_selectorELNS0_4arch9wavefront6targetE1EEEvSR_.uses_vcc, 0
	.set _ZN7rocprim17ROCPRIM_400000_NS6detail17trampoline_kernelINS0_14default_configENS1_32segmented_reduce_config_selectorIN3c104HalfEEEZNS1_21segmented_reduce_implIS3_PKS6_PS6_PKiS6_N6hipcub16HIPCUB_304000_NS6detail27convert_result_type_wrapperISA_SB_N2at6native12_GLOBAL__N_19CustomMaxEEEEE10hipError_tPvRmT0_T1_jT2_SS_T4_T3_P12ihipStream_tbEUlT_E_NS1_11comp_targetILNS1_3genE0ELNS1_11target_archE4294967295ELNS1_3gpuE0ELNS1_3repE0EEENS1_30default_config_static_selectorELNS0_4arch9wavefront6targetE1EEEvSR_.uses_flat_scratch, 0
	.set _ZN7rocprim17ROCPRIM_400000_NS6detail17trampoline_kernelINS0_14default_configENS1_32segmented_reduce_config_selectorIN3c104HalfEEEZNS1_21segmented_reduce_implIS3_PKS6_PS6_PKiS6_N6hipcub16HIPCUB_304000_NS6detail27convert_result_type_wrapperISA_SB_N2at6native12_GLOBAL__N_19CustomMaxEEEEE10hipError_tPvRmT0_T1_jT2_SS_T4_T3_P12ihipStream_tbEUlT_E_NS1_11comp_targetILNS1_3genE0ELNS1_11target_archE4294967295ELNS1_3gpuE0ELNS1_3repE0EEENS1_30default_config_static_selectorELNS0_4arch9wavefront6targetE1EEEvSR_.has_dyn_sized_stack, 0
	.set _ZN7rocprim17ROCPRIM_400000_NS6detail17trampoline_kernelINS0_14default_configENS1_32segmented_reduce_config_selectorIN3c104HalfEEEZNS1_21segmented_reduce_implIS3_PKS6_PS6_PKiS6_N6hipcub16HIPCUB_304000_NS6detail27convert_result_type_wrapperISA_SB_N2at6native12_GLOBAL__N_19CustomMaxEEEEE10hipError_tPvRmT0_T1_jT2_SS_T4_T3_P12ihipStream_tbEUlT_E_NS1_11comp_targetILNS1_3genE0ELNS1_11target_archE4294967295ELNS1_3gpuE0ELNS1_3repE0EEENS1_30default_config_static_selectorELNS0_4arch9wavefront6targetE1EEEvSR_.has_recursion, 0
	.set _ZN7rocprim17ROCPRIM_400000_NS6detail17trampoline_kernelINS0_14default_configENS1_32segmented_reduce_config_selectorIN3c104HalfEEEZNS1_21segmented_reduce_implIS3_PKS6_PS6_PKiS6_N6hipcub16HIPCUB_304000_NS6detail27convert_result_type_wrapperISA_SB_N2at6native12_GLOBAL__N_19CustomMaxEEEEE10hipError_tPvRmT0_T1_jT2_SS_T4_T3_P12ihipStream_tbEUlT_E_NS1_11comp_targetILNS1_3genE0ELNS1_11target_archE4294967295ELNS1_3gpuE0ELNS1_3repE0EEENS1_30default_config_static_selectorELNS0_4arch9wavefront6targetE1EEEvSR_.has_indirect_call, 0
	.section	.AMDGPU.csdata,"",@progbits
; Kernel info:
; codeLenInByte = 0
; TotalNumSgprs: 4
; NumVgprs: 0
; ScratchSize: 0
; MemoryBound: 0
; FloatMode: 240
; IeeeMode: 1
; LDSByteSize: 0 bytes/workgroup (compile time only)
; SGPRBlocks: 0
; VGPRBlocks: 0
; NumSGPRsForWavesPerEU: 4
; NumVGPRsForWavesPerEU: 1
; Occupancy: 10
; WaveLimiterHint : 0
; COMPUTE_PGM_RSRC2:SCRATCH_EN: 0
; COMPUTE_PGM_RSRC2:USER_SGPR: 6
; COMPUTE_PGM_RSRC2:TRAP_HANDLER: 0
; COMPUTE_PGM_RSRC2:TGID_X_EN: 1
; COMPUTE_PGM_RSRC2:TGID_Y_EN: 0
; COMPUTE_PGM_RSRC2:TGID_Z_EN: 0
; COMPUTE_PGM_RSRC2:TIDIG_COMP_CNT: 0
	.section	.text._ZN7rocprim17ROCPRIM_400000_NS6detail17trampoline_kernelINS0_14default_configENS1_32segmented_reduce_config_selectorIN3c104HalfEEEZNS1_21segmented_reduce_implIS3_PKS6_PS6_PKiS6_N6hipcub16HIPCUB_304000_NS6detail27convert_result_type_wrapperISA_SB_N2at6native12_GLOBAL__N_19CustomMaxEEEEE10hipError_tPvRmT0_T1_jT2_SS_T4_T3_P12ihipStream_tbEUlT_E_NS1_11comp_targetILNS1_3genE5ELNS1_11target_archE942ELNS1_3gpuE9ELNS1_3repE0EEENS1_30default_config_static_selectorELNS0_4arch9wavefront6targetE1EEEvSR_,"axG",@progbits,_ZN7rocprim17ROCPRIM_400000_NS6detail17trampoline_kernelINS0_14default_configENS1_32segmented_reduce_config_selectorIN3c104HalfEEEZNS1_21segmented_reduce_implIS3_PKS6_PS6_PKiS6_N6hipcub16HIPCUB_304000_NS6detail27convert_result_type_wrapperISA_SB_N2at6native12_GLOBAL__N_19CustomMaxEEEEE10hipError_tPvRmT0_T1_jT2_SS_T4_T3_P12ihipStream_tbEUlT_E_NS1_11comp_targetILNS1_3genE5ELNS1_11target_archE942ELNS1_3gpuE9ELNS1_3repE0EEENS1_30default_config_static_selectorELNS0_4arch9wavefront6targetE1EEEvSR_,comdat
	.globl	_ZN7rocprim17ROCPRIM_400000_NS6detail17trampoline_kernelINS0_14default_configENS1_32segmented_reduce_config_selectorIN3c104HalfEEEZNS1_21segmented_reduce_implIS3_PKS6_PS6_PKiS6_N6hipcub16HIPCUB_304000_NS6detail27convert_result_type_wrapperISA_SB_N2at6native12_GLOBAL__N_19CustomMaxEEEEE10hipError_tPvRmT0_T1_jT2_SS_T4_T3_P12ihipStream_tbEUlT_E_NS1_11comp_targetILNS1_3genE5ELNS1_11target_archE942ELNS1_3gpuE9ELNS1_3repE0EEENS1_30default_config_static_selectorELNS0_4arch9wavefront6targetE1EEEvSR_ ; -- Begin function _ZN7rocprim17ROCPRIM_400000_NS6detail17trampoline_kernelINS0_14default_configENS1_32segmented_reduce_config_selectorIN3c104HalfEEEZNS1_21segmented_reduce_implIS3_PKS6_PS6_PKiS6_N6hipcub16HIPCUB_304000_NS6detail27convert_result_type_wrapperISA_SB_N2at6native12_GLOBAL__N_19CustomMaxEEEEE10hipError_tPvRmT0_T1_jT2_SS_T4_T3_P12ihipStream_tbEUlT_E_NS1_11comp_targetILNS1_3genE5ELNS1_11target_archE942ELNS1_3gpuE9ELNS1_3repE0EEENS1_30default_config_static_selectorELNS0_4arch9wavefront6targetE1EEEvSR_
	.p2align	8
	.type	_ZN7rocprim17ROCPRIM_400000_NS6detail17trampoline_kernelINS0_14default_configENS1_32segmented_reduce_config_selectorIN3c104HalfEEEZNS1_21segmented_reduce_implIS3_PKS6_PS6_PKiS6_N6hipcub16HIPCUB_304000_NS6detail27convert_result_type_wrapperISA_SB_N2at6native12_GLOBAL__N_19CustomMaxEEEEE10hipError_tPvRmT0_T1_jT2_SS_T4_T3_P12ihipStream_tbEUlT_E_NS1_11comp_targetILNS1_3genE5ELNS1_11target_archE942ELNS1_3gpuE9ELNS1_3repE0EEENS1_30default_config_static_selectorELNS0_4arch9wavefront6targetE1EEEvSR_,@function
_ZN7rocprim17ROCPRIM_400000_NS6detail17trampoline_kernelINS0_14default_configENS1_32segmented_reduce_config_selectorIN3c104HalfEEEZNS1_21segmented_reduce_implIS3_PKS6_PS6_PKiS6_N6hipcub16HIPCUB_304000_NS6detail27convert_result_type_wrapperISA_SB_N2at6native12_GLOBAL__N_19CustomMaxEEEEE10hipError_tPvRmT0_T1_jT2_SS_T4_T3_P12ihipStream_tbEUlT_E_NS1_11comp_targetILNS1_3genE5ELNS1_11target_archE942ELNS1_3gpuE9ELNS1_3repE0EEENS1_30default_config_static_selectorELNS0_4arch9wavefront6targetE1EEEvSR_: ; @_ZN7rocprim17ROCPRIM_400000_NS6detail17trampoline_kernelINS0_14default_configENS1_32segmented_reduce_config_selectorIN3c104HalfEEEZNS1_21segmented_reduce_implIS3_PKS6_PS6_PKiS6_N6hipcub16HIPCUB_304000_NS6detail27convert_result_type_wrapperISA_SB_N2at6native12_GLOBAL__N_19CustomMaxEEEEE10hipError_tPvRmT0_T1_jT2_SS_T4_T3_P12ihipStream_tbEUlT_E_NS1_11comp_targetILNS1_3genE5ELNS1_11target_archE942ELNS1_3gpuE9ELNS1_3repE0EEENS1_30default_config_static_selectorELNS0_4arch9wavefront6targetE1EEEvSR_
; %bb.0:
	.section	.rodata,"a",@progbits
	.p2align	6, 0x0
	.amdhsa_kernel _ZN7rocprim17ROCPRIM_400000_NS6detail17trampoline_kernelINS0_14default_configENS1_32segmented_reduce_config_selectorIN3c104HalfEEEZNS1_21segmented_reduce_implIS3_PKS6_PS6_PKiS6_N6hipcub16HIPCUB_304000_NS6detail27convert_result_type_wrapperISA_SB_N2at6native12_GLOBAL__N_19CustomMaxEEEEE10hipError_tPvRmT0_T1_jT2_SS_T4_T3_P12ihipStream_tbEUlT_E_NS1_11comp_targetILNS1_3genE5ELNS1_11target_archE942ELNS1_3gpuE9ELNS1_3repE0EEENS1_30default_config_static_selectorELNS0_4arch9wavefront6targetE1EEEvSR_
		.amdhsa_group_segment_fixed_size 0
		.amdhsa_private_segment_fixed_size 0
		.amdhsa_kernarg_size 48
		.amdhsa_user_sgpr_count 6
		.amdhsa_user_sgpr_private_segment_buffer 1
		.amdhsa_user_sgpr_dispatch_ptr 0
		.amdhsa_user_sgpr_queue_ptr 0
		.amdhsa_user_sgpr_kernarg_segment_ptr 1
		.amdhsa_user_sgpr_dispatch_id 0
		.amdhsa_user_sgpr_flat_scratch_init 0
		.amdhsa_user_sgpr_private_segment_size 0
		.amdhsa_uses_dynamic_stack 0
		.amdhsa_system_sgpr_private_segment_wavefront_offset 0
		.amdhsa_system_sgpr_workgroup_id_x 1
		.amdhsa_system_sgpr_workgroup_id_y 0
		.amdhsa_system_sgpr_workgroup_id_z 0
		.amdhsa_system_sgpr_workgroup_info 0
		.amdhsa_system_vgpr_workitem_id 0
		.amdhsa_next_free_vgpr 1
		.amdhsa_next_free_sgpr 0
		.amdhsa_reserve_vcc 0
		.amdhsa_reserve_flat_scratch 0
		.amdhsa_float_round_mode_32 0
		.amdhsa_float_round_mode_16_64 0
		.amdhsa_float_denorm_mode_32 3
		.amdhsa_float_denorm_mode_16_64 3
		.amdhsa_dx10_clamp 1
		.amdhsa_ieee_mode 1
		.amdhsa_fp16_overflow 0
		.amdhsa_exception_fp_ieee_invalid_op 0
		.amdhsa_exception_fp_denorm_src 0
		.amdhsa_exception_fp_ieee_div_zero 0
		.amdhsa_exception_fp_ieee_overflow 0
		.amdhsa_exception_fp_ieee_underflow 0
		.amdhsa_exception_fp_ieee_inexact 0
		.amdhsa_exception_int_div_zero 0
	.end_amdhsa_kernel
	.section	.text._ZN7rocprim17ROCPRIM_400000_NS6detail17trampoline_kernelINS0_14default_configENS1_32segmented_reduce_config_selectorIN3c104HalfEEEZNS1_21segmented_reduce_implIS3_PKS6_PS6_PKiS6_N6hipcub16HIPCUB_304000_NS6detail27convert_result_type_wrapperISA_SB_N2at6native12_GLOBAL__N_19CustomMaxEEEEE10hipError_tPvRmT0_T1_jT2_SS_T4_T3_P12ihipStream_tbEUlT_E_NS1_11comp_targetILNS1_3genE5ELNS1_11target_archE942ELNS1_3gpuE9ELNS1_3repE0EEENS1_30default_config_static_selectorELNS0_4arch9wavefront6targetE1EEEvSR_,"axG",@progbits,_ZN7rocprim17ROCPRIM_400000_NS6detail17trampoline_kernelINS0_14default_configENS1_32segmented_reduce_config_selectorIN3c104HalfEEEZNS1_21segmented_reduce_implIS3_PKS6_PS6_PKiS6_N6hipcub16HIPCUB_304000_NS6detail27convert_result_type_wrapperISA_SB_N2at6native12_GLOBAL__N_19CustomMaxEEEEE10hipError_tPvRmT0_T1_jT2_SS_T4_T3_P12ihipStream_tbEUlT_E_NS1_11comp_targetILNS1_3genE5ELNS1_11target_archE942ELNS1_3gpuE9ELNS1_3repE0EEENS1_30default_config_static_selectorELNS0_4arch9wavefront6targetE1EEEvSR_,comdat
.Lfunc_end78:
	.size	_ZN7rocprim17ROCPRIM_400000_NS6detail17trampoline_kernelINS0_14default_configENS1_32segmented_reduce_config_selectorIN3c104HalfEEEZNS1_21segmented_reduce_implIS3_PKS6_PS6_PKiS6_N6hipcub16HIPCUB_304000_NS6detail27convert_result_type_wrapperISA_SB_N2at6native12_GLOBAL__N_19CustomMaxEEEEE10hipError_tPvRmT0_T1_jT2_SS_T4_T3_P12ihipStream_tbEUlT_E_NS1_11comp_targetILNS1_3genE5ELNS1_11target_archE942ELNS1_3gpuE9ELNS1_3repE0EEENS1_30default_config_static_selectorELNS0_4arch9wavefront6targetE1EEEvSR_, .Lfunc_end78-_ZN7rocprim17ROCPRIM_400000_NS6detail17trampoline_kernelINS0_14default_configENS1_32segmented_reduce_config_selectorIN3c104HalfEEEZNS1_21segmented_reduce_implIS3_PKS6_PS6_PKiS6_N6hipcub16HIPCUB_304000_NS6detail27convert_result_type_wrapperISA_SB_N2at6native12_GLOBAL__N_19CustomMaxEEEEE10hipError_tPvRmT0_T1_jT2_SS_T4_T3_P12ihipStream_tbEUlT_E_NS1_11comp_targetILNS1_3genE5ELNS1_11target_archE942ELNS1_3gpuE9ELNS1_3repE0EEENS1_30default_config_static_selectorELNS0_4arch9wavefront6targetE1EEEvSR_
                                        ; -- End function
	.set _ZN7rocprim17ROCPRIM_400000_NS6detail17trampoline_kernelINS0_14default_configENS1_32segmented_reduce_config_selectorIN3c104HalfEEEZNS1_21segmented_reduce_implIS3_PKS6_PS6_PKiS6_N6hipcub16HIPCUB_304000_NS6detail27convert_result_type_wrapperISA_SB_N2at6native12_GLOBAL__N_19CustomMaxEEEEE10hipError_tPvRmT0_T1_jT2_SS_T4_T3_P12ihipStream_tbEUlT_E_NS1_11comp_targetILNS1_3genE5ELNS1_11target_archE942ELNS1_3gpuE9ELNS1_3repE0EEENS1_30default_config_static_selectorELNS0_4arch9wavefront6targetE1EEEvSR_.num_vgpr, 0
	.set _ZN7rocprim17ROCPRIM_400000_NS6detail17trampoline_kernelINS0_14default_configENS1_32segmented_reduce_config_selectorIN3c104HalfEEEZNS1_21segmented_reduce_implIS3_PKS6_PS6_PKiS6_N6hipcub16HIPCUB_304000_NS6detail27convert_result_type_wrapperISA_SB_N2at6native12_GLOBAL__N_19CustomMaxEEEEE10hipError_tPvRmT0_T1_jT2_SS_T4_T3_P12ihipStream_tbEUlT_E_NS1_11comp_targetILNS1_3genE5ELNS1_11target_archE942ELNS1_3gpuE9ELNS1_3repE0EEENS1_30default_config_static_selectorELNS0_4arch9wavefront6targetE1EEEvSR_.num_agpr, 0
	.set _ZN7rocprim17ROCPRIM_400000_NS6detail17trampoline_kernelINS0_14default_configENS1_32segmented_reduce_config_selectorIN3c104HalfEEEZNS1_21segmented_reduce_implIS3_PKS6_PS6_PKiS6_N6hipcub16HIPCUB_304000_NS6detail27convert_result_type_wrapperISA_SB_N2at6native12_GLOBAL__N_19CustomMaxEEEEE10hipError_tPvRmT0_T1_jT2_SS_T4_T3_P12ihipStream_tbEUlT_E_NS1_11comp_targetILNS1_3genE5ELNS1_11target_archE942ELNS1_3gpuE9ELNS1_3repE0EEENS1_30default_config_static_selectorELNS0_4arch9wavefront6targetE1EEEvSR_.numbered_sgpr, 0
	.set _ZN7rocprim17ROCPRIM_400000_NS6detail17trampoline_kernelINS0_14default_configENS1_32segmented_reduce_config_selectorIN3c104HalfEEEZNS1_21segmented_reduce_implIS3_PKS6_PS6_PKiS6_N6hipcub16HIPCUB_304000_NS6detail27convert_result_type_wrapperISA_SB_N2at6native12_GLOBAL__N_19CustomMaxEEEEE10hipError_tPvRmT0_T1_jT2_SS_T4_T3_P12ihipStream_tbEUlT_E_NS1_11comp_targetILNS1_3genE5ELNS1_11target_archE942ELNS1_3gpuE9ELNS1_3repE0EEENS1_30default_config_static_selectorELNS0_4arch9wavefront6targetE1EEEvSR_.num_named_barrier, 0
	.set _ZN7rocprim17ROCPRIM_400000_NS6detail17trampoline_kernelINS0_14default_configENS1_32segmented_reduce_config_selectorIN3c104HalfEEEZNS1_21segmented_reduce_implIS3_PKS6_PS6_PKiS6_N6hipcub16HIPCUB_304000_NS6detail27convert_result_type_wrapperISA_SB_N2at6native12_GLOBAL__N_19CustomMaxEEEEE10hipError_tPvRmT0_T1_jT2_SS_T4_T3_P12ihipStream_tbEUlT_E_NS1_11comp_targetILNS1_3genE5ELNS1_11target_archE942ELNS1_3gpuE9ELNS1_3repE0EEENS1_30default_config_static_selectorELNS0_4arch9wavefront6targetE1EEEvSR_.private_seg_size, 0
	.set _ZN7rocprim17ROCPRIM_400000_NS6detail17trampoline_kernelINS0_14default_configENS1_32segmented_reduce_config_selectorIN3c104HalfEEEZNS1_21segmented_reduce_implIS3_PKS6_PS6_PKiS6_N6hipcub16HIPCUB_304000_NS6detail27convert_result_type_wrapperISA_SB_N2at6native12_GLOBAL__N_19CustomMaxEEEEE10hipError_tPvRmT0_T1_jT2_SS_T4_T3_P12ihipStream_tbEUlT_E_NS1_11comp_targetILNS1_3genE5ELNS1_11target_archE942ELNS1_3gpuE9ELNS1_3repE0EEENS1_30default_config_static_selectorELNS0_4arch9wavefront6targetE1EEEvSR_.uses_vcc, 0
	.set _ZN7rocprim17ROCPRIM_400000_NS6detail17trampoline_kernelINS0_14default_configENS1_32segmented_reduce_config_selectorIN3c104HalfEEEZNS1_21segmented_reduce_implIS3_PKS6_PS6_PKiS6_N6hipcub16HIPCUB_304000_NS6detail27convert_result_type_wrapperISA_SB_N2at6native12_GLOBAL__N_19CustomMaxEEEEE10hipError_tPvRmT0_T1_jT2_SS_T4_T3_P12ihipStream_tbEUlT_E_NS1_11comp_targetILNS1_3genE5ELNS1_11target_archE942ELNS1_3gpuE9ELNS1_3repE0EEENS1_30default_config_static_selectorELNS0_4arch9wavefront6targetE1EEEvSR_.uses_flat_scratch, 0
	.set _ZN7rocprim17ROCPRIM_400000_NS6detail17trampoline_kernelINS0_14default_configENS1_32segmented_reduce_config_selectorIN3c104HalfEEEZNS1_21segmented_reduce_implIS3_PKS6_PS6_PKiS6_N6hipcub16HIPCUB_304000_NS6detail27convert_result_type_wrapperISA_SB_N2at6native12_GLOBAL__N_19CustomMaxEEEEE10hipError_tPvRmT0_T1_jT2_SS_T4_T3_P12ihipStream_tbEUlT_E_NS1_11comp_targetILNS1_3genE5ELNS1_11target_archE942ELNS1_3gpuE9ELNS1_3repE0EEENS1_30default_config_static_selectorELNS0_4arch9wavefront6targetE1EEEvSR_.has_dyn_sized_stack, 0
	.set _ZN7rocprim17ROCPRIM_400000_NS6detail17trampoline_kernelINS0_14default_configENS1_32segmented_reduce_config_selectorIN3c104HalfEEEZNS1_21segmented_reduce_implIS3_PKS6_PS6_PKiS6_N6hipcub16HIPCUB_304000_NS6detail27convert_result_type_wrapperISA_SB_N2at6native12_GLOBAL__N_19CustomMaxEEEEE10hipError_tPvRmT0_T1_jT2_SS_T4_T3_P12ihipStream_tbEUlT_E_NS1_11comp_targetILNS1_3genE5ELNS1_11target_archE942ELNS1_3gpuE9ELNS1_3repE0EEENS1_30default_config_static_selectorELNS0_4arch9wavefront6targetE1EEEvSR_.has_recursion, 0
	.set _ZN7rocprim17ROCPRIM_400000_NS6detail17trampoline_kernelINS0_14default_configENS1_32segmented_reduce_config_selectorIN3c104HalfEEEZNS1_21segmented_reduce_implIS3_PKS6_PS6_PKiS6_N6hipcub16HIPCUB_304000_NS6detail27convert_result_type_wrapperISA_SB_N2at6native12_GLOBAL__N_19CustomMaxEEEEE10hipError_tPvRmT0_T1_jT2_SS_T4_T3_P12ihipStream_tbEUlT_E_NS1_11comp_targetILNS1_3genE5ELNS1_11target_archE942ELNS1_3gpuE9ELNS1_3repE0EEENS1_30default_config_static_selectorELNS0_4arch9wavefront6targetE1EEEvSR_.has_indirect_call, 0
	.section	.AMDGPU.csdata,"",@progbits
; Kernel info:
; codeLenInByte = 0
; TotalNumSgprs: 4
; NumVgprs: 0
; ScratchSize: 0
; MemoryBound: 0
; FloatMode: 240
; IeeeMode: 1
; LDSByteSize: 0 bytes/workgroup (compile time only)
; SGPRBlocks: 0
; VGPRBlocks: 0
; NumSGPRsForWavesPerEU: 4
; NumVGPRsForWavesPerEU: 1
; Occupancy: 10
; WaveLimiterHint : 0
; COMPUTE_PGM_RSRC2:SCRATCH_EN: 0
; COMPUTE_PGM_RSRC2:USER_SGPR: 6
; COMPUTE_PGM_RSRC2:TRAP_HANDLER: 0
; COMPUTE_PGM_RSRC2:TGID_X_EN: 1
; COMPUTE_PGM_RSRC2:TGID_Y_EN: 0
; COMPUTE_PGM_RSRC2:TGID_Z_EN: 0
; COMPUTE_PGM_RSRC2:TIDIG_COMP_CNT: 0
	.section	.text._ZN7rocprim17ROCPRIM_400000_NS6detail17trampoline_kernelINS0_14default_configENS1_32segmented_reduce_config_selectorIN3c104HalfEEEZNS1_21segmented_reduce_implIS3_PKS6_PS6_PKiS6_N6hipcub16HIPCUB_304000_NS6detail27convert_result_type_wrapperISA_SB_N2at6native12_GLOBAL__N_19CustomMaxEEEEE10hipError_tPvRmT0_T1_jT2_SS_T4_T3_P12ihipStream_tbEUlT_E_NS1_11comp_targetILNS1_3genE10ELNS1_11target_archE1201ELNS1_3gpuE5ELNS1_3repE0EEENS1_30default_config_static_selectorELNS0_4arch9wavefront6targetE1EEEvSR_,"axG",@progbits,_ZN7rocprim17ROCPRIM_400000_NS6detail17trampoline_kernelINS0_14default_configENS1_32segmented_reduce_config_selectorIN3c104HalfEEEZNS1_21segmented_reduce_implIS3_PKS6_PS6_PKiS6_N6hipcub16HIPCUB_304000_NS6detail27convert_result_type_wrapperISA_SB_N2at6native12_GLOBAL__N_19CustomMaxEEEEE10hipError_tPvRmT0_T1_jT2_SS_T4_T3_P12ihipStream_tbEUlT_E_NS1_11comp_targetILNS1_3genE10ELNS1_11target_archE1201ELNS1_3gpuE5ELNS1_3repE0EEENS1_30default_config_static_selectorELNS0_4arch9wavefront6targetE1EEEvSR_,comdat
	.globl	_ZN7rocprim17ROCPRIM_400000_NS6detail17trampoline_kernelINS0_14default_configENS1_32segmented_reduce_config_selectorIN3c104HalfEEEZNS1_21segmented_reduce_implIS3_PKS6_PS6_PKiS6_N6hipcub16HIPCUB_304000_NS6detail27convert_result_type_wrapperISA_SB_N2at6native12_GLOBAL__N_19CustomMaxEEEEE10hipError_tPvRmT0_T1_jT2_SS_T4_T3_P12ihipStream_tbEUlT_E_NS1_11comp_targetILNS1_3genE10ELNS1_11target_archE1201ELNS1_3gpuE5ELNS1_3repE0EEENS1_30default_config_static_selectorELNS0_4arch9wavefront6targetE1EEEvSR_ ; -- Begin function _ZN7rocprim17ROCPRIM_400000_NS6detail17trampoline_kernelINS0_14default_configENS1_32segmented_reduce_config_selectorIN3c104HalfEEEZNS1_21segmented_reduce_implIS3_PKS6_PS6_PKiS6_N6hipcub16HIPCUB_304000_NS6detail27convert_result_type_wrapperISA_SB_N2at6native12_GLOBAL__N_19CustomMaxEEEEE10hipError_tPvRmT0_T1_jT2_SS_T4_T3_P12ihipStream_tbEUlT_E_NS1_11comp_targetILNS1_3genE10ELNS1_11target_archE1201ELNS1_3gpuE5ELNS1_3repE0EEENS1_30default_config_static_selectorELNS0_4arch9wavefront6targetE1EEEvSR_
	.p2align	8
	.type	_ZN7rocprim17ROCPRIM_400000_NS6detail17trampoline_kernelINS0_14default_configENS1_32segmented_reduce_config_selectorIN3c104HalfEEEZNS1_21segmented_reduce_implIS3_PKS6_PS6_PKiS6_N6hipcub16HIPCUB_304000_NS6detail27convert_result_type_wrapperISA_SB_N2at6native12_GLOBAL__N_19CustomMaxEEEEE10hipError_tPvRmT0_T1_jT2_SS_T4_T3_P12ihipStream_tbEUlT_E_NS1_11comp_targetILNS1_3genE10ELNS1_11target_archE1201ELNS1_3gpuE5ELNS1_3repE0EEENS1_30default_config_static_selectorELNS0_4arch9wavefront6targetE1EEEvSR_,@function
_ZN7rocprim17ROCPRIM_400000_NS6detail17trampoline_kernelINS0_14default_configENS1_32segmented_reduce_config_selectorIN3c104HalfEEEZNS1_21segmented_reduce_implIS3_PKS6_PS6_PKiS6_N6hipcub16HIPCUB_304000_NS6detail27convert_result_type_wrapperISA_SB_N2at6native12_GLOBAL__N_19CustomMaxEEEEE10hipError_tPvRmT0_T1_jT2_SS_T4_T3_P12ihipStream_tbEUlT_E_NS1_11comp_targetILNS1_3genE10ELNS1_11target_archE1201ELNS1_3gpuE5ELNS1_3repE0EEENS1_30default_config_static_selectorELNS0_4arch9wavefront6targetE1EEEvSR_: ; @_ZN7rocprim17ROCPRIM_400000_NS6detail17trampoline_kernelINS0_14default_configENS1_32segmented_reduce_config_selectorIN3c104HalfEEEZNS1_21segmented_reduce_implIS3_PKS6_PS6_PKiS6_N6hipcub16HIPCUB_304000_NS6detail27convert_result_type_wrapperISA_SB_N2at6native12_GLOBAL__N_19CustomMaxEEEEE10hipError_tPvRmT0_T1_jT2_SS_T4_T3_P12ihipStream_tbEUlT_E_NS1_11comp_targetILNS1_3genE10ELNS1_11target_archE1201ELNS1_3gpuE5ELNS1_3repE0EEENS1_30default_config_static_selectorELNS0_4arch9wavefront6targetE1EEEvSR_
; %bb.0:
	.section	.rodata,"a",@progbits
	.p2align	6, 0x0
	.amdhsa_kernel _ZN7rocprim17ROCPRIM_400000_NS6detail17trampoline_kernelINS0_14default_configENS1_32segmented_reduce_config_selectorIN3c104HalfEEEZNS1_21segmented_reduce_implIS3_PKS6_PS6_PKiS6_N6hipcub16HIPCUB_304000_NS6detail27convert_result_type_wrapperISA_SB_N2at6native12_GLOBAL__N_19CustomMaxEEEEE10hipError_tPvRmT0_T1_jT2_SS_T4_T3_P12ihipStream_tbEUlT_E_NS1_11comp_targetILNS1_3genE10ELNS1_11target_archE1201ELNS1_3gpuE5ELNS1_3repE0EEENS1_30default_config_static_selectorELNS0_4arch9wavefront6targetE1EEEvSR_
		.amdhsa_group_segment_fixed_size 0
		.amdhsa_private_segment_fixed_size 0
		.amdhsa_kernarg_size 48
		.amdhsa_user_sgpr_count 6
		.amdhsa_user_sgpr_private_segment_buffer 1
		.amdhsa_user_sgpr_dispatch_ptr 0
		.amdhsa_user_sgpr_queue_ptr 0
		.amdhsa_user_sgpr_kernarg_segment_ptr 1
		.amdhsa_user_sgpr_dispatch_id 0
		.amdhsa_user_sgpr_flat_scratch_init 0
		.amdhsa_user_sgpr_private_segment_size 0
		.amdhsa_uses_dynamic_stack 0
		.amdhsa_system_sgpr_private_segment_wavefront_offset 0
		.amdhsa_system_sgpr_workgroup_id_x 1
		.amdhsa_system_sgpr_workgroup_id_y 0
		.amdhsa_system_sgpr_workgroup_id_z 0
		.amdhsa_system_sgpr_workgroup_info 0
		.amdhsa_system_vgpr_workitem_id 0
		.amdhsa_next_free_vgpr 1
		.amdhsa_next_free_sgpr 0
		.amdhsa_reserve_vcc 0
		.amdhsa_reserve_flat_scratch 0
		.amdhsa_float_round_mode_32 0
		.amdhsa_float_round_mode_16_64 0
		.amdhsa_float_denorm_mode_32 3
		.amdhsa_float_denorm_mode_16_64 3
		.amdhsa_dx10_clamp 1
		.amdhsa_ieee_mode 1
		.amdhsa_fp16_overflow 0
		.amdhsa_exception_fp_ieee_invalid_op 0
		.amdhsa_exception_fp_denorm_src 0
		.amdhsa_exception_fp_ieee_div_zero 0
		.amdhsa_exception_fp_ieee_overflow 0
		.amdhsa_exception_fp_ieee_underflow 0
		.amdhsa_exception_fp_ieee_inexact 0
		.amdhsa_exception_int_div_zero 0
	.end_amdhsa_kernel
	.section	.text._ZN7rocprim17ROCPRIM_400000_NS6detail17trampoline_kernelINS0_14default_configENS1_32segmented_reduce_config_selectorIN3c104HalfEEEZNS1_21segmented_reduce_implIS3_PKS6_PS6_PKiS6_N6hipcub16HIPCUB_304000_NS6detail27convert_result_type_wrapperISA_SB_N2at6native12_GLOBAL__N_19CustomMaxEEEEE10hipError_tPvRmT0_T1_jT2_SS_T4_T3_P12ihipStream_tbEUlT_E_NS1_11comp_targetILNS1_3genE10ELNS1_11target_archE1201ELNS1_3gpuE5ELNS1_3repE0EEENS1_30default_config_static_selectorELNS0_4arch9wavefront6targetE1EEEvSR_,"axG",@progbits,_ZN7rocprim17ROCPRIM_400000_NS6detail17trampoline_kernelINS0_14default_configENS1_32segmented_reduce_config_selectorIN3c104HalfEEEZNS1_21segmented_reduce_implIS3_PKS6_PS6_PKiS6_N6hipcub16HIPCUB_304000_NS6detail27convert_result_type_wrapperISA_SB_N2at6native12_GLOBAL__N_19CustomMaxEEEEE10hipError_tPvRmT0_T1_jT2_SS_T4_T3_P12ihipStream_tbEUlT_E_NS1_11comp_targetILNS1_3genE10ELNS1_11target_archE1201ELNS1_3gpuE5ELNS1_3repE0EEENS1_30default_config_static_selectorELNS0_4arch9wavefront6targetE1EEEvSR_,comdat
.Lfunc_end79:
	.size	_ZN7rocprim17ROCPRIM_400000_NS6detail17trampoline_kernelINS0_14default_configENS1_32segmented_reduce_config_selectorIN3c104HalfEEEZNS1_21segmented_reduce_implIS3_PKS6_PS6_PKiS6_N6hipcub16HIPCUB_304000_NS6detail27convert_result_type_wrapperISA_SB_N2at6native12_GLOBAL__N_19CustomMaxEEEEE10hipError_tPvRmT0_T1_jT2_SS_T4_T3_P12ihipStream_tbEUlT_E_NS1_11comp_targetILNS1_3genE10ELNS1_11target_archE1201ELNS1_3gpuE5ELNS1_3repE0EEENS1_30default_config_static_selectorELNS0_4arch9wavefront6targetE1EEEvSR_, .Lfunc_end79-_ZN7rocprim17ROCPRIM_400000_NS6detail17trampoline_kernelINS0_14default_configENS1_32segmented_reduce_config_selectorIN3c104HalfEEEZNS1_21segmented_reduce_implIS3_PKS6_PS6_PKiS6_N6hipcub16HIPCUB_304000_NS6detail27convert_result_type_wrapperISA_SB_N2at6native12_GLOBAL__N_19CustomMaxEEEEE10hipError_tPvRmT0_T1_jT2_SS_T4_T3_P12ihipStream_tbEUlT_E_NS1_11comp_targetILNS1_3genE10ELNS1_11target_archE1201ELNS1_3gpuE5ELNS1_3repE0EEENS1_30default_config_static_selectorELNS0_4arch9wavefront6targetE1EEEvSR_
                                        ; -- End function
	.set _ZN7rocprim17ROCPRIM_400000_NS6detail17trampoline_kernelINS0_14default_configENS1_32segmented_reduce_config_selectorIN3c104HalfEEEZNS1_21segmented_reduce_implIS3_PKS6_PS6_PKiS6_N6hipcub16HIPCUB_304000_NS6detail27convert_result_type_wrapperISA_SB_N2at6native12_GLOBAL__N_19CustomMaxEEEEE10hipError_tPvRmT0_T1_jT2_SS_T4_T3_P12ihipStream_tbEUlT_E_NS1_11comp_targetILNS1_3genE10ELNS1_11target_archE1201ELNS1_3gpuE5ELNS1_3repE0EEENS1_30default_config_static_selectorELNS0_4arch9wavefront6targetE1EEEvSR_.num_vgpr, 0
	.set _ZN7rocprim17ROCPRIM_400000_NS6detail17trampoline_kernelINS0_14default_configENS1_32segmented_reduce_config_selectorIN3c104HalfEEEZNS1_21segmented_reduce_implIS3_PKS6_PS6_PKiS6_N6hipcub16HIPCUB_304000_NS6detail27convert_result_type_wrapperISA_SB_N2at6native12_GLOBAL__N_19CustomMaxEEEEE10hipError_tPvRmT0_T1_jT2_SS_T4_T3_P12ihipStream_tbEUlT_E_NS1_11comp_targetILNS1_3genE10ELNS1_11target_archE1201ELNS1_3gpuE5ELNS1_3repE0EEENS1_30default_config_static_selectorELNS0_4arch9wavefront6targetE1EEEvSR_.num_agpr, 0
	.set _ZN7rocprim17ROCPRIM_400000_NS6detail17trampoline_kernelINS0_14default_configENS1_32segmented_reduce_config_selectorIN3c104HalfEEEZNS1_21segmented_reduce_implIS3_PKS6_PS6_PKiS6_N6hipcub16HIPCUB_304000_NS6detail27convert_result_type_wrapperISA_SB_N2at6native12_GLOBAL__N_19CustomMaxEEEEE10hipError_tPvRmT0_T1_jT2_SS_T4_T3_P12ihipStream_tbEUlT_E_NS1_11comp_targetILNS1_3genE10ELNS1_11target_archE1201ELNS1_3gpuE5ELNS1_3repE0EEENS1_30default_config_static_selectorELNS0_4arch9wavefront6targetE1EEEvSR_.numbered_sgpr, 0
	.set _ZN7rocprim17ROCPRIM_400000_NS6detail17trampoline_kernelINS0_14default_configENS1_32segmented_reduce_config_selectorIN3c104HalfEEEZNS1_21segmented_reduce_implIS3_PKS6_PS6_PKiS6_N6hipcub16HIPCUB_304000_NS6detail27convert_result_type_wrapperISA_SB_N2at6native12_GLOBAL__N_19CustomMaxEEEEE10hipError_tPvRmT0_T1_jT2_SS_T4_T3_P12ihipStream_tbEUlT_E_NS1_11comp_targetILNS1_3genE10ELNS1_11target_archE1201ELNS1_3gpuE5ELNS1_3repE0EEENS1_30default_config_static_selectorELNS0_4arch9wavefront6targetE1EEEvSR_.num_named_barrier, 0
	.set _ZN7rocprim17ROCPRIM_400000_NS6detail17trampoline_kernelINS0_14default_configENS1_32segmented_reduce_config_selectorIN3c104HalfEEEZNS1_21segmented_reduce_implIS3_PKS6_PS6_PKiS6_N6hipcub16HIPCUB_304000_NS6detail27convert_result_type_wrapperISA_SB_N2at6native12_GLOBAL__N_19CustomMaxEEEEE10hipError_tPvRmT0_T1_jT2_SS_T4_T3_P12ihipStream_tbEUlT_E_NS1_11comp_targetILNS1_3genE10ELNS1_11target_archE1201ELNS1_3gpuE5ELNS1_3repE0EEENS1_30default_config_static_selectorELNS0_4arch9wavefront6targetE1EEEvSR_.private_seg_size, 0
	.set _ZN7rocprim17ROCPRIM_400000_NS6detail17trampoline_kernelINS0_14default_configENS1_32segmented_reduce_config_selectorIN3c104HalfEEEZNS1_21segmented_reduce_implIS3_PKS6_PS6_PKiS6_N6hipcub16HIPCUB_304000_NS6detail27convert_result_type_wrapperISA_SB_N2at6native12_GLOBAL__N_19CustomMaxEEEEE10hipError_tPvRmT0_T1_jT2_SS_T4_T3_P12ihipStream_tbEUlT_E_NS1_11comp_targetILNS1_3genE10ELNS1_11target_archE1201ELNS1_3gpuE5ELNS1_3repE0EEENS1_30default_config_static_selectorELNS0_4arch9wavefront6targetE1EEEvSR_.uses_vcc, 0
	.set _ZN7rocprim17ROCPRIM_400000_NS6detail17trampoline_kernelINS0_14default_configENS1_32segmented_reduce_config_selectorIN3c104HalfEEEZNS1_21segmented_reduce_implIS3_PKS6_PS6_PKiS6_N6hipcub16HIPCUB_304000_NS6detail27convert_result_type_wrapperISA_SB_N2at6native12_GLOBAL__N_19CustomMaxEEEEE10hipError_tPvRmT0_T1_jT2_SS_T4_T3_P12ihipStream_tbEUlT_E_NS1_11comp_targetILNS1_3genE10ELNS1_11target_archE1201ELNS1_3gpuE5ELNS1_3repE0EEENS1_30default_config_static_selectorELNS0_4arch9wavefront6targetE1EEEvSR_.uses_flat_scratch, 0
	.set _ZN7rocprim17ROCPRIM_400000_NS6detail17trampoline_kernelINS0_14default_configENS1_32segmented_reduce_config_selectorIN3c104HalfEEEZNS1_21segmented_reduce_implIS3_PKS6_PS6_PKiS6_N6hipcub16HIPCUB_304000_NS6detail27convert_result_type_wrapperISA_SB_N2at6native12_GLOBAL__N_19CustomMaxEEEEE10hipError_tPvRmT0_T1_jT2_SS_T4_T3_P12ihipStream_tbEUlT_E_NS1_11comp_targetILNS1_3genE10ELNS1_11target_archE1201ELNS1_3gpuE5ELNS1_3repE0EEENS1_30default_config_static_selectorELNS0_4arch9wavefront6targetE1EEEvSR_.has_dyn_sized_stack, 0
	.set _ZN7rocprim17ROCPRIM_400000_NS6detail17trampoline_kernelINS0_14default_configENS1_32segmented_reduce_config_selectorIN3c104HalfEEEZNS1_21segmented_reduce_implIS3_PKS6_PS6_PKiS6_N6hipcub16HIPCUB_304000_NS6detail27convert_result_type_wrapperISA_SB_N2at6native12_GLOBAL__N_19CustomMaxEEEEE10hipError_tPvRmT0_T1_jT2_SS_T4_T3_P12ihipStream_tbEUlT_E_NS1_11comp_targetILNS1_3genE10ELNS1_11target_archE1201ELNS1_3gpuE5ELNS1_3repE0EEENS1_30default_config_static_selectorELNS0_4arch9wavefront6targetE1EEEvSR_.has_recursion, 0
	.set _ZN7rocprim17ROCPRIM_400000_NS6detail17trampoline_kernelINS0_14default_configENS1_32segmented_reduce_config_selectorIN3c104HalfEEEZNS1_21segmented_reduce_implIS3_PKS6_PS6_PKiS6_N6hipcub16HIPCUB_304000_NS6detail27convert_result_type_wrapperISA_SB_N2at6native12_GLOBAL__N_19CustomMaxEEEEE10hipError_tPvRmT0_T1_jT2_SS_T4_T3_P12ihipStream_tbEUlT_E_NS1_11comp_targetILNS1_3genE10ELNS1_11target_archE1201ELNS1_3gpuE5ELNS1_3repE0EEENS1_30default_config_static_selectorELNS0_4arch9wavefront6targetE1EEEvSR_.has_indirect_call, 0
	.section	.AMDGPU.csdata,"",@progbits
; Kernel info:
; codeLenInByte = 0
; TotalNumSgprs: 4
; NumVgprs: 0
; ScratchSize: 0
; MemoryBound: 0
; FloatMode: 240
; IeeeMode: 1
; LDSByteSize: 0 bytes/workgroup (compile time only)
; SGPRBlocks: 0
; VGPRBlocks: 0
; NumSGPRsForWavesPerEU: 4
; NumVGPRsForWavesPerEU: 1
; Occupancy: 10
; WaveLimiterHint : 0
; COMPUTE_PGM_RSRC2:SCRATCH_EN: 0
; COMPUTE_PGM_RSRC2:USER_SGPR: 6
; COMPUTE_PGM_RSRC2:TRAP_HANDLER: 0
; COMPUTE_PGM_RSRC2:TGID_X_EN: 1
; COMPUTE_PGM_RSRC2:TGID_Y_EN: 0
; COMPUTE_PGM_RSRC2:TGID_Z_EN: 0
; COMPUTE_PGM_RSRC2:TIDIG_COMP_CNT: 0
	.section	.text._ZN7rocprim17ROCPRIM_400000_NS6detail17trampoline_kernelINS0_14default_configENS1_32segmented_reduce_config_selectorIN3c104HalfEEEZNS1_21segmented_reduce_implIS3_PKS6_PS6_PKiS6_N6hipcub16HIPCUB_304000_NS6detail27convert_result_type_wrapperISA_SB_N2at6native12_GLOBAL__N_19CustomMaxEEEEE10hipError_tPvRmT0_T1_jT2_SS_T4_T3_P12ihipStream_tbEUlT_E_NS1_11comp_targetILNS1_3genE4ELNS1_11target_archE910ELNS1_3gpuE8ELNS1_3repE0EEENS1_30default_config_static_selectorELNS0_4arch9wavefront6targetE1EEEvSR_,"axG",@progbits,_ZN7rocprim17ROCPRIM_400000_NS6detail17trampoline_kernelINS0_14default_configENS1_32segmented_reduce_config_selectorIN3c104HalfEEEZNS1_21segmented_reduce_implIS3_PKS6_PS6_PKiS6_N6hipcub16HIPCUB_304000_NS6detail27convert_result_type_wrapperISA_SB_N2at6native12_GLOBAL__N_19CustomMaxEEEEE10hipError_tPvRmT0_T1_jT2_SS_T4_T3_P12ihipStream_tbEUlT_E_NS1_11comp_targetILNS1_3genE4ELNS1_11target_archE910ELNS1_3gpuE8ELNS1_3repE0EEENS1_30default_config_static_selectorELNS0_4arch9wavefront6targetE1EEEvSR_,comdat
	.globl	_ZN7rocprim17ROCPRIM_400000_NS6detail17trampoline_kernelINS0_14default_configENS1_32segmented_reduce_config_selectorIN3c104HalfEEEZNS1_21segmented_reduce_implIS3_PKS6_PS6_PKiS6_N6hipcub16HIPCUB_304000_NS6detail27convert_result_type_wrapperISA_SB_N2at6native12_GLOBAL__N_19CustomMaxEEEEE10hipError_tPvRmT0_T1_jT2_SS_T4_T3_P12ihipStream_tbEUlT_E_NS1_11comp_targetILNS1_3genE4ELNS1_11target_archE910ELNS1_3gpuE8ELNS1_3repE0EEENS1_30default_config_static_selectorELNS0_4arch9wavefront6targetE1EEEvSR_ ; -- Begin function _ZN7rocprim17ROCPRIM_400000_NS6detail17trampoline_kernelINS0_14default_configENS1_32segmented_reduce_config_selectorIN3c104HalfEEEZNS1_21segmented_reduce_implIS3_PKS6_PS6_PKiS6_N6hipcub16HIPCUB_304000_NS6detail27convert_result_type_wrapperISA_SB_N2at6native12_GLOBAL__N_19CustomMaxEEEEE10hipError_tPvRmT0_T1_jT2_SS_T4_T3_P12ihipStream_tbEUlT_E_NS1_11comp_targetILNS1_3genE4ELNS1_11target_archE910ELNS1_3gpuE8ELNS1_3repE0EEENS1_30default_config_static_selectorELNS0_4arch9wavefront6targetE1EEEvSR_
	.p2align	8
	.type	_ZN7rocprim17ROCPRIM_400000_NS6detail17trampoline_kernelINS0_14default_configENS1_32segmented_reduce_config_selectorIN3c104HalfEEEZNS1_21segmented_reduce_implIS3_PKS6_PS6_PKiS6_N6hipcub16HIPCUB_304000_NS6detail27convert_result_type_wrapperISA_SB_N2at6native12_GLOBAL__N_19CustomMaxEEEEE10hipError_tPvRmT0_T1_jT2_SS_T4_T3_P12ihipStream_tbEUlT_E_NS1_11comp_targetILNS1_3genE4ELNS1_11target_archE910ELNS1_3gpuE8ELNS1_3repE0EEENS1_30default_config_static_selectorELNS0_4arch9wavefront6targetE1EEEvSR_,@function
_ZN7rocprim17ROCPRIM_400000_NS6detail17trampoline_kernelINS0_14default_configENS1_32segmented_reduce_config_selectorIN3c104HalfEEEZNS1_21segmented_reduce_implIS3_PKS6_PS6_PKiS6_N6hipcub16HIPCUB_304000_NS6detail27convert_result_type_wrapperISA_SB_N2at6native12_GLOBAL__N_19CustomMaxEEEEE10hipError_tPvRmT0_T1_jT2_SS_T4_T3_P12ihipStream_tbEUlT_E_NS1_11comp_targetILNS1_3genE4ELNS1_11target_archE910ELNS1_3gpuE8ELNS1_3repE0EEENS1_30default_config_static_selectorELNS0_4arch9wavefront6targetE1EEEvSR_: ; @_ZN7rocprim17ROCPRIM_400000_NS6detail17trampoline_kernelINS0_14default_configENS1_32segmented_reduce_config_selectorIN3c104HalfEEEZNS1_21segmented_reduce_implIS3_PKS6_PS6_PKiS6_N6hipcub16HIPCUB_304000_NS6detail27convert_result_type_wrapperISA_SB_N2at6native12_GLOBAL__N_19CustomMaxEEEEE10hipError_tPvRmT0_T1_jT2_SS_T4_T3_P12ihipStream_tbEUlT_E_NS1_11comp_targetILNS1_3genE4ELNS1_11target_archE910ELNS1_3gpuE8ELNS1_3repE0EEENS1_30default_config_static_selectorELNS0_4arch9wavefront6targetE1EEEvSR_
; %bb.0:
	.section	.rodata,"a",@progbits
	.p2align	6, 0x0
	.amdhsa_kernel _ZN7rocprim17ROCPRIM_400000_NS6detail17trampoline_kernelINS0_14default_configENS1_32segmented_reduce_config_selectorIN3c104HalfEEEZNS1_21segmented_reduce_implIS3_PKS6_PS6_PKiS6_N6hipcub16HIPCUB_304000_NS6detail27convert_result_type_wrapperISA_SB_N2at6native12_GLOBAL__N_19CustomMaxEEEEE10hipError_tPvRmT0_T1_jT2_SS_T4_T3_P12ihipStream_tbEUlT_E_NS1_11comp_targetILNS1_3genE4ELNS1_11target_archE910ELNS1_3gpuE8ELNS1_3repE0EEENS1_30default_config_static_selectorELNS0_4arch9wavefront6targetE1EEEvSR_
		.amdhsa_group_segment_fixed_size 0
		.amdhsa_private_segment_fixed_size 0
		.amdhsa_kernarg_size 48
		.amdhsa_user_sgpr_count 6
		.amdhsa_user_sgpr_private_segment_buffer 1
		.amdhsa_user_sgpr_dispatch_ptr 0
		.amdhsa_user_sgpr_queue_ptr 0
		.amdhsa_user_sgpr_kernarg_segment_ptr 1
		.amdhsa_user_sgpr_dispatch_id 0
		.amdhsa_user_sgpr_flat_scratch_init 0
		.amdhsa_user_sgpr_private_segment_size 0
		.amdhsa_uses_dynamic_stack 0
		.amdhsa_system_sgpr_private_segment_wavefront_offset 0
		.amdhsa_system_sgpr_workgroup_id_x 1
		.amdhsa_system_sgpr_workgroup_id_y 0
		.amdhsa_system_sgpr_workgroup_id_z 0
		.amdhsa_system_sgpr_workgroup_info 0
		.amdhsa_system_vgpr_workitem_id 0
		.amdhsa_next_free_vgpr 1
		.amdhsa_next_free_sgpr 0
		.amdhsa_reserve_vcc 0
		.amdhsa_reserve_flat_scratch 0
		.amdhsa_float_round_mode_32 0
		.amdhsa_float_round_mode_16_64 0
		.amdhsa_float_denorm_mode_32 3
		.amdhsa_float_denorm_mode_16_64 3
		.amdhsa_dx10_clamp 1
		.amdhsa_ieee_mode 1
		.amdhsa_fp16_overflow 0
		.amdhsa_exception_fp_ieee_invalid_op 0
		.amdhsa_exception_fp_denorm_src 0
		.amdhsa_exception_fp_ieee_div_zero 0
		.amdhsa_exception_fp_ieee_overflow 0
		.amdhsa_exception_fp_ieee_underflow 0
		.amdhsa_exception_fp_ieee_inexact 0
		.amdhsa_exception_int_div_zero 0
	.end_amdhsa_kernel
	.section	.text._ZN7rocprim17ROCPRIM_400000_NS6detail17trampoline_kernelINS0_14default_configENS1_32segmented_reduce_config_selectorIN3c104HalfEEEZNS1_21segmented_reduce_implIS3_PKS6_PS6_PKiS6_N6hipcub16HIPCUB_304000_NS6detail27convert_result_type_wrapperISA_SB_N2at6native12_GLOBAL__N_19CustomMaxEEEEE10hipError_tPvRmT0_T1_jT2_SS_T4_T3_P12ihipStream_tbEUlT_E_NS1_11comp_targetILNS1_3genE4ELNS1_11target_archE910ELNS1_3gpuE8ELNS1_3repE0EEENS1_30default_config_static_selectorELNS0_4arch9wavefront6targetE1EEEvSR_,"axG",@progbits,_ZN7rocprim17ROCPRIM_400000_NS6detail17trampoline_kernelINS0_14default_configENS1_32segmented_reduce_config_selectorIN3c104HalfEEEZNS1_21segmented_reduce_implIS3_PKS6_PS6_PKiS6_N6hipcub16HIPCUB_304000_NS6detail27convert_result_type_wrapperISA_SB_N2at6native12_GLOBAL__N_19CustomMaxEEEEE10hipError_tPvRmT0_T1_jT2_SS_T4_T3_P12ihipStream_tbEUlT_E_NS1_11comp_targetILNS1_3genE4ELNS1_11target_archE910ELNS1_3gpuE8ELNS1_3repE0EEENS1_30default_config_static_selectorELNS0_4arch9wavefront6targetE1EEEvSR_,comdat
.Lfunc_end80:
	.size	_ZN7rocprim17ROCPRIM_400000_NS6detail17trampoline_kernelINS0_14default_configENS1_32segmented_reduce_config_selectorIN3c104HalfEEEZNS1_21segmented_reduce_implIS3_PKS6_PS6_PKiS6_N6hipcub16HIPCUB_304000_NS6detail27convert_result_type_wrapperISA_SB_N2at6native12_GLOBAL__N_19CustomMaxEEEEE10hipError_tPvRmT0_T1_jT2_SS_T4_T3_P12ihipStream_tbEUlT_E_NS1_11comp_targetILNS1_3genE4ELNS1_11target_archE910ELNS1_3gpuE8ELNS1_3repE0EEENS1_30default_config_static_selectorELNS0_4arch9wavefront6targetE1EEEvSR_, .Lfunc_end80-_ZN7rocprim17ROCPRIM_400000_NS6detail17trampoline_kernelINS0_14default_configENS1_32segmented_reduce_config_selectorIN3c104HalfEEEZNS1_21segmented_reduce_implIS3_PKS6_PS6_PKiS6_N6hipcub16HIPCUB_304000_NS6detail27convert_result_type_wrapperISA_SB_N2at6native12_GLOBAL__N_19CustomMaxEEEEE10hipError_tPvRmT0_T1_jT2_SS_T4_T3_P12ihipStream_tbEUlT_E_NS1_11comp_targetILNS1_3genE4ELNS1_11target_archE910ELNS1_3gpuE8ELNS1_3repE0EEENS1_30default_config_static_selectorELNS0_4arch9wavefront6targetE1EEEvSR_
                                        ; -- End function
	.set _ZN7rocprim17ROCPRIM_400000_NS6detail17trampoline_kernelINS0_14default_configENS1_32segmented_reduce_config_selectorIN3c104HalfEEEZNS1_21segmented_reduce_implIS3_PKS6_PS6_PKiS6_N6hipcub16HIPCUB_304000_NS6detail27convert_result_type_wrapperISA_SB_N2at6native12_GLOBAL__N_19CustomMaxEEEEE10hipError_tPvRmT0_T1_jT2_SS_T4_T3_P12ihipStream_tbEUlT_E_NS1_11comp_targetILNS1_3genE4ELNS1_11target_archE910ELNS1_3gpuE8ELNS1_3repE0EEENS1_30default_config_static_selectorELNS0_4arch9wavefront6targetE1EEEvSR_.num_vgpr, 0
	.set _ZN7rocprim17ROCPRIM_400000_NS6detail17trampoline_kernelINS0_14default_configENS1_32segmented_reduce_config_selectorIN3c104HalfEEEZNS1_21segmented_reduce_implIS3_PKS6_PS6_PKiS6_N6hipcub16HIPCUB_304000_NS6detail27convert_result_type_wrapperISA_SB_N2at6native12_GLOBAL__N_19CustomMaxEEEEE10hipError_tPvRmT0_T1_jT2_SS_T4_T3_P12ihipStream_tbEUlT_E_NS1_11comp_targetILNS1_3genE4ELNS1_11target_archE910ELNS1_3gpuE8ELNS1_3repE0EEENS1_30default_config_static_selectorELNS0_4arch9wavefront6targetE1EEEvSR_.num_agpr, 0
	.set _ZN7rocprim17ROCPRIM_400000_NS6detail17trampoline_kernelINS0_14default_configENS1_32segmented_reduce_config_selectorIN3c104HalfEEEZNS1_21segmented_reduce_implIS3_PKS6_PS6_PKiS6_N6hipcub16HIPCUB_304000_NS6detail27convert_result_type_wrapperISA_SB_N2at6native12_GLOBAL__N_19CustomMaxEEEEE10hipError_tPvRmT0_T1_jT2_SS_T4_T3_P12ihipStream_tbEUlT_E_NS1_11comp_targetILNS1_3genE4ELNS1_11target_archE910ELNS1_3gpuE8ELNS1_3repE0EEENS1_30default_config_static_selectorELNS0_4arch9wavefront6targetE1EEEvSR_.numbered_sgpr, 0
	.set _ZN7rocprim17ROCPRIM_400000_NS6detail17trampoline_kernelINS0_14default_configENS1_32segmented_reduce_config_selectorIN3c104HalfEEEZNS1_21segmented_reduce_implIS3_PKS6_PS6_PKiS6_N6hipcub16HIPCUB_304000_NS6detail27convert_result_type_wrapperISA_SB_N2at6native12_GLOBAL__N_19CustomMaxEEEEE10hipError_tPvRmT0_T1_jT2_SS_T4_T3_P12ihipStream_tbEUlT_E_NS1_11comp_targetILNS1_3genE4ELNS1_11target_archE910ELNS1_3gpuE8ELNS1_3repE0EEENS1_30default_config_static_selectorELNS0_4arch9wavefront6targetE1EEEvSR_.num_named_barrier, 0
	.set _ZN7rocprim17ROCPRIM_400000_NS6detail17trampoline_kernelINS0_14default_configENS1_32segmented_reduce_config_selectorIN3c104HalfEEEZNS1_21segmented_reduce_implIS3_PKS6_PS6_PKiS6_N6hipcub16HIPCUB_304000_NS6detail27convert_result_type_wrapperISA_SB_N2at6native12_GLOBAL__N_19CustomMaxEEEEE10hipError_tPvRmT0_T1_jT2_SS_T4_T3_P12ihipStream_tbEUlT_E_NS1_11comp_targetILNS1_3genE4ELNS1_11target_archE910ELNS1_3gpuE8ELNS1_3repE0EEENS1_30default_config_static_selectorELNS0_4arch9wavefront6targetE1EEEvSR_.private_seg_size, 0
	.set _ZN7rocprim17ROCPRIM_400000_NS6detail17trampoline_kernelINS0_14default_configENS1_32segmented_reduce_config_selectorIN3c104HalfEEEZNS1_21segmented_reduce_implIS3_PKS6_PS6_PKiS6_N6hipcub16HIPCUB_304000_NS6detail27convert_result_type_wrapperISA_SB_N2at6native12_GLOBAL__N_19CustomMaxEEEEE10hipError_tPvRmT0_T1_jT2_SS_T4_T3_P12ihipStream_tbEUlT_E_NS1_11comp_targetILNS1_3genE4ELNS1_11target_archE910ELNS1_3gpuE8ELNS1_3repE0EEENS1_30default_config_static_selectorELNS0_4arch9wavefront6targetE1EEEvSR_.uses_vcc, 0
	.set _ZN7rocprim17ROCPRIM_400000_NS6detail17trampoline_kernelINS0_14default_configENS1_32segmented_reduce_config_selectorIN3c104HalfEEEZNS1_21segmented_reduce_implIS3_PKS6_PS6_PKiS6_N6hipcub16HIPCUB_304000_NS6detail27convert_result_type_wrapperISA_SB_N2at6native12_GLOBAL__N_19CustomMaxEEEEE10hipError_tPvRmT0_T1_jT2_SS_T4_T3_P12ihipStream_tbEUlT_E_NS1_11comp_targetILNS1_3genE4ELNS1_11target_archE910ELNS1_3gpuE8ELNS1_3repE0EEENS1_30default_config_static_selectorELNS0_4arch9wavefront6targetE1EEEvSR_.uses_flat_scratch, 0
	.set _ZN7rocprim17ROCPRIM_400000_NS6detail17trampoline_kernelINS0_14default_configENS1_32segmented_reduce_config_selectorIN3c104HalfEEEZNS1_21segmented_reduce_implIS3_PKS6_PS6_PKiS6_N6hipcub16HIPCUB_304000_NS6detail27convert_result_type_wrapperISA_SB_N2at6native12_GLOBAL__N_19CustomMaxEEEEE10hipError_tPvRmT0_T1_jT2_SS_T4_T3_P12ihipStream_tbEUlT_E_NS1_11comp_targetILNS1_3genE4ELNS1_11target_archE910ELNS1_3gpuE8ELNS1_3repE0EEENS1_30default_config_static_selectorELNS0_4arch9wavefront6targetE1EEEvSR_.has_dyn_sized_stack, 0
	.set _ZN7rocprim17ROCPRIM_400000_NS6detail17trampoline_kernelINS0_14default_configENS1_32segmented_reduce_config_selectorIN3c104HalfEEEZNS1_21segmented_reduce_implIS3_PKS6_PS6_PKiS6_N6hipcub16HIPCUB_304000_NS6detail27convert_result_type_wrapperISA_SB_N2at6native12_GLOBAL__N_19CustomMaxEEEEE10hipError_tPvRmT0_T1_jT2_SS_T4_T3_P12ihipStream_tbEUlT_E_NS1_11comp_targetILNS1_3genE4ELNS1_11target_archE910ELNS1_3gpuE8ELNS1_3repE0EEENS1_30default_config_static_selectorELNS0_4arch9wavefront6targetE1EEEvSR_.has_recursion, 0
	.set _ZN7rocprim17ROCPRIM_400000_NS6detail17trampoline_kernelINS0_14default_configENS1_32segmented_reduce_config_selectorIN3c104HalfEEEZNS1_21segmented_reduce_implIS3_PKS6_PS6_PKiS6_N6hipcub16HIPCUB_304000_NS6detail27convert_result_type_wrapperISA_SB_N2at6native12_GLOBAL__N_19CustomMaxEEEEE10hipError_tPvRmT0_T1_jT2_SS_T4_T3_P12ihipStream_tbEUlT_E_NS1_11comp_targetILNS1_3genE4ELNS1_11target_archE910ELNS1_3gpuE8ELNS1_3repE0EEENS1_30default_config_static_selectorELNS0_4arch9wavefront6targetE1EEEvSR_.has_indirect_call, 0
	.section	.AMDGPU.csdata,"",@progbits
; Kernel info:
; codeLenInByte = 0
; TotalNumSgprs: 4
; NumVgprs: 0
; ScratchSize: 0
; MemoryBound: 0
; FloatMode: 240
; IeeeMode: 1
; LDSByteSize: 0 bytes/workgroup (compile time only)
; SGPRBlocks: 0
; VGPRBlocks: 0
; NumSGPRsForWavesPerEU: 4
; NumVGPRsForWavesPerEU: 1
; Occupancy: 10
; WaveLimiterHint : 0
; COMPUTE_PGM_RSRC2:SCRATCH_EN: 0
; COMPUTE_PGM_RSRC2:USER_SGPR: 6
; COMPUTE_PGM_RSRC2:TRAP_HANDLER: 0
; COMPUTE_PGM_RSRC2:TGID_X_EN: 1
; COMPUTE_PGM_RSRC2:TGID_Y_EN: 0
; COMPUTE_PGM_RSRC2:TGID_Z_EN: 0
; COMPUTE_PGM_RSRC2:TIDIG_COMP_CNT: 0
	.section	.text._ZN7rocprim17ROCPRIM_400000_NS6detail17trampoline_kernelINS0_14default_configENS1_32segmented_reduce_config_selectorIN3c104HalfEEEZNS1_21segmented_reduce_implIS3_PKS6_PS6_PKiS6_N6hipcub16HIPCUB_304000_NS6detail27convert_result_type_wrapperISA_SB_N2at6native12_GLOBAL__N_19CustomMaxEEEEE10hipError_tPvRmT0_T1_jT2_SS_T4_T3_P12ihipStream_tbEUlT_E_NS1_11comp_targetILNS1_3genE3ELNS1_11target_archE908ELNS1_3gpuE7ELNS1_3repE0EEENS1_30default_config_static_selectorELNS0_4arch9wavefront6targetE1EEEvSR_,"axG",@progbits,_ZN7rocprim17ROCPRIM_400000_NS6detail17trampoline_kernelINS0_14default_configENS1_32segmented_reduce_config_selectorIN3c104HalfEEEZNS1_21segmented_reduce_implIS3_PKS6_PS6_PKiS6_N6hipcub16HIPCUB_304000_NS6detail27convert_result_type_wrapperISA_SB_N2at6native12_GLOBAL__N_19CustomMaxEEEEE10hipError_tPvRmT0_T1_jT2_SS_T4_T3_P12ihipStream_tbEUlT_E_NS1_11comp_targetILNS1_3genE3ELNS1_11target_archE908ELNS1_3gpuE7ELNS1_3repE0EEENS1_30default_config_static_selectorELNS0_4arch9wavefront6targetE1EEEvSR_,comdat
	.globl	_ZN7rocprim17ROCPRIM_400000_NS6detail17trampoline_kernelINS0_14default_configENS1_32segmented_reduce_config_selectorIN3c104HalfEEEZNS1_21segmented_reduce_implIS3_PKS6_PS6_PKiS6_N6hipcub16HIPCUB_304000_NS6detail27convert_result_type_wrapperISA_SB_N2at6native12_GLOBAL__N_19CustomMaxEEEEE10hipError_tPvRmT0_T1_jT2_SS_T4_T3_P12ihipStream_tbEUlT_E_NS1_11comp_targetILNS1_3genE3ELNS1_11target_archE908ELNS1_3gpuE7ELNS1_3repE0EEENS1_30default_config_static_selectorELNS0_4arch9wavefront6targetE1EEEvSR_ ; -- Begin function _ZN7rocprim17ROCPRIM_400000_NS6detail17trampoline_kernelINS0_14default_configENS1_32segmented_reduce_config_selectorIN3c104HalfEEEZNS1_21segmented_reduce_implIS3_PKS6_PS6_PKiS6_N6hipcub16HIPCUB_304000_NS6detail27convert_result_type_wrapperISA_SB_N2at6native12_GLOBAL__N_19CustomMaxEEEEE10hipError_tPvRmT0_T1_jT2_SS_T4_T3_P12ihipStream_tbEUlT_E_NS1_11comp_targetILNS1_3genE3ELNS1_11target_archE908ELNS1_3gpuE7ELNS1_3repE0EEENS1_30default_config_static_selectorELNS0_4arch9wavefront6targetE1EEEvSR_
	.p2align	8
	.type	_ZN7rocprim17ROCPRIM_400000_NS6detail17trampoline_kernelINS0_14default_configENS1_32segmented_reduce_config_selectorIN3c104HalfEEEZNS1_21segmented_reduce_implIS3_PKS6_PS6_PKiS6_N6hipcub16HIPCUB_304000_NS6detail27convert_result_type_wrapperISA_SB_N2at6native12_GLOBAL__N_19CustomMaxEEEEE10hipError_tPvRmT0_T1_jT2_SS_T4_T3_P12ihipStream_tbEUlT_E_NS1_11comp_targetILNS1_3genE3ELNS1_11target_archE908ELNS1_3gpuE7ELNS1_3repE0EEENS1_30default_config_static_selectorELNS0_4arch9wavefront6targetE1EEEvSR_,@function
_ZN7rocprim17ROCPRIM_400000_NS6detail17trampoline_kernelINS0_14default_configENS1_32segmented_reduce_config_selectorIN3c104HalfEEEZNS1_21segmented_reduce_implIS3_PKS6_PS6_PKiS6_N6hipcub16HIPCUB_304000_NS6detail27convert_result_type_wrapperISA_SB_N2at6native12_GLOBAL__N_19CustomMaxEEEEE10hipError_tPvRmT0_T1_jT2_SS_T4_T3_P12ihipStream_tbEUlT_E_NS1_11comp_targetILNS1_3genE3ELNS1_11target_archE908ELNS1_3gpuE7ELNS1_3repE0EEENS1_30default_config_static_selectorELNS0_4arch9wavefront6targetE1EEEvSR_: ; @_ZN7rocprim17ROCPRIM_400000_NS6detail17trampoline_kernelINS0_14default_configENS1_32segmented_reduce_config_selectorIN3c104HalfEEEZNS1_21segmented_reduce_implIS3_PKS6_PS6_PKiS6_N6hipcub16HIPCUB_304000_NS6detail27convert_result_type_wrapperISA_SB_N2at6native12_GLOBAL__N_19CustomMaxEEEEE10hipError_tPvRmT0_T1_jT2_SS_T4_T3_P12ihipStream_tbEUlT_E_NS1_11comp_targetILNS1_3genE3ELNS1_11target_archE908ELNS1_3gpuE7ELNS1_3repE0EEENS1_30default_config_static_selectorELNS0_4arch9wavefront6targetE1EEEvSR_
; %bb.0:
	.section	.rodata,"a",@progbits
	.p2align	6, 0x0
	.amdhsa_kernel _ZN7rocprim17ROCPRIM_400000_NS6detail17trampoline_kernelINS0_14default_configENS1_32segmented_reduce_config_selectorIN3c104HalfEEEZNS1_21segmented_reduce_implIS3_PKS6_PS6_PKiS6_N6hipcub16HIPCUB_304000_NS6detail27convert_result_type_wrapperISA_SB_N2at6native12_GLOBAL__N_19CustomMaxEEEEE10hipError_tPvRmT0_T1_jT2_SS_T4_T3_P12ihipStream_tbEUlT_E_NS1_11comp_targetILNS1_3genE3ELNS1_11target_archE908ELNS1_3gpuE7ELNS1_3repE0EEENS1_30default_config_static_selectorELNS0_4arch9wavefront6targetE1EEEvSR_
		.amdhsa_group_segment_fixed_size 0
		.amdhsa_private_segment_fixed_size 0
		.amdhsa_kernarg_size 48
		.amdhsa_user_sgpr_count 6
		.amdhsa_user_sgpr_private_segment_buffer 1
		.amdhsa_user_sgpr_dispatch_ptr 0
		.amdhsa_user_sgpr_queue_ptr 0
		.amdhsa_user_sgpr_kernarg_segment_ptr 1
		.amdhsa_user_sgpr_dispatch_id 0
		.amdhsa_user_sgpr_flat_scratch_init 0
		.amdhsa_user_sgpr_private_segment_size 0
		.amdhsa_uses_dynamic_stack 0
		.amdhsa_system_sgpr_private_segment_wavefront_offset 0
		.amdhsa_system_sgpr_workgroup_id_x 1
		.amdhsa_system_sgpr_workgroup_id_y 0
		.amdhsa_system_sgpr_workgroup_id_z 0
		.amdhsa_system_sgpr_workgroup_info 0
		.amdhsa_system_vgpr_workitem_id 0
		.amdhsa_next_free_vgpr 1
		.amdhsa_next_free_sgpr 0
		.amdhsa_reserve_vcc 0
		.amdhsa_reserve_flat_scratch 0
		.amdhsa_float_round_mode_32 0
		.amdhsa_float_round_mode_16_64 0
		.amdhsa_float_denorm_mode_32 3
		.amdhsa_float_denorm_mode_16_64 3
		.amdhsa_dx10_clamp 1
		.amdhsa_ieee_mode 1
		.amdhsa_fp16_overflow 0
		.amdhsa_exception_fp_ieee_invalid_op 0
		.amdhsa_exception_fp_denorm_src 0
		.amdhsa_exception_fp_ieee_div_zero 0
		.amdhsa_exception_fp_ieee_overflow 0
		.amdhsa_exception_fp_ieee_underflow 0
		.amdhsa_exception_fp_ieee_inexact 0
		.amdhsa_exception_int_div_zero 0
	.end_amdhsa_kernel
	.section	.text._ZN7rocprim17ROCPRIM_400000_NS6detail17trampoline_kernelINS0_14default_configENS1_32segmented_reduce_config_selectorIN3c104HalfEEEZNS1_21segmented_reduce_implIS3_PKS6_PS6_PKiS6_N6hipcub16HIPCUB_304000_NS6detail27convert_result_type_wrapperISA_SB_N2at6native12_GLOBAL__N_19CustomMaxEEEEE10hipError_tPvRmT0_T1_jT2_SS_T4_T3_P12ihipStream_tbEUlT_E_NS1_11comp_targetILNS1_3genE3ELNS1_11target_archE908ELNS1_3gpuE7ELNS1_3repE0EEENS1_30default_config_static_selectorELNS0_4arch9wavefront6targetE1EEEvSR_,"axG",@progbits,_ZN7rocprim17ROCPRIM_400000_NS6detail17trampoline_kernelINS0_14default_configENS1_32segmented_reduce_config_selectorIN3c104HalfEEEZNS1_21segmented_reduce_implIS3_PKS6_PS6_PKiS6_N6hipcub16HIPCUB_304000_NS6detail27convert_result_type_wrapperISA_SB_N2at6native12_GLOBAL__N_19CustomMaxEEEEE10hipError_tPvRmT0_T1_jT2_SS_T4_T3_P12ihipStream_tbEUlT_E_NS1_11comp_targetILNS1_3genE3ELNS1_11target_archE908ELNS1_3gpuE7ELNS1_3repE0EEENS1_30default_config_static_selectorELNS0_4arch9wavefront6targetE1EEEvSR_,comdat
.Lfunc_end81:
	.size	_ZN7rocprim17ROCPRIM_400000_NS6detail17trampoline_kernelINS0_14default_configENS1_32segmented_reduce_config_selectorIN3c104HalfEEEZNS1_21segmented_reduce_implIS3_PKS6_PS6_PKiS6_N6hipcub16HIPCUB_304000_NS6detail27convert_result_type_wrapperISA_SB_N2at6native12_GLOBAL__N_19CustomMaxEEEEE10hipError_tPvRmT0_T1_jT2_SS_T4_T3_P12ihipStream_tbEUlT_E_NS1_11comp_targetILNS1_3genE3ELNS1_11target_archE908ELNS1_3gpuE7ELNS1_3repE0EEENS1_30default_config_static_selectorELNS0_4arch9wavefront6targetE1EEEvSR_, .Lfunc_end81-_ZN7rocprim17ROCPRIM_400000_NS6detail17trampoline_kernelINS0_14default_configENS1_32segmented_reduce_config_selectorIN3c104HalfEEEZNS1_21segmented_reduce_implIS3_PKS6_PS6_PKiS6_N6hipcub16HIPCUB_304000_NS6detail27convert_result_type_wrapperISA_SB_N2at6native12_GLOBAL__N_19CustomMaxEEEEE10hipError_tPvRmT0_T1_jT2_SS_T4_T3_P12ihipStream_tbEUlT_E_NS1_11comp_targetILNS1_3genE3ELNS1_11target_archE908ELNS1_3gpuE7ELNS1_3repE0EEENS1_30default_config_static_selectorELNS0_4arch9wavefront6targetE1EEEvSR_
                                        ; -- End function
	.set _ZN7rocprim17ROCPRIM_400000_NS6detail17trampoline_kernelINS0_14default_configENS1_32segmented_reduce_config_selectorIN3c104HalfEEEZNS1_21segmented_reduce_implIS3_PKS6_PS6_PKiS6_N6hipcub16HIPCUB_304000_NS6detail27convert_result_type_wrapperISA_SB_N2at6native12_GLOBAL__N_19CustomMaxEEEEE10hipError_tPvRmT0_T1_jT2_SS_T4_T3_P12ihipStream_tbEUlT_E_NS1_11comp_targetILNS1_3genE3ELNS1_11target_archE908ELNS1_3gpuE7ELNS1_3repE0EEENS1_30default_config_static_selectorELNS0_4arch9wavefront6targetE1EEEvSR_.num_vgpr, 0
	.set _ZN7rocprim17ROCPRIM_400000_NS6detail17trampoline_kernelINS0_14default_configENS1_32segmented_reduce_config_selectorIN3c104HalfEEEZNS1_21segmented_reduce_implIS3_PKS6_PS6_PKiS6_N6hipcub16HIPCUB_304000_NS6detail27convert_result_type_wrapperISA_SB_N2at6native12_GLOBAL__N_19CustomMaxEEEEE10hipError_tPvRmT0_T1_jT2_SS_T4_T3_P12ihipStream_tbEUlT_E_NS1_11comp_targetILNS1_3genE3ELNS1_11target_archE908ELNS1_3gpuE7ELNS1_3repE0EEENS1_30default_config_static_selectorELNS0_4arch9wavefront6targetE1EEEvSR_.num_agpr, 0
	.set _ZN7rocprim17ROCPRIM_400000_NS6detail17trampoline_kernelINS0_14default_configENS1_32segmented_reduce_config_selectorIN3c104HalfEEEZNS1_21segmented_reduce_implIS3_PKS6_PS6_PKiS6_N6hipcub16HIPCUB_304000_NS6detail27convert_result_type_wrapperISA_SB_N2at6native12_GLOBAL__N_19CustomMaxEEEEE10hipError_tPvRmT0_T1_jT2_SS_T4_T3_P12ihipStream_tbEUlT_E_NS1_11comp_targetILNS1_3genE3ELNS1_11target_archE908ELNS1_3gpuE7ELNS1_3repE0EEENS1_30default_config_static_selectorELNS0_4arch9wavefront6targetE1EEEvSR_.numbered_sgpr, 0
	.set _ZN7rocprim17ROCPRIM_400000_NS6detail17trampoline_kernelINS0_14default_configENS1_32segmented_reduce_config_selectorIN3c104HalfEEEZNS1_21segmented_reduce_implIS3_PKS6_PS6_PKiS6_N6hipcub16HIPCUB_304000_NS6detail27convert_result_type_wrapperISA_SB_N2at6native12_GLOBAL__N_19CustomMaxEEEEE10hipError_tPvRmT0_T1_jT2_SS_T4_T3_P12ihipStream_tbEUlT_E_NS1_11comp_targetILNS1_3genE3ELNS1_11target_archE908ELNS1_3gpuE7ELNS1_3repE0EEENS1_30default_config_static_selectorELNS0_4arch9wavefront6targetE1EEEvSR_.num_named_barrier, 0
	.set _ZN7rocprim17ROCPRIM_400000_NS6detail17trampoline_kernelINS0_14default_configENS1_32segmented_reduce_config_selectorIN3c104HalfEEEZNS1_21segmented_reduce_implIS3_PKS6_PS6_PKiS6_N6hipcub16HIPCUB_304000_NS6detail27convert_result_type_wrapperISA_SB_N2at6native12_GLOBAL__N_19CustomMaxEEEEE10hipError_tPvRmT0_T1_jT2_SS_T4_T3_P12ihipStream_tbEUlT_E_NS1_11comp_targetILNS1_3genE3ELNS1_11target_archE908ELNS1_3gpuE7ELNS1_3repE0EEENS1_30default_config_static_selectorELNS0_4arch9wavefront6targetE1EEEvSR_.private_seg_size, 0
	.set _ZN7rocprim17ROCPRIM_400000_NS6detail17trampoline_kernelINS0_14default_configENS1_32segmented_reduce_config_selectorIN3c104HalfEEEZNS1_21segmented_reduce_implIS3_PKS6_PS6_PKiS6_N6hipcub16HIPCUB_304000_NS6detail27convert_result_type_wrapperISA_SB_N2at6native12_GLOBAL__N_19CustomMaxEEEEE10hipError_tPvRmT0_T1_jT2_SS_T4_T3_P12ihipStream_tbEUlT_E_NS1_11comp_targetILNS1_3genE3ELNS1_11target_archE908ELNS1_3gpuE7ELNS1_3repE0EEENS1_30default_config_static_selectorELNS0_4arch9wavefront6targetE1EEEvSR_.uses_vcc, 0
	.set _ZN7rocprim17ROCPRIM_400000_NS6detail17trampoline_kernelINS0_14default_configENS1_32segmented_reduce_config_selectorIN3c104HalfEEEZNS1_21segmented_reduce_implIS3_PKS6_PS6_PKiS6_N6hipcub16HIPCUB_304000_NS6detail27convert_result_type_wrapperISA_SB_N2at6native12_GLOBAL__N_19CustomMaxEEEEE10hipError_tPvRmT0_T1_jT2_SS_T4_T3_P12ihipStream_tbEUlT_E_NS1_11comp_targetILNS1_3genE3ELNS1_11target_archE908ELNS1_3gpuE7ELNS1_3repE0EEENS1_30default_config_static_selectorELNS0_4arch9wavefront6targetE1EEEvSR_.uses_flat_scratch, 0
	.set _ZN7rocprim17ROCPRIM_400000_NS6detail17trampoline_kernelINS0_14default_configENS1_32segmented_reduce_config_selectorIN3c104HalfEEEZNS1_21segmented_reduce_implIS3_PKS6_PS6_PKiS6_N6hipcub16HIPCUB_304000_NS6detail27convert_result_type_wrapperISA_SB_N2at6native12_GLOBAL__N_19CustomMaxEEEEE10hipError_tPvRmT0_T1_jT2_SS_T4_T3_P12ihipStream_tbEUlT_E_NS1_11comp_targetILNS1_3genE3ELNS1_11target_archE908ELNS1_3gpuE7ELNS1_3repE0EEENS1_30default_config_static_selectorELNS0_4arch9wavefront6targetE1EEEvSR_.has_dyn_sized_stack, 0
	.set _ZN7rocprim17ROCPRIM_400000_NS6detail17trampoline_kernelINS0_14default_configENS1_32segmented_reduce_config_selectorIN3c104HalfEEEZNS1_21segmented_reduce_implIS3_PKS6_PS6_PKiS6_N6hipcub16HIPCUB_304000_NS6detail27convert_result_type_wrapperISA_SB_N2at6native12_GLOBAL__N_19CustomMaxEEEEE10hipError_tPvRmT0_T1_jT2_SS_T4_T3_P12ihipStream_tbEUlT_E_NS1_11comp_targetILNS1_3genE3ELNS1_11target_archE908ELNS1_3gpuE7ELNS1_3repE0EEENS1_30default_config_static_selectorELNS0_4arch9wavefront6targetE1EEEvSR_.has_recursion, 0
	.set _ZN7rocprim17ROCPRIM_400000_NS6detail17trampoline_kernelINS0_14default_configENS1_32segmented_reduce_config_selectorIN3c104HalfEEEZNS1_21segmented_reduce_implIS3_PKS6_PS6_PKiS6_N6hipcub16HIPCUB_304000_NS6detail27convert_result_type_wrapperISA_SB_N2at6native12_GLOBAL__N_19CustomMaxEEEEE10hipError_tPvRmT0_T1_jT2_SS_T4_T3_P12ihipStream_tbEUlT_E_NS1_11comp_targetILNS1_3genE3ELNS1_11target_archE908ELNS1_3gpuE7ELNS1_3repE0EEENS1_30default_config_static_selectorELNS0_4arch9wavefront6targetE1EEEvSR_.has_indirect_call, 0
	.section	.AMDGPU.csdata,"",@progbits
; Kernel info:
; codeLenInByte = 0
; TotalNumSgprs: 4
; NumVgprs: 0
; ScratchSize: 0
; MemoryBound: 0
; FloatMode: 240
; IeeeMode: 1
; LDSByteSize: 0 bytes/workgroup (compile time only)
; SGPRBlocks: 0
; VGPRBlocks: 0
; NumSGPRsForWavesPerEU: 4
; NumVGPRsForWavesPerEU: 1
; Occupancy: 10
; WaveLimiterHint : 0
; COMPUTE_PGM_RSRC2:SCRATCH_EN: 0
; COMPUTE_PGM_RSRC2:USER_SGPR: 6
; COMPUTE_PGM_RSRC2:TRAP_HANDLER: 0
; COMPUTE_PGM_RSRC2:TGID_X_EN: 1
; COMPUTE_PGM_RSRC2:TGID_Y_EN: 0
; COMPUTE_PGM_RSRC2:TGID_Z_EN: 0
; COMPUTE_PGM_RSRC2:TIDIG_COMP_CNT: 0
	.section	.text._ZN7rocprim17ROCPRIM_400000_NS6detail17trampoline_kernelINS0_14default_configENS1_32segmented_reduce_config_selectorIN3c104HalfEEEZNS1_21segmented_reduce_implIS3_PKS6_PS6_PKiS6_N6hipcub16HIPCUB_304000_NS6detail27convert_result_type_wrapperISA_SB_N2at6native12_GLOBAL__N_19CustomMaxEEEEE10hipError_tPvRmT0_T1_jT2_SS_T4_T3_P12ihipStream_tbEUlT_E_NS1_11comp_targetILNS1_3genE2ELNS1_11target_archE906ELNS1_3gpuE6ELNS1_3repE0EEENS1_30default_config_static_selectorELNS0_4arch9wavefront6targetE1EEEvSR_,"axG",@progbits,_ZN7rocprim17ROCPRIM_400000_NS6detail17trampoline_kernelINS0_14default_configENS1_32segmented_reduce_config_selectorIN3c104HalfEEEZNS1_21segmented_reduce_implIS3_PKS6_PS6_PKiS6_N6hipcub16HIPCUB_304000_NS6detail27convert_result_type_wrapperISA_SB_N2at6native12_GLOBAL__N_19CustomMaxEEEEE10hipError_tPvRmT0_T1_jT2_SS_T4_T3_P12ihipStream_tbEUlT_E_NS1_11comp_targetILNS1_3genE2ELNS1_11target_archE906ELNS1_3gpuE6ELNS1_3repE0EEENS1_30default_config_static_selectorELNS0_4arch9wavefront6targetE1EEEvSR_,comdat
	.globl	_ZN7rocprim17ROCPRIM_400000_NS6detail17trampoline_kernelINS0_14default_configENS1_32segmented_reduce_config_selectorIN3c104HalfEEEZNS1_21segmented_reduce_implIS3_PKS6_PS6_PKiS6_N6hipcub16HIPCUB_304000_NS6detail27convert_result_type_wrapperISA_SB_N2at6native12_GLOBAL__N_19CustomMaxEEEEE10hipError_tPvRmT0_T1_jT2_SS_T4_T3_P12ihipStream_tbEUlT_E_NS1_11comp_targetILNS1_3genE2ELNS1_11target_archE906ELNS1_3gpuE6ELNS1_3repE0EEENS1_30default_config_static_selectorELNS0_4arch9wavefront6targetE1EEEvSR_ ; -- Begin function _ZN7rocprim17ROCPRIM_400000_NS6detail17trampoline_kernelINS0_14default_configENS1_32segmented_reduce_config_selectorIN3c104HalfEEEZNS1_21segmented_reduce_implIS3_PKS6_PS6_PKiS6_N6hipcub16HIPCUB_304000_NS6detail27convert_result_type_wrapperISA_SB_N2at6native12_GLOBAL__N_19CustomMaxEEEEE10hipError_tPvRmT0_T1_jT2_SS_T4_T3_P12ihipStream_tbEUlT_E_NS1_11comp_targetILNS1_3genE2ELNS1_11target_archE906ELNS1_3gpuE6ELNS1_3repE0EEENS1_30default_config_static_selectorELNS0_4arch9wavefront6targetE1EEEvSR_
	.p2align	8
	.type	_ZN7rocprim17ROCPRIM_400000_NS6detail17trampoline_kernelINS0_14default_configENS1_32segmented_reduce_config_selectorIN3c104HalfEEEZNS1_21segmented_reduce_implIS3_PKS6_PS6_PKiS6_N6hipcub16HIPCUB_304000_NS6detail27convert_result_type_wrapperISA_SB_N2at6native12_GLOBAL__N_19CustomMaxEEEEE10hipError_tPvRmT0_T1_jT2_SS_T4_T3_P12ihipStream_tbEUlT_E_NS1_11comp_targetILNS1_3genE2ELNS1_11target_archE906ELNS1_3gpuE6ELNS1_3repE0EEENS1_30default_config_static_selectorELNS0_4arch9wavefront6targetE1EEEvSR_,@function
_ZN7rocprim17ROCPRIM_400000_NS6detail17trampoline_kernelINS0_14default_configENS1_32segmented_reduce_config_selectorIN3c104HalfEEEZNS1_21segmented_reduce_implIS3_PKS6_PS6_PKiS6_N6hipcub16HIPCUB_304000_NS6detail27convert_result_type_wrapperISA_SB_N2at6native12_GLOBAL__N_19CustomMaxEEEEE10hipError_tPvRmT0_T1_jT2_SS_T4_T3_P12ihipStream_tbEUlT_E_NS1_11comp_targetILNS1_3genE2ELNS1_11target_archE906ELNS1_3gpuE6ELNS1_3repE0EEENS1_30default_config_static_selectorELNS0_4arch9wavefront6targetE1EEEvSR_: ; @_ZN7rocprim17ROCPRIM_400000_NS6detail17trampoline_kernelINS0_14default_configENS1_32segmented_reduce_config_selectorIN3c104HalfEEEZNS1_21segmented_reduce_implIS3_PKS6_PS6_PKiS6_N6hipcub16HIPCUB_304000_NS6detail27convert_result_type_wrapperISA_SB_N2at6native12_GLOBAL__N_19CustomMaxEEEEE10hipError_tPvRmT0_T1_jT2_SS_T4_T3_P12ihipStream_tbEUlT_E_NS1_11comp_targetILNS1_3genE2ELNS1_11target_archE906ELNS1_3gpuE6ELNS1_3repE0EEENS1_30default_config_static_selectorELNS0_4arch9wavefront6targetE1EEEvSR_
; %bb.0:
	s_load_dword s2, s[4:5], 0x28
	s_load_dwordx8 s[36:43], s[4:5], 0x0
	s_load_dwordx2 s[0:1], s[4:5], 0x20
	s_mov_b32 s7, 0
	v_cmp_eq_u32_e32 vcc, 0, v0
	s_waitcnt lgkmcnt(0)
	s_lshr_b32 s33, s2, 16
	s_lshl_b64 s[2:3], s[40:41], 2
	s_add_u32 s4, s42, s2
	s_addc_u32 s5, s43, s3
	s_add_u32 s8, s0, s2
	s_addc_u32 s9, s1, s3
	s_lshl_b64 s[0:1], s[6:7], 2
	s_add_u32 s2, s4, s0
	s_addc_u32 s3, s5, s1
	s_add_u32 s0, s8, s0
	s_addc_u32 s1, s9, s1
	s_load_dword s42, s[2:3], 0x0
	s_load_dword s50, s[0:1], 0x0
	s_waitcnt lgkmcnt(0)
	s_cmp_gt_i32 s50, s42
	s_cbranch_scc1 .LBB82_3
; %bb.1:
	s_and_b64 s[34:35], vcc, exec
	s_cbranch_execz .LBB82_4
; %bb.2:
	v_mov_b32_e32 v1, s33
	s_and_saveexec_b64 s[0:1], s[34:35]
	s_cbranch_execnz .LBB82_409
	s_branch .LBB82_410
.LBB82_3:
	s_mov_b64 s[34:35], 0
.LBB82_4:
	s_add_i32 s0, s42, 0x1000
	s_cmp_le_i32 s0, s50
	s_cbranch_scc0 .LBB82_88
; %bb.5:
	s_ashr_i32 s43, s42, 31
	s_lshl_b64 s[2:3], s[42:43], 1
	s_add_u32 s2, s36, s2
	s_addc_u32 s3, s37, s3
	v_lshlrev_b32_e32 v18, 1, v0
	v_mov_b32_e32 v1, s3
	v_add_co_u32_e32 v2, vcc, s2, v18
	v_addc_co_u32_e32 v1, vcc, 0, v1, vcc
	v_add_co_u32_e32 v19, vcc, 0x1000, v2
	v_addc_co_u32_e32 v20, vcc, 0, v1, vcc
	global_load_ushort v17, v18, s[2:3]
	global_load_ushort v16, v18, s[2:3] offset:512
	global_load_ushort v15, v18, s[2:3] offset:1024
	;; [unrolled: 1-line block ×7, first 2 shown]
	global_load_ushort v8, v[19:20], off
	global_load_ushort v7, v[19:20], off offset:512
	global_load_ushort v6, v[19:20], off offset:1024
	;; [unrolled: 1-line block ×7, first 2 shown]
	s_waitcnt vmcnt(15)
	v_cmp_o_f16_e32 vcc, v17, v17
	v_mov_b32_e32 v9, v17
	s_and_saveexec_b64 s[2:3], vcc
	s_cbranch_execnz .LBB82_89
; %bb.6:
	s_or_b64 exec, exec, s[2:3]
	v_cmp_o_f16_e32 vcc, v9, v9
	s_and_saveexec_b64 s[2:3], vcc
	s_cbranch_execnz .LBB82_92
.LBB82_7:
	s_or_b64 exec, exec, s[2:3]
	v_cmp_o_f16_e32 vcc, v9, v9
	s_and_saveexec_b64 s[2:3], vcc
	s_cbranch_execnz .LBB82_95
.LBB82_8:
	s_or_b64 exec, exec, s[2:3]
	v_cmp_o_f16_e32 vcc, v9, v9
	s_and_saveexec_b64 s[2:3], vcc
	s_cbranch_execnz .LBB82_98
.LBB82_9:
	s_or_b64 exec, exec, s[2:3]
	v_cmp_o_f16_e32 vcc, v9, v9
	s_and_saveexec_b64 s[2:3], vcc
	s_cbranch_execnz .LBB82_101
.LBB82_10:
	s_or_b64 exec, exec, s[2:3]
	v_cmp_o_f16_e32 vcc, v9, v9
	s_and_saveexec_b64 s[2:3], vcc
	s_cbranch_execnz .LBB82_104
.LBB82_11:
	s_or_b64 exec, exec, s[2:3]
	v_cmp_o_f16_e32 vcc, v9, v9
	s_and_saveexec_b64 s[2:3], vcc
	s_cbranch_execnz .LBB82_107
.LBB82_12:
	s_or_b64 exec, exec, s[2:3]
	v_cmp_o_f16_e32 vcc, v9, v9
	s_and_saveexec_b64 s[2:3], vcc
	s_cbranch_execnz .LBB82_110
.LBB82_13:
	s_or_b64 exec, exec, s[2:3]
	v_cmp_o_f16_e32 vcc, v9, v9
	s_and_saveexec_b64 s[2:3], vcc
	s_cbranch_execnz .LBB82_113
.LBB82_14:
	s_or_b64 exec, exec, s[2:3]
	v_cmp_o_f16_e32 vcc, v9, v9
	s_and_saveexec_b64 s[2:3], vcc
	s_cbranch_execnz .LBB82_116
.LBB82_15:
	s_or_b64 exec, exec, s[2:3]
	v_cmp_o_f16_e32 vcc, v9, v9
	s_and_saveexec_b64 s[2:3], vcc
	s_cbranch_execnz .LBB82_119
.LBB82_16:
	s_or_b64 exec, exec, s[2:3]
	v_cmp_o_f16_e32 vcc, v9, v9
	s_and_saveexec_b64 s[2:3], vcc
	s_cbranch_execnz .LBB82_122
.LBB82_17:
	s_or_b64 exec, exec, s[2:3]
	v_cmp_o_f16_e32 vcc, v9, v9
	s_and_saveexec_b64 s[2:3], vcc
	s_cbranch_execnz .LBB82_125
.LBB82_18:
	s_or_b64 exec, exec, s[2:3]
	v_cmp_o_f16_e32 vcc, v9, v9
	s_and_saveexec_b64 s[2:3], vcc
	s_cbranch_execnz .LBB82_128
.LBB82_19:
	s_or_b64 exec, exec, s[2:3]
	v_cmp_o_f16_e32 vcc, v9, v9
	s_and_saveexec_b64 s[2:3], vcc
	s_cbranch_execnz .LBB82_131
.LBB82_20:
	s_or_b64 exec, exec, s[2:3]
	s_add_i32 s1, s42, 0x2000
	s_cmp_ge_i32 s1, s50
	s_cbranch_scc1 .LBB82_134
.LBB82_21:
	s_waitcnt vmcnt(0)
	v_mov_b32_e32 v1, s37
	v_add_co_u32_e32 v19, vcc, s36, v18
	v_addc_co_u32_e32 v20, vcc, 0, v1, vcc
.LBB82_22:                              ; =>This Inner Loop Header: Depth=1
	s_ashr_i32 s1, s0, 31
	s_lshl_b64 s[2:3], s[0:1], 1
	s_waitcnt vmcnt(1)
	v_mov_b32_e32 v2, s3
	s_waitcnt vmcnt(0)
	v_add_co_u32_e32 v1, vcc, s2, v19
	v_addc_co_u32_e32 v2, vcc, v20, v2, vcc
	v_add_co_u32_e32 v21, vcc, 0x1000, v1
	v_addc_co_u32_e32 v22, vcc, 0, v2, vcc
	global_load_ushort v17, v[1:2], off
	global_load_ushort v16, v[1:2], off offset:512
	global_load_ushort v15, v[1:2], off offset:1024
	global_load_ushort v14, v[1:2], off offset:1536
	global_load_ushort v13, v[1:2], off offset:2048
	global_load_ushort v12, v[1:2], off offset:2560
	global_load_ushort v11, v[1:2], off offset:3072
	global_load_ushort v10, v[1:2], off offset:3584
	global_load_ushort v8, v[21:22], off
	global_load_ushort v7, v[21:22], off offset:512
	global_load_ushort v6, v[21:22], off offset:1024
	;; [unrolled: 1-line block ×7, first 2 shown]
	v_cmp_o_f16_e32 vcc, v9, v9
	v_mov_b32_e32 v21, v9
	s_and_saveexec_b64 s[2:3], vcc
	s_cbranch_execnz .LBB82_38
; %bb.23:                               ;   in Loop: Header=BB82_22 Depth=1
	s_or_b64 exec, exec, s[2:3]
	v_cmp_o_f16_e32 vcc, v21, v21
	s_and_saveexec_b64 s[2:3], vcc
	s_cbranch_execnz .LBB82_41
.LBB82_24:                              ;   in Loop: Header=BB82_22 Depth=1
	s_or_b64 exec, exec, s[2:3]
	v_cmp_o_f16_e32 vcc, v21, v21
	s_and_saveexec_b64 s[2:3], vcc
	s_cbranch_execnz .LBB82_44
.LBB82_25:                              ;   in Loop: Header=BB82_22 Depth=1
	s_or_b64 exec, exec, s[2:3]
	v_cmp_o_f16_e32 vcc, v21, v21
	s_and_saveexec_b64 s[2:3], vcc
	s_cbranch_execnz .LBB82_47
.LBB82_26:                              ;   in Loop: Header=BB82_22 Depth=1
	s_or_b64 exec, exec, s[2:3]
	v_cmp_o_f16_e32 vcc, v21, v21
	s_and_saveexec_b64 s[2:3], vcc
	s_cbranch_execnz .LBB82_50
.LBB82_27:                              ;   in Loop: Header=BB82_22 Depth=1
	s_or_b64 exec, exec, s[2:3]
	v_cmp_o_f16_e32 vcc, v21, v21
	s_and_saveexec_b64 s[2:3], vcc
	s_cbranch_execnz .LBB82_53
.LBB82_28:                              ;   in Loop: Header=BB82_22 Depth=1
	s_or_b64 exec, exec, s[2:3]
	v_cmp_o_f16_e32 vcc, v21, v21
	s_and_saveexec_b64 s[2:3], vcc
	s_cbranch_execnz .LBB82_56
.LBB82_29:                              ;   in Loop: Header=BB82_22 Depth=1
	s_or_b64 exec, exec, s[2:3]
	v_cmp_o_f16_e32 vcc, v21, v21
	s_and_saveexec_b64 s[2:3], vcc
	s_cbranch_execnz .LBB82_59
.LBB82_30:                              ;   in Loop: Header=BB82_22 Depth=1
	s_or_b64 exec, exec, s[2:3]
	v_cmp_o_f16_e32 vcc, v21, v21
	s_and_saveexec_b64 s[2:3], vcc
	s_cbranch_execnz .LBB82_62
.LBB82_31:                              ;   in Loop: Header=BB82_22 Depth=1
	s_or_b64 exec, exec, s[2:3]
	v_cmp_o_f16_e32 vcc, v21, v21
	s_and_saveexec_b64 s[2:3], vcc
	s_cbranch_execnz .LBB82_65
.LBB82_32:                              ;   in Loop: Header=BB82_22 Depth=1
	s_or_b64 exec, exec, s[2:3]
	v_cmp_o_f16_e32 vcc, v21, v21
	s_and_saveexec_b64 s[2:3], vcc
	s_cbranch_execnz .LBB82_68
.LBB82_33:                              ;   in Loop: Header=BB82_22 Depth=1
	s_or_b64 exec, exec, s[2:3]
	v_cmp_o_f16_e32 vcc, v21, v21
	s_and_saveexec_b64 s[2:3], vcc
	s_cbranch_execnz .LBB82_71
.LBB82_34:                              ;   in Loop: Header=BB82_22 Depth=1
	s_or_b64 exec, exec, s[2:3]
	v_cmp_o_f16_e32 vcc, v21, v21
	s_and_saveexec_b64 s[2:3], vcc
	s_cbranch_execnz .LBB82_74
.LBB82_35:                              ;   in Loop: Header=BB82_22 Depth=1
	s_or_b64 exec, exec, s[2:3]
	v_cmp_o_f16_e32 vcc, v21, v21
	s_and_saveexec_b64 s[2:3], vcc
	s_cbranch_execnz .LBB82_77
.LBB82_36:                              ;   in Loop: Header=BB82_22 Depth=1
	s_or_b64 exec, exec, s[2:3]
	v_cmp_o_f16_e32 vcc, v21, v21
	s_and_saveexec_b64 s[2:3], vcc
	s_cbranch_execnz .LBB82_80
.LBB82_37:                              ;   in Loop: Header=BB82_22 Depth=1
	s_or_b64 exec, exec, s[2:3]
	v_cmp_o_f16_e32 vcc, v21, v21
	s_and_saveexec_b64 s[2:3], vcc
	s_cbranch_execnz .LBB82_83
	s_branch .LBB82_86
.LBB82_38:                              ;   in Loop: Header=BB82_22 Depth=1
	s_waitcnt vmcnt(15)
	v_cmp_o_f16_e32 vcc, v17, v17
	v_mov_b32_e32 v21, v17
	s_and_saveexec_b64 s[4:5], vcc
; %bb.39:                               ;   in Loop: Header=BB82_22 Depth=1
	v_cmp_gt_f16_e32 vcc, v17, v9
	v_cndmask_b32_e32 v21, v9, v17, vcc
; %bb.40:                               ;   in Loop: Header=BB82_22 Depth=1
	s_or_b64 exec, exec, s[4:5]
	v_mov_b32_e32 v9, v21
	s_or_b64 exec, exec, s[2:3]
	v_cmp_o_f16_e32 vcc, v21, v21
	s_and_saveexec_b64 s[2:3], vcc
	s_cbranch_execz .LBB82_24
.LBB82_41:                              ;   in Loop: Header=BB82_22 Depth=1
	s_waitcnt vmcnt(14)
	v_cmp_o_f16_e32 vcc, v16, v16
	v_mov_b32_e32 v22, v16
	s_and_saveexec_b64 s[4:5], vcc
; %bb.42:                               ;   in Loop: Header=BB82_22 Depth=1
	v_cmp_lt_f16_e32 vcc, v21, v16
	v_cndmask_b32_e32 v22, v9, v16, vcc
; %bb.43:                               ;   in Loop: Header=BB82_22 Depth=1
	s_or_b64 exec, exec, s[4:5]
	v_mov_b32_e32 v21, v22
	v_mov_b32_e32 v9, v22
	s_or_b64 exec, exec, s[2:3]
	v_cmp_o_f16_e32 vcc, v21, v21
	s_and_saveexec_b64 s[2:3], vcc
	s_cbranch_execz .LBB82_25
.LBB82_44:                              ;   in Loop: Header=BB82_22 Depth=1
	s_waitcnt vmcnt(13)
	v_cmp_o_f16_e32 vcc, v15, v15
	v_mov_b32_e32 v22, v15
	s_and_saveexec_b64 s[4:5], vcc
; %bb.45:                               ;   in Loop: Header=BB82_22 Depth=1
	v_cmp_lt_f16_e32 vcc, v21, v15
	v_cndmask_b32_e32 v22, v9, v15, vcc
; %bb.46:                               ;   in Loop: Header=BB82_22 Depth=1
	s_or_b64 exec, exec, s[4:5]
	v_mov_b32_e32 v21, v22
	v_mov_b32_e32 v9, v22
	s_or_b64 exec, exec, s[2:3]
	v_cmp_o_f16_e32 vcc, v21, v21
	s_and_saveexec_b64 s[2:3], vcc
	s_cbranch_execz .LBB82_26
.LBB82_47:                              ;   in Loop: Header=BB82_22 Depth=1
	s_waitcnt vmcnt(12)
	v_cmp_o_f16_e32 vcc, v14, v14
	v_mov_b32_e32 v22, v14
	s_and_saveexec_b64 s[4:5], vcc
; %bb.48:                               ;   in Loop: Header=BB82_22 Depth=1
	v_cmp_lt_f16_e32 vcc, v21, v14
	v_cndmask_b32_e32 v22, v9, v14, vcc
; %bb.49:                               ;   in Loop: Header=BB82_22 Depth=1
	s_or_b64 exec, exec, s[4:5]
	v_mov_b32_e32 v21, v22
	v_mov_b32_e32 v9, v22
	s_or_b64 exec, exec, s[2:3]
	v_cmp_o_f16_e32 vcc, v21, v21
	s_and_saveexec_b64 s[2:3], vcc
	s_cbranch_execz .LBB82_27
.LBB82_50:                              ;   in Loop: Header=BB82_22 Depth=1
	s_waitcnt vmcnt(11)
	v_cmp_o_f16_e32 vcc, v13, v13
	v_mov_b32_e32 v22, v13
	s_and_saveexec_b64 s[4:5], vcc
; %bb.51:                               ;   in Loop: Header=BB82_22 Depth=1
	v_cmp_lt_f16_e32 vcc, v21, v13
	v_cndmask_b32_e32 v22, v9, v13, vcc
; %bb.52:                               ;   in Loop: Header=BB82_22 Depth=1
	s_or_b64 exec, exec, s[4:5]
	v_mov_b32_e32 v21, v22
	v_mov_b32_e32 v9, v22
	s_or_b64 exec, exec, s[2:3]
	v_cmp_o_f16_e32 vcc, v21, v21
	s_and_saveexec_b64 s[2:3], vcc
	s_cbranch_execz .LBB82_28
.LBB82_53:                              ;   in Loop: Header=BB82_22 Depth=1
	s_waitcnt vmcnt(10)
	v_cmp_o_f16_e32 vcc, v12, v12
	v_mov_b32_e32 v22, v12
	s_and_saveexec_b64 s[4:5], vcc
; %bb.54:                               ;   in Loop: Header=BB82_22 Depth=1
	v_cmp_lt_f16_e32 vcc, v21, v12
	v_cndmask_b32_e32 v22, v9, v12, vcc
; %bb.55:                               ;   in Loop: Header=BB82_22 Depth=1
	s_or_b64 exec, exec, s[4:5]
	v_mov_b32_e32 v21, v22
	v_mov_b32_e32 v9, v22
	s_or_b64 exec, exec, s[2:3]
	v_cmp_o_f16_e32 vcc, v21, v21
	s_and_saveexec_b64 s[2:3], vcc
	s_cbranch_execz .LBB82_29
.LBB82_56:                              ;   in Loop: Header=BB82_22 Depth=1
	s_waitcnt vmcnt(9)
	v_cmp_o_f16_e32 vcc, v11, v11
	v_mov_b32_e32 v22, v11
	s_and_saveexec_b64 s[4:5], vcc
; %bb.57:                               ;   in Loop: Header=BB82_22 Depth=1
	v_cmp_lt_f16_e32 vcc, v21, v11
	v_cndmask_b32_e32 v22, v9, v11, vcc
; %bb.58:                               ;   in Loop: Header=BB82_22 Depth=1
	s_or_b64 exec, exec, s[4:5]
	v_mov_b32_e32 v21, v22
	v_mov_b32_e32 v9, v22
	s_or_b64 exec, exec, s[2:3]
	v_cmp_o_f16_e32 vcc, v21, v21
	s_and_saveexec_b64 s[2:3], vcc
	s_cbranch_execz .LBB82_30
.LBB82_59:                              ;   in Loop: Header=BB82_22 Depth=1
	s_waitcnt vmcnt(8)
	v_cmp_o_f16_e32 vcc, v10, v10
	v_mov_b32_e32 v22, v10
	s_and_saveexec_b64 s[4:5], vcc
; %bb.60:                               ;   in Loop: Header=BB82_22 Depth=1
	v_cmp_lt_f16_e32 vcc, v21, v10
	v_cndmask_b32_e32 v22, v9, v10, vcc
; %bb.61:                               ;   in Loop: Header=BB82_22 Depth=1
	s_or_b64 exec, exec, s[4:5]
	v_mov_b32_e32 v21, v22
	v_mov_b32_e32 v9, v22
	s_or_b64 exec, exec, s[2:3]
	v_cmp_o_f16_e32 vcc, v21, v21
	s_and_saveexec_b64 s[2:3], vcc
	s_cbranch_execz .LBB82_31
.LBB82_62:                              ;   in Loop: Header=BB82_22 Depth=1
	s_waitcnt vmcnt(7)
	v_cmp_o_f16_e32 vcc, v8, v8
	v_mov_b32_e32 v22, v8
	s_and_saveexec_b64 s[4:5], vcc
; %bb.63:                               ;   in Loop: Header=BB82_22 Depth=1
	v_cmp_lt_f16_e32 vcc, v21, v8
	v_cndmask_b32_e32 v22, v9, v8, vcc
; %bb.64:                               ;   in Loop: Header=BB82_22 Depth=1
	s_or_b64 exec, exec, s[4:5]
	v_mov_b32_e32 v21, v22
	v_mov_b32_e32 v9, v22
	s_or_b64 exec, exec, s[2:3]
	v_cmp_o_f16_e32 vcc, v21, v21
	s_and_saveexec_b64 s[2:3], vcc
	s_cbranch_execz .LBB82_32
.LBB82_65:                              ;   in Loop: Header=BB82_22 Depth=1
	s_waitcnt vmcnt(6)
	v_cmp_o_f16_e32 vcc, v7, v7
	v_mov_b32_e32 v22, v7
	s_and_saveexec_b64 s[4:5], vcc
; %bb.66:                               ;   in Loop: Header=BB82_22 Depth=1
	v_cmp_lt_f16_e32 vcc, v21, v7
	v_cndmask_b32_e32 v22, v9, v7, vcc
; %bb.67:                               ;   in Loop: Header=BB82_22 Depth=1
	s_or_b64 exec, exec, s[4:5]
	v_mov_b32_e32 v21, v22
	v_mov_b32_e32 v9, v22
	s_or_b64 exec, exec, s[2:3]
	v_cmp_o_f16_e32 vcc, v21, v21
	s_and_saveexec_b64 s[2:3], vcc
	s_cbranch_execz .LBB82_33
.LBB82_68:                              ;   in Loop: Header=BB82_22 Depth=1
	s_waitcnt vmcnt(5)
	v_cmp_o_f16_e32 vcc, v6, v6
	v_mov_b32_e32 v22, v6
	s_and_saveexec_b64 s[4:5], vcc
; %bb.69:                               ;   in Loop: Header=BB82_22 Depth=1
	v_cmp_lt_f16_e32 vcc, v21, v6
	v_cndmask_b32_e32 v22, v9, v6, vcc
; %bb.70:                               ;   in Loop: Header=BB82_22 Depth=1
	s_or_b64 exec, exec, s[4:5]
	v_mov_b32_e32 v21, v22
	v_mov_b32_e32 v9, v22
	s_or_b64 exec, exec, s[2:3]
	v_cmp_o_f16_e32 vcc, v21, v21
	s_and_saveexec_b64 s[2:3], vcc
	s_cbranch_execz .LBB82_34
.LBB82_71:                              ;   in Loop: Header=BB82_22 Depth=1
	s_waitcnt vmcnt(4)
	v_cmp_o_f16_e32 vcc, v5, v5
	v_mov_b32_e32 v22, v5
	s_and_saveexec_b64 s[4:5], vcc
; %bb.72:                               ;   in Loop: Header=BB82_22 Depth=1
	v_cmp_lt_f16_e32 vcc, v21, v5
	v_cndmask_b32_e32 v22, v9, v5, vcc
; %bb.73:                               ;   in Loop: Header=BB82_22 Depth=1
	s_or_b64 exec, exec, s[4:5]
	v_mov_b32_e32 v21, v22
	v_mov_b32_e32 v9, v22
	s_or_b64 exec, exec, s[2:3]
	v_cmp_o_f16_e32 vcc, v21, v21
	s_and_saveexec_b64 s[2:3], vcc
	s_cbranch_execz .LBB82_35
.LBB82_74:                              ;   in Loop: Header=BB82_22 Depth=1
	s_waitcnt vmcnt(3)
	v_cmp_o_f16_e32 vcc, v4, v4
	v_mov_b32_e32 v22, v4
	s_and_saveexec_b64 s[4:5], vcc
; %bb.75:                               ;   in Loop: Header=BB82_22 Depth=1
	v_cmp_lt_f16_e32 vcc, v21, v4
	v_cndmask_b32_e32 v22, v9, v4, vcc
; %bb.76:                               ;   in Loop: Header=BB82_22 Depth=1
	s_or_b64 exec, exec, s[4:5]
	v_mov_b32_e32 v21, v22
	v_mov_b32_e32 v9, v22
	s_or_b64 exec, exec, s[2:3]
	v_cmp_o_f16_e32 vcc, v21, v21
	s_and_saveexec_b64 s[2:3], vcc
	s_cbranch_execz .LBB82_36
.LBB82_77:                              ;   in Loop: Header=BB82_22 Depth=1
	s_waitcnt vmcnt(2)
	v_cmp_o_f16_e32 vcc, v3, v3
	v_mov_b32_e32 v22, v3
	s_and_saveexec_b64 s[4:5], vcc
; %bb.78:                               ;   in Loop: Header=BB82_22 Depth=1
	v_cmp_lt_f16_e32 vcc, v21, v3
	v_cndmask_b32_e32 v22, v9, v3, vcc
; %bb.79:                               ;   in Loop: Header=BB82_22 Depth=1
	s_or_b64 exec, exec, s[4:5]
	v_mov_b32_e32 v21, v22
	v_mov_b32_e32 v9, v22
	s_or_b64 exec, exec, s[2:3]
	v_cmp_o_f16_e32 vcc, v21, v21
	s_and_saveexec_b64 s[2:3], vcc
	s_cbranch_execz .LBB82_37
.LBB82_80:                              ;   in Loop: Header=BB82_22 Depth=1
	s_waitcnt vmcnt(1)
	v_cmp_o_f16_e32 vcc, v2, v2
	v_mov_b32_e32 v22, v2
	s_and_saveexec_b64 s[4:5], vcc
; %bb.81:                               ;   in Loop: Header=BB82_22 Depth=1
	v_cmp_lt_f16_e32 vcc, v21, v2
	v_cndmask_b32_e32 v22, v9, v2, vcc
; %bb.82:                               ;   in Loop: Header=BB82_22 Depth=1
	s_or_b64 exec, exec, s[4:5]
	v_mov_b32_e32 v21, v22
	v_mov_b32_e32 v9, v22
	s_or_b64 exec, exec, s[2:3]
	v_cmp_o_f16_e32 vcc, v21, v21
	s_and_saveexec_b64 s[2:3], vcc
	s_cbranch_execz .LBB82_86
.LBB82_83:                              ;   in Loop: Header=BB82_22 Depth=1
	s_waitcnt vmcnt(0)
	v_cmp_o_f16_e32 vcc, v1, v1
	v_mov_b32_e32 v22, v1
	s_and_saveexec_b64 s[4:5], vcc
; %bb.84:                               ;   in Loop: Header=BB82_22 Depth=1
	v_cmp_lt_f16_e32 vcc, v21, v1
	v_cndmask_b32_e32 v22, v9, v1, vcc
; %bb.85:                               ;   in Loop: Header=BB82_22 Depth=1
	s_or_b64 exec, exec, s[4:5]
	v_mov_b32_e32 v9, v22
.LBB82_86:                              ;   in Loop: Header=BB82_22 Depth=1
	s_or_b64 exec, exec, s[2:3]
	s_add_i32 s2, s0, 0x1000
	s_addk_i32 s0, 0x2000
	s_cmp_lt_i32 s0, s50
	s_cbranch_scc0 .LBB82_135
; %bb.87:                               ;   in Loop: Header=BB82_22 Depth=1
	s_mov_b32 s0, s2
	s_branch .LBB82_22
.LBB82_88:
                                        ; implicit-def: $vgpr3
	s_cbranch_execnz .LBB82_300
	s_branch .LBB82_402
.LBB82_89:
	s_waitcnt vmcnt(14)
	v_cmp_o_f16_e32 vcc, v16, v16
	v_mov_b32_e32 v9, v16
	s_and_saveexec_b64 s[4:5], vcc
; %bb.90:
	v_cmp_gt_f16_e32 vcc, v16, v17
	v_cndmask_b32_e32 v9, v17, v16, vcc
; %bb.91:
	s_or_b64 exec, exec, s[4:5]
	s_or_b64 exec, exec, s[2:3]
	v_cmp_o_f16_e32 vcc, v9, v9
	s_and_saveexec_b64 s[2:3], vcc
	s_cbranch_execz .LBB82_7
.LBB82_92:
	s_waitcnt vmcnt(13)
	v_cmp_o_f16_e32 vcc, v15, v15
	v_mov_b32_e32 v19, v15
	s_and_saveexec_b64 s[4:5], vcc
; %bb.93:
	v_cmp_lt_f16_e32 vcc, v9, v15
	v_cndmask_b32_e32 v19, v9, v15, vcc
; %bb.94:
	s_or_b64 exec, exec, s[4:5]
	v_mov_b32_e32 v9, v19
	s_or_b64 exec, exec, s[2:3]
	v_cmp_o_f16_e32 vcc, v9, v9
	s_and_saveexec_b64 s[2:3], vcc
	s_cbranch_execz .LBB82_8
.LBB82_95:
	s_waitcnt vmcnt(12)
	v_cmp_o_f16_e32 vcc, v14, v14
	v_mov_b32_e32 v19, v14
	s_and_saveexec_b64 s[4:5], vcc
; %bb.96:
	v_cmp_lt_f16_e32 vcc, v9, v14
	v_cndmask_b32_e32 v19, v9, v14, vcc
; %bb.97:
	s_or_b64 exec, exec, s[4:5]
	v_mov_b32_e32 v9, v19
	s_or_b64 exec, exec, s[2:3]
	v_cmp_o_f16_e32 vcc, v9, v9
	s_and_saveexec_b64 s[2:3], vcc
	s_cbranch_execz .LBB82_9
.LBB82_98:
	s_waitcnt vmcnt(11)
	v_cmp_o_f16_e32 vcc, v13, v13
	v_mov_b32_e32 v19, v13
	s_and_saveexec_b64 s[4:5], vcc
; %bb.99:
	v_cmp_lt_f16_e32 vcc, v9, v13
	v_cndmask_b32_e32 v19, v9, v13, vcc
; %bb.100:
	s_or_b64 exec, exec, s[4:5]
	v_mov_b32_e32 v9, v19
	s_or_b64 exec, exec, s[2:3]
	v_cmp_o_f16_e32 vcc, v9, v9
	s_and_saveexec_b64 s[2:3], vcc
	s_cbranch_execz .LBB82_10
.LBB82_101:
	s_waitcnt vmcnt(10)
	v_cmp_o_f16_e32 vcc, v12, v12
	v_mov_b32_e32 v19, v12
	s_and_saveexec_b64 s[4:5], vcc
; %bb.102:
	v_cmp_lt_f16_e32 vcc, v9, v12
	v_cndmask_b32_e32 v19, v9, v12, vcc
; %bb.103:
	s_or_b64 exec, exec, s[4:5]
	v_mov_b32_e32 v9, v19
	s_or_b64 exec, exec, s[2:3]
	v_cmp_o_f16_e32 vcc, v9, v9
	s_and_saveexec_b64 s[2:3], vcc
	s_cbranch_execz .LBB82_11
.LBB82_104:
	s_waitcnt vmcnt(9)
	v_cmp_o_f16_e32 vcc, v11, v11
	v_mov_b32_e32 v19, v11
	s_and_saveexec_b64 s[4:5], vcc
; %bb.105:
	v_cmp_lt_f16_e32 vcc, v9, v11
	v_cndmask_b32_e32 v19, v9, v11, vcc
; %bb.106:
	s_or_b64 exec, exec, s[4:5]
	v_mov_b32_e32 v9, v19
	s_or_b64 exec, exec, s[2:3]
	v_cmp_o_f16_e32 vcc, v9, v9
	s_and_saveexec_b64 s[2:3], vcc
	s_cbranch_execz .LBB82_12
.LBB82_107:
	s_waitcnt vmcnt(8)
	v_cmp_o_f16_e32 vcc, v10, v10
	v_mov_b32_e32 v19, v10
	s_and_saveexec_b64 s[4:5], vcc
; %bb.108:
	v_cmp_lt_f16_e32 vcc, v9, v10
	v_cndmask_b32_e32 v19, v9, v10, vcc
; %bb.109:
	s_or_b64 exec, exec, s[4:5]
	v_mov_b32_e32 v9, v19
	s_or_b64 exec, exec, s[2:3]
	v_cmp_o_f16_e32 vcc, v9, v9
	s_and_saveexec_b64 s[2:3], vcc
	s_cbranch_execz .LBB82_13
.LBB82_110:
	s_waitcnt vmcnt(7)
	v_cmp_o_f16_e32 vcc, v8, v8
	v_mov_b32_e32 v19, v8
	s_and_saveexec_b64 s[4:5], vcc
; %bb.111:
	v_cmp_lt_f16_e32 vcc, v9, v8
	v_cndmask_b32_e32 v19, v9, v8, vcc
; %bb.112:
	s_or_b64 exec, exec, s[4:5]
	v_mov_b32_e32 v9, v19
	s_or_b64 exec, exec, s[2:3]
	v_cmp_o_f16_e32 vcc, v9, v9
	s_and_saveexec_b64 s[2:3], vcc
	s_cbranch_execz .LBB82_14
.LBB82_113:
	s_waitcnt vmcnt(6)
	v_cmp_o_f16_e32 vcc, v7, v7
	v_mov_b32_e32 v19, v7
	s_and_saveexec_b64 s[4:5], vcc
; %bb.114:
	v_cmp_lt_f16_e32 vcc, v9, v7
	v_cndmask_b32_e32 v19, v9, v7, vcc
; %bb.115:
	s_or_b64 exec, exec, s[4:5]
	v_mov_b32_e32 v9, v19
	s_or_b64 exec, exec, s[2:3]
	v_cmp_o_f16_e32 vcc, v9, v9
	s_and_saveexec_b64 s[2:3], vcc
	s_cbranch_execz .LBB82_15
.LBB82_116:
	s_waitcnt vmcnt(5)
	v_cmp_o_f16_e32 vcc, v6, v6
	v_mov_b32_e32 v19, v6
	s_and_saveexec_b64 s[4:5], vcc
; %bb.117:
	v_cmp_lt_f16_e32 vcc, v9, v6
	v_cndmask_b32_e32 v19, v9, v6, vcc
; %bb.118:
	s_or_b64 exec, exec, s[4:5]
	v_mov_b32_e32 v9, v19
	s_or_b64 exec, exec, s[2:3]
	v_cmp_o_f16_e32 vcc, v9, v9
	s_and_saveexec_b64 s[2:3], vcc
	s_cbranch_execz .LBB82_16
.LBB82_119:
	s_waitcnt vmcnt(4)
	v_cmp_o_f16_e32 vcc, v5, v5
	v_mov_b32_e32 v19, v5
	s_and_saveexec_b64 s[4:5], vcc
; %bb.120:
	v_cmp_lt_f16_e32 vcc, v9, v5
	v_cndmask_b32_e32 v19, v9, v5, vcc
; %bb.121:
	s_or_b64 exec, exec, s[4:5]
	v_mov_b32_e32 v9, v19
	s_or_b64 exec, exec, s[2:3]
	v_cmp_o_f16_e32 vcc, v9, v9
	s_and_saveexec_b64 s[2:3], vcc
	s_cbranch_execz .LBB82_17
.LBB82_122:
	s_waitcnt vmcnt(3)
	v_cmp_o_f16_e32 vcc, v4, v4
	v_mov_b32_e32 v19, v4
	s_and_saveexec_b64 s[4:5], vcc
; %bb.123:
	v_cmp_lt_f16_e32 vcc, v9, v4
	v_cndmask_b32_e32 v19, v9, v4, vcc
; %bb.124:
	s_or_b64 exec, exec, s[4:5]
	v_mov_b32_e32 v9, v19
	s_or_b64 exec, exec, s[2:3]
	v_cmp_o_f16_e32 vcc, v9, v9
	s_and_saveexec_b64 s[2:3], vcc
	s_cbranch_execz .LBB82_18
.LBB82_125:
	s_waitcnt vmcnt(2)
	v_cmp_o_f16_e32 vcc, v3, v3
	v_mov_b32_e32 v19, v3
	s_and_saveexec_b64 s[4:5], vcc
; %bb.126:
	v_cmp_lt_f16_e32 vcc, v9, v3
	v_cndmask_b32_e32 v19, v9, v3, vcc
; %bb.127:
	s_or_b64 exec, exec, s[4:5]
	v_mov_b32_e32 v9, v19
	s_or_b64 exec, exec, s[2:3]
	v_cmp_o_f16_e32 vcc, v9, v9
	s_and_saveexec_b64 s[2:3], vcc
	s_cbranch_execz .LBB82_19
.LBB82_128:
	s_waitcnt vmcnt(1)
	v_cmp_o_f16_e32 vcc, v2, v2
	v_mov_b32_e32 v19, v2
	s_and_saveexec_b64 s[4:5], vcc
; %bb.129:
	v_cmp_lt_f16_e32 vcc, v9, v2
	v_cndmask_b32_e32 v19, v9, v2, vcc
; %bb.130:
	s_or_b64 exec, exec, s[4:5]
	v_mov_b32_e32 v9, v19
	s_or_b64 exec, exec, s[2:3]
	v_cmp_o_f16_e32 vcc, v9, v9
	s_and_saveexec_b64 s[2:3], vcc
	s_cbranch_execz .LBB82_20
.LBB82_131:
	s_waitcnt vmcnt(0)
	v_cmp_o_f16_e32 vcc, v1, v1
	v_mov_b32_e32 v19, v1
	s_and_saveexec_b64 s[4:5], vcc
; %bb.132:
	v_cmp_lt_f16_e32 vcc, v9, v1
	v_cndmask_b32_e32 v19, v9, v1, vcc
; %bb.133:
	s_or_b64 exec, exec, s[4:5]
	v_mov_b32_e32 v9, v19
	s_or_b64 exec, exec, s[2:3]
	s_add_i32 s1, s42, 0x2000
	s_cmp_ge_i32 s1, s50
	s_cbranch_scc0 .LBB82_21
.LBB82_134:
	s_mov_b32 s2, s0
.LBB82_135:
	s_ashr_i32 s3, s2, 31
	s_sub_i32 s43, s50, s2
	s_lshl_b64 s[0:1], s[2:3], 1
	s_add_u32 s44, s36, s0
	s_addc_u32 s45, s37, s1
	v_cmp_gt_u32_e64 s[30:31], s43, v0
	s_and_saveexec_b64 s[0:1], s[30:31]
	s_cbranch_execz .LBB82_137
; %bb.136:
	global_load_ushort v17, v18, s[44:45]
.LBB82_137:
	s_or_b64 exec, exec, s[0:1]
	v_or_b32_e32 v19, 0x100, v0
	v_cmp_gt_u32_e64 s[28:29], s43, v19
	s_and_saveexec_b64 s[0:1], s[28:29]
	s_cbranch_execz .LBB82_139
; %bb.138:
	global_load_ushort v16, v18, s[44:45] offset:512
.LBB82_139:
	s_or_b64 exec, exec, s[0:1]
	v_or_b32_e32 v19, 0x200, v0
	v_cmp_gt_u32_e64 s[26:27], s43, v19
	s_and_saveexec_b64 s[0:1], s[26:27]
	s_cbranch_execz .LBB82_141
; %bb.140:
	global_load_ushort v15, v18, s[44:45] offset:1024
.LBB82_141:
	;; [unrolled: 8-line block ×7, first 2 shown]
	s_or_b64 exec, exec, s[0:1]
	v_or_b32_e32 v18, 0x800, v0
	v_cmp_gt_u32_e64 s[14:15], s43, v18
	s_and_saveexec_b64 s[0:1], s[14:15]
	s_cbranch_execz .LBB82_153
; %bb.152:
	s_waitcnt vmcnt(7)
	v_lshlrev_b32_e32 v8, 1, v18
	global_load_ushort v8, v8, s[44:45]
.LBB82_153:
	s_or_b64 exec, exec, s[0:1]
	v_or_b32_e32 v18, 0x900, v0
	v_cmp_gt_u32_e64 s[12:13], s43, v18
	s_and_saveexec_b64 s[0:1], s[12:13]
	s_cbranch_execz .LBB82_155
; %bb.154:
	s_waitcnt vmcnt(6)
	v_lshlrev_b32_e32 v7, 1, v18
	global_load_ushort v7, v7, s[44:45]
.LBB82_155:
	;; [unrolled: 10-line block ×7, first 2 shown]
	s_or_b64 exec, exec, s[46:47]
	v_or_b32_e32 v18, 0xf00, v0
	v_cmp_gt_u32_e32 vcc, s43, v18
	s_and_saveexec_b64 s[46:47], vcc
	s_cbranch_execnz .LBB82_182
; %bb.166:
	s_or_b64 exec, exec, s[46:47]
	s_and_saveexec_b64 s[44:45], s[30:31]
	s_cbranch_execnz .LBB82_183
.LBB82_167:
	s_or_b64 exec, exec, s[44:45]
	s_and_saveexec_b64 s[30:31], s[28:29]
	s_cbranch_execnz .LBB82_188
.LBB82_168:
	s_or_b64 exec, exec, s[30:31]
	s_and_saveexec_b64 s[28:29], s[26:27]
	s_cbranch_execnz .LBB82_193
.LBB82_169:
	s_or_b64 exec, exec, s[28:29]
	s_and_saveexec_b64 s[26:27], s[24:25]
	s_cbranch_execnz .LBB82_198
.LBB82_170:
	s_or_b64 exec, exec, s[26:27]
	s_and_saveexec_b64 s[24:25], s[22:23]
	s_cbranch_execnz .LBB82_203
.LBB82_171:
	s_or_b64 exec, exec, s[24:25]
	s_and_saveexec_b64 s[22:23], s[20:21]
	s_cbranch_execnz .LBB82_208
.LBB82_172:
	s_or_b64 exec, exec, s[22:23]
	s_and_saveexec_b64 s[20:21], s[18:19]
	s_cbranch_execnz .LBB82_213
.LBB82_173:
	s_or_b64 exec, exec, s[20:21]
	s_and_saveexec_b64 s[18:19], s[16:17]
	s_cbranch_execnz .LBB82_218
.LBB82_174:
	s_or_b64 exec, exec, s[18:19]
	s_and_saveexec_b64 s[16:17], s[14:15]
	s_cbranch_execnz .LBB82_223
.LBB82_175:
	s_or_b64 exec, exec, s[16:17]
	s_and_saveexec_b64 s[14:15], s[12:13]
	s_cbranch_execnz .LBB82_228
.LBB82_176:
	s_or_b64 exec, exec, s[14:15]
	s_and_saveexec_b64 s[12:13], s[10:11]
	s_cbranch_execnz .LBB82_233
.LBB82_177:
	s_or_b64 exec, exec, s[12:13]
	s_and_saveexec_b64 s[10:11], s[8:9]
	s_cbranch_execnz .LBB82_238
.LBB82_178:
	s_or_b64 exec, exec, s[10:11]
	s_and_saveexec_b64 s[8:9], s[4:5]
	s_cbranch_execnz .LBB82_243
.LBB82_179:
	s_or_b64 exec, exec, s[8:9]
	s_and_saveexec_b64 s[4:5], s[2:3]
	s_cbranch_execnz .LBB82_248
.LBB82_180:
	s_or_b64 exec, exec, s[4:5]
	s_and_saveexec_b64 s[2:3], s[0:1]
	s_cbranch_execnz .LBB82_253
.LBB82_181:
	s_or_b64 exec, exec, s[2:3]
	s_and_saveexec_b64 s[0:1], vcc
	s_cbranch_execnz .LBB82_258
	s_branch .LBB82_263
.LBB82_182:
	s_waitcnt vmcnt(0)
	v_lshlrev_b32_e32 v1, 1, v18
	global_load_ushort v1, v1, s[44:45]
	s_or_b64 exec, exec, s[46:47]
	s_and_saveexec_b64 s[44:45], s[30:31]
	s_cbranch_execz .LBB82_167
.LBB82_183:
	v_cmp_o_f16_e64 s[30:31], v9, v9
	s_and_saveexec_b64 s[46:47], s[30:31]
	s_cbranch_execz .LBB82_187
; %bb.184:
	s_waitcnt vmcnt(0)
	v_cmp_o_f16_e64 s[30:31], v17, v17
	s_and_saveexec_b64 s[48:49], s[30:31]
; %bb.185:
	v_cmp_gt_f16_e64 s[30:31], v17, v9
	v_cndmask_b32_e64 v17, v9, v17, s[30:31]
; %bb.186:
	s_or_b64 exec, exec, s[48:49]
	v_mov_b32_e32 v9, v17
.LBB82_187:
	s_or_b64 exec, exec, s[46:47]
	s_or_b64 exec, exec, s[44:45]
	s_and_saveexec_b64 s[30:31], s[28:29]
	s_cbranch_execz .LBB82_168
.LBB82_188:
	v_cmp_o_f16_e64 s[28:29], v9, v9
	s_and_saveexec_b64 s[44:45], s[28:29]
	s_cbranch_execz .LBB82_192
; %bb.189:
	s_waitcnt vmcnt(0)
	v_cmp_o_f16_e64 s[28:29], v16, v16
	s_and_saveexec_b64 s[46:47], s[28:29]
; %bb.190:
	v_cmp_gt_f16_e64 s[28:29], v16, v9
	v_cndmask_b32_e64 v16, v9, v16, s[28:29]
; %bb.191:
	s_or_b64 exec, exec, s[46:47]
	v_mov_b32_e32 v9, v16
.LBB82_192:
	s_or_b64 exec, exec, s[44:45]
	s_or_b64 exec, exec, s[30:31]
	s_and_saveexec_b64 s[28:29], s[26:27]
	s_cbranch_execz .LBB82_169
.LBB82_193:
	v_cmp_o_f16_e64 s[26:27], v9, v9
	s_and_saveexec_b64 s[30:31], s[26:27]
	s_cbranch_execz .LBB82_197
; %bb.194:
	s_waitcnt vmcnt(0)
	v_cmp_o_f16_e64 s[26:27], v15, v15
	s_and_saveexec_b64 s[44:45], s[26:27]
; %bb.195:
	v_cmp_gt_f16_e64 s[26:27], v15, v9
	v_cndmask_b32_e64 v15, v9, v15, s[26:27]
; %bb.196:
	s_or_b64 exec, exec, s[44:45]
	v_mov_b32_e32 v9, v15
.LBB82_197:
	s_or_b64 exec, exec, s[30:31]
	s_or_b64 exec, exec, s[28:29]
	s_and_saveexec_b64 s[26:27], s[24:25]
	s_cbranch_execz .LBB82_170
.LBB82_198:
	v_cmp_o_f16_e64 s[24:25], v9, v9
	s_and_saveexec_b64 s[28:29], s[24:25]
	s_cbranch_execz .LBB82_202
; %bb.199:
	s_waitcnt vmcnt(0)
	v_cmp_o_f16_e64 s[24:25], v14, v14
	s_and_saveexec_b64 s[30:31], s[24:25]
; %bb.200:
	v_cmp_gt_f16_e64 s[24:25], v14, v9
	v_cndmask_b32_e64 v14, v9, v14, s[24:25]
; %bb.201:
	s_or_b64 exec, exec, s[30:31]
	v_mov_b32_e32 v9, v14
.LBB82_202:
	s_or_b64 exec, exec, s[28:29]
	s_or_b64 exec, exec, s[26:27]
	s_and_saveexec_b64 s[24:25], s[22:23]
	s_cbranch_execz .LBB82_171
.LBB82_203:
	v_cmp_o_f16_e64 s[22:23], v9, v9
	s_and_saveexec_b64 s[26:27], s[22:23]
	s_cbranch_execz .LBB82_207
; %bb.204:
	s_waitcnt vmcnt(0)
	v_cmp_o_f16_e64 s[22:23], v13, v13
	s_and_saveexec_b64 s[28:29], s[22:23]
; %bb.205:
	v_cmp_gt_f16_e64 s[22:23], v13, v9
	v_cndmask_b32_e64 v13, v9, v13, s[22:23]
; %bb.206:
	s_or_b64 exec, exec, s[28:29]
	v_mov_b32_e32 v9, v13
.LBB82_207:
	s_or_b64 exec, exec, s[26:27]
	s_or_b64 exec, exec, s[24:25]
	s_and_saveexec_b64 s[22:23], s[20:21]
	s_cbranch_execz .LBB82_172
.LBB82_208:
	v_cmp_o_f16_e64 s[20:21], v9, v9
	s_and_saveexec_b64 s[24:25], s[20:21]
	s_cbranch_execz .LBB82_212
; %bb.209:
	s_waitcnt vmcnt(0)
	v_cmp_o_f16_e64 s[20:21], v12, v12
	s_and_saveexec_b64 s[26:27], s[20:21]
; %bb.210:
	v_cmp_gt_f16_e64 s[20:21], v12, v9
	v_cndmask_b32_e64 v12, v9, v12, s[20:21]
; %bb.211:
	s_or_b64 exec, exec, s[26:27]
	v_mov_b32_e32 v9, v12
.LBB82_212:
	s_or_b64 exec, exec, s[24:25]
	s_or_b64 exec, exec, s[22:23]
	s_and_saveexec_b64 s[20:21], s[18:19]
	s_cbranch_execz .LBB82_173
.LBB82_213:
	v_cmp_o_f16_e64 s[18:19], v9, v9
	s_and_saveexec_b64 s[22:23], s[18:19]
	s_cbranch_execz .LBB82_217
; %bb.214:
	s_waitcnt vmcnt(0)
	v_cmp_o_f16_e64 s[18:19], v11, v11
	s_and_saveexec_b64 s[24:25], s[18:19]
; %bb.215:
	v_cmp_gt_f16_e64 s[18:19], v11, v9
	v_cndmask_b32_e64 v11, v9, v11, s[18:19]
; %bb.216:
	s_or_b64 exec, exec, s[24:25]
	v_mov_b32_e32 v9, v11
.LBB82_217:
	s_or_b64 exec, exec, s[22:23]
	s_or_b64 exec, exec, s[20:21]
	s_and_saveexec_b64 s[18:19], s[16:17]
	s_cbranch_execz .LBB82_174
.LBB82_218:
	v_cmp_o_f16_e64 s[16:17], v9, v9
	s_and_saveexec_b64 s[20:21], s[16:17]
	s_cbranch_execz .LBB82_222
; %bb.219:
	s_waitcnt vmcnt(0)
	v_cmp_o_f16_e64 s[16:17], v10, v10
	s_and_saveexec_b64 s[22:23], s[16:17]
; %bb.220:
	v_cmp_gt_f16_e64 s[16:17], v10, v9
	v_cndmask_b32_e64 v10, v9, v10, s[16:17]
; %bb.221:
	s_or_b64 exec, exec, s[22:23]
	v_mov_b32_e32 v9, v10
.LBB82_222:
	s_or_b64 exec, exec, s[20:21]
	s_or_b64 exec, exec, s[18:19]
	s_and_saveexec_b64 s[16:17], s[14:15]
	s_cbranch_execz .LBB82_175
.LBB82_223:
	v_cmp_o_f16_e64 s[14:15], v9, v9
	s_and_saveexec_b64 s[18:19], s[14:15]
	s_cbranch_execz .LBB82_227
; %bb.224:
	s_waitcnt vmcnt(0)
	v_cmp_o_f16_e64 s[14:15], v8, v8
	s_and_saveexec_b64 s[20:21], s[14:15]
; %bb.225:
	v_cmp_gt_f16_e64 s[14:15], v8, v9
	v_cndmask_b32_e64 v8, v9, v8, s[14:15]
; %bb.226:
	s_or_b64 exec, exec, s[20:21]
	v_mov_b32_e32 v9, v8
.LBB82_227:
	s_or_b64 exec, exec, s[18:19]
	s_or_b64 exec, exec, s[16:17]
	s_and_saveexec_b64 s[14:15], s[12:13]
	s_cbranch_execz .LBB82_176
.LBB82_228:
	v_cmp_o_f16_e64 s[12:13], v9, v9
	s_and_saveexec_b64 s[16:17], s[12:13]
	s_cbranch_execz .LBB82_232
; %bb.229:
	s_waitcnt vmcnt(0)
	v_cmp_o_f16_e64 s[12:13], v7, v7
	s_and_saveexec_b64 s[18:19], s[12:13]
; %bb.230:
	v_cmp_gt_f16_e64 s[12:13], v7, v9
	v_cndmask_b32_e64 v7, v9, v7, s[12:13]
; %bb.231:
	s_or_b64 exec, exec, s[18:19]
	v_mov_b32_e32 v9, v7
.LBB82_232:
	s_or_b64 exec, exec, s[16:17]
	s_or_b64 exec, exec, s[14:15]
	s_and_saveexec_b64 s[12:13], s[10:11]
	s_cbranch_execz .LBB82_177
.LBB82_233:
	v_cmp_o_f16_e64 s[10:11], v9, v9
	s_and_saveexec_b64 s[14:15], s[10:11]
	s_cbranch_execz .LBB82_237
; %bb.234:
	s_waitcnt vmcnt(0)
	v_cmp_o_f16_e64 s[10:11], v6, v6
	s_and_saveexec_b64 s[16:17], s[10:11]
; %bb.235:
	v_cmp_gt_f16_e64 s[10:11], v6, v9
	v_cndmask_b32_e64 v6, v9, v6, s[10:11]
; %bb.236:
	s_or_b64 exec, exec, s[16:17]
	v_mov_b32_e32 v9, v6
.LBB82_237:
	s_or_b64 exec, exec, s[14:15]
	s_or_b64 exec, exec, s[12:13]
	s_and_saveexec_b64 s[10:11], s[8:9]
	s_cbranch_execz .LBB82_178
.LBB82_238:
	v_cmp_o_f16_e64 s[8:9], v9, v9
	s_and_saveexec_b64 s[12:13], s[8:9]
	s_cbranch_execz .LBB82_242
; %bb.239:
	s_waitcnt vmcnt(0)
	v_cmp_o_f16_e64 s[8:9], v5, v5
	s_and_saveexec_b64 s[14:15], s[8:9]
; %bb.240:
	v_cmp_gt_f16_e64 s[8:9], v5, v9
	v_cndmask_b32_e64 v5, v9, v5, s[8:9]
; %bb.241:
	s_or_b64 exec, exec, s[14:15]
	v_mov_b32_e32 v9, v5
.LBB82_242:
	s_or_b64 exec, exec, s[12:13]
	s_or_b64 exec, exec, s[10:11]
	s_and_saveexec_b64 s[8:9], s[4:5]
	s_cbranch_execz .LBB82_179
.LBB82_243:
	v_cmp_o_f16_e64 s[4:5], v9, v9
	s_and_saveexec_b64 s[10:11], s[4:5]
	s_cbranch_execz .LBB82_247
; %bb.244:
	s_waitcnt vmcnt(0)
	v_cmp_o_f16_e64 s[4:5], v4, v4
	s_and_saveexec_b64 s[12:13], s[4:5]
; %bb.245:
	v_cmp_gt_f16_e64 s[4:5], v4, v9
	v_cndmask_b32_e64 v4, v9, v4, s[4:5]
; %bb.246:
	s_or_b64 exec, exec, s[12:13]
	v_mov_b32_e32 v9, v4
.LBB82_247:
	s_or_b64 exec, exec, s[10:11]
	s_or_b64 exec, exec, s[8:9]
	s_and_saveexec_b64 s[4:5], s[2:3]
	s_cbranch_execz .LBB82_180
.LBB82_248:
	v_cmp_o_f16_e64 s[2:3], v9, v9
	s_and_saveexec_b64 s[8:9], s[2:3]
	s_cbranch_execz .LBB82_252
; %bb.249:
	s_waitcnt vmcnt(0)
	v_cmp_o_f16_e64 s[2:3], v3, v3
	s_and_saveexec_b64 s[10:11], s[2:3]
; %bb.250:
	v_cmp_gt_f16_e64 s[2:3], v3, v9
	v_cndmask_b32_e64 v3, v9, v3, s[2:3]
; %bb.251:
	s_or_b64 exec, exec, s[10:11]
	v_mov_b32_e32 v9, v3
.LBB82_252:
	s_or_b64 exec, exec, s[8:9]
	s_or_b64 exec, exec, s[4:5]
	s_and_saveexec_b64 s[2:3], s[0:1]
	s_cbranch_execz .LBB82_181
.LBB82_253:
	v_cmp_o_f16_e64 s[0:1], v9, v9
	s_and_saveexec_b64 s[4:5], s[0:1]
	s_cbranch_execz .LBB82_257
; %bb.254:
	s_waitcnt vmcnt(0)
	v_cmp_o_f16_e64 s[0:1], v2, v2
	s_and_saveexec_b64 s[8:9], s[0:1]
; %bb.255:
	v_cmp_gt_f16_e64 s[0:1], v2, v9
	v_cndmask_b32_e64 v2, v9, v2, s[0:1]
; %bb.256:
	s_or_b64 exec, exec, s[8:9]
	v_mov_b32_e32 v9, v2
.LBB82_257:
	s_or_b64 exec, exec, s[4:5]
	s_or_b64 exec, exec, s[2:3]
	s_and_saveexec_b64 s[0:1], vcc
	s_cbranch_execz .LBB82_263
.LBB82_258:
	v_cmp_o_f16_e32 vcc, v9, v9
	s_and_saveexec_b64 s[2:3], vcc
	s_cbranch_execz .LBB82_262
; %bb.259:
	s_waitcnt vmcnt(0)
	v_cmp_o_f16_e32 vcc, v1, v1
	s_and_saveexec_b64 s[4:5], vcc
; %bb.260:
	v_cmp_gt_f16_e32 vcc, v1, v9
	v_cndmask_b32_e32 v1, v9, v1, vcc
; %bb.261:
	s_or_b64 exec, exec, s[4:5]
	v_mov_b32_e32 v9, v1
.LBB82_262:
	s_or_b64 exec, exec, s[2:3]
.LBB82_263:
	s_or_b64 exec, exec, s[0:1]
	s_waitcnt vmcnt(0)
	v_and_b32_e32 v1, 0xffff, v9
	s_nop 1
	v_mov_b32_dpp v1, v1 quad_perm:[1,0,3,2] row_mask:0xf bank_mask:0xf bound_ctrl:1
	v_cmp_o_f16_e32 vcc, v1, v1
	s_and_saveexec_b64 s[0:1], vcc
	s_xor_b64 s[0:1], exec, s[0:1]
	s_cbranch_execz .LBB82_267
; %bb.264:
	v_cmp_o_f16_e32 vcc, v9, v9
	s_and_saveexec_b64 s[2:3], vcc
; %bb.265:
	v_cmp_gt_f16_e32 vcc, v9, v1
	v_cndmask_b32_e32 v9, v1, v9, vcc
; %bb.266:
	s_or_b64 exec, exec, s[2:3]
	v_mov_b32_e32 v1, v9
.LBB82_267:
	s_or_b64 exec, exec, s[0:1]
	v_and_b32_e32 v2, 0xffff, v1
	s_nop 1
	v_mov_b32_dpp v2, v2 quad_perm:[2,3,0,1] row_mask:0xf bank_mask:0xf bound_ctrl:1
	v_cmp_o_f16_e32 vcc, v2, v2
	s_and_saveexec_b64 s[0:1], vcc
	s_cbranch_execz .LBB82_271
; %bb.268:
	v_cmp_o_f16_e32 vcc, v1, v1
	s_and_saveexec_b64 s[2:3], vcc
; %bb.269:
	v_cmp_gt_f16_e32 vcc, v1, v2
	v_cndmask_b32_e32 v1, v2, v1, vcc
; %bb.270:
	s_or_b64 exec, exec, s[2:3]
	v_mov_b32_e32 v2, v1
.LBB82_271:
	s_or_b64 exec, exec, s[0:1]
	v_and_b32_e32 v1, 0xffff, v2
	s_nop 1
	v_mov_b32_dpp v1, v1 row_ror:4 row_mask:0xf bank_mask:0xf bound_ctrl:1
	v_cmp_o_f16_e32 vcc, v1, v1
	s_and_saveexec_b64 s[0:1], vcc
	s_cbranch_execz .LBB82_275
; %bb.272:
	v_cmp_o_f16_e32 vcc, v2, v2
	s_and_saveexec_b64 s[2:3], vcc
; %bb.273:
	v_cmp_gt_f16_e32 vcc, v2, v1
	v_cndmask_b32_e32 v2, v1, v2, vcc
; %bb.274:
	s_or_b64 exec, exec, s[2:3]
	v_mov_b32_e32 v1, v2
.LBB82_275:
	s_or_b64 exec, exec, s[0:1]
	v_and_b32_e32 v2, 0xffff, v1
	s_nop 1
	v_mov_b32_dpp v2, v2 row_ror:8 row_mask:0xf bank_mask:0xf bound_ctrl:1
	v_cmp_o_f16_e32 vcc, v2, v2
	s_and_saveexec_b64 s[0:1], vcc
	s_cbranch_execz .LBB82_279
; %bb.276:
	v_cmp_o_f16_e32 vcc, v1, v1
	s_and_saveexec_b64 s[2:3], vcc
; %bb.277:
	v_cmp_gt_f16_e32 vcc, v1, v2
	v_cndmask_b32_e32 v1, v2, v1, vcc
; %bb.278:
	s_or_b64 exec, exec, s[2:3]
	v_mov_b32_e32 v2, v1
.LBB82_279:
	s_or_b64 exec, exec, s[0:1]
	v_and_b32_e32 v1, 0xffff, v2
	s_nop 1
	v_mov_b32_dpp v1, v1 row_bcast:15 row_mask:0xf bank_mask:0xf bound_ctrl:1
	v_cmp_o_f16_e32 vcc, v1, v1
	s_and_saveexec_b64 s[0:1], vcc
	s_cbranch_execz .LBB82_283
; %bb.280:
	v_cmp_o_f16_e32 vcc, v2, v2
	s_and_saveexec_b64 s[2:3], vcc
; %bb.281:
	v_cmp_gt_f16_e32 vcc, v2, v1
	v_cndmask_b32_e32 v2, v1, v2, vcc
; %bb.282:
	s_or_b64 exec, exec, s[2:3]
	v_mov_b32_e32 v1, v2
.LBB82_283:
	s_or_b64 exec, exec, s[0:1]
	v_and_b32_e32 v2, 0xffff, v1
	s_nop 1
	v_mov_b32_dpp v3, v2 row_bcast:31 row_mask:0xf bank_mask:0xf bound_ctrl:1
	v_cmp_o_f16_e32 vcc, v3, v3
	s_and_saveexec_b64 s[0:1], vcc
	s_cbranch_execz .LBB82_287
; %bb.284:
	v_cmp_o_f16_e32 vcc, v1, v1
	s_and_saveexec_b64 s[2:3], vcc
; %bb.285:
	v_cmp_gt_f16_e32 vcc, v1, v3
	v_cndmask_b32_e32 v1, v3, v1, vcc
; %bb.286:
	s_or_b64 exec, exec, s[2:3]
	v_mov_b32_e32 v3, v1
.LBB82_287:
	s_or_b64 exec, exec, s[0:1]
	v_mbcnt_lo_u32_b32 v1, -1, 0
	v_mbcnt_hi_u32_b32 v2, -1, v1
	v_lshlrev_b32_e32 v1, 2, v2
	v_or_b32_e32 v4, 0xfc, v1
	v_and_b32_e32 v3, 0xffff, v3
	ds_bpermute_b32 v3, v4, v3
	v_cmp_eq_u32_e32 vcc, 0, v2
	s_and_saveexec_b64 s[0:1], vcc
	s_cbranch_execz .LBB82_289
; %bb.288:
	v_lshrrev_b32_e32 v4, 5, v0
	v_and_b32_e32 v4, 6, v4
	s_waitcnt lgkmcnt(0)
	ds_write_b16 v4, v3
.LBB82_289:
	s_or_b64 exec, exec, s[0:1]
	v_cmp_gt_u32_e32 vcc, 64, v0
	s_waitcnt lgkmcnt(0)
	s_barrier
	s_and_saveexec_b64 s[0:1], vcc
	s_cbranch_execz .LBB82_299
; %bb.290:
	v_and_b32_e32 v4, 3, v2
	v_lshlrev_b32_e32 v3, 1, v4
	ds_read_u16 v3, v3
	v_cmp_ne_u32_e32 vcc, 3, v4
	v_addc_co_u32_e32 v2, vcc, 0, v2, vcc
	v_lshlrev_b32_e32 v2, 2, v2
	s_waitcnt lgkmcnt(0)
	v_and_b32_e32 v4, 0xffff, v3
	ds_bpermute_b32 v2, v2, v4
	v_cmp_o_f16_e32 vcc, v3, v3
	s_and_saveexec_b64 s[2:3], vcc
	s_cbranch_execz .LBB82_294
; %bb.291:
	s_waitcnt lgkmcnt(0)
	v_cmp_o_f16_e32 vcc, v2, v2
	s_and_saveexec_b64 s[4:5], vcc
; %bb.292:
	v_cmp_lt_f16_e32 vcc, v3, v2
	v_cndmask_b32_e32 v2, v3, v2, vcc
; %bb.293:
	s_or_b64 exec, exec, s[4:5]
	v_mov_b32_e32 v3, v2
.LBB82_294:
	s_or_b64 exec, exec, s[2:3]
	v_or_b32_e32 v1, 8, v1
	s_waitcnt lgkmcnt(0)
	v_and_b32_e32 v2, 0xffff, v3
	ds_bpermute_b32 v1, v1, v2
	v_cmp_o_f16_e32 vcc, v3, v3
	s_and_saveexec_b64 s[2:3], vcc
	s_cbranch_execz .LBB82_298
; %bb.295:
	s_waitcnt lgkmcnt(0)
	v_cmp_o_f16_e32 vcc, v1, v1
	s_and_saveexec_b64 s[4:5], vcc
; %bb.296:
	v_cmp_lt_f16_e32 vcc, v3, v1
	v_cndmask_b32_e32 v1, v3, v1, vcc
; %bb.297:
	s_or_b64 exec, exec, s[4:5]
	v_mov_b32_e32 v3, v1
.LBB82_298:
	s_or_b64 exec, exec, s[2:3]
.LBB82_299:
	s_or_b64 exec, exec, s[0:1]
	s_branch .LBB82_402
.LBB82_300:
	s_sub_i32 s12, s50, s42
	v_cmp_gt_u32_e32 vcc, s12, v0
                                        ; implicit-def: $vgpr4
	s_and_saveexec_b64 s[0:1], vcc
	s_cbranch_execz .LBB82_310
; %bb.301:
	s_waitcnt lgkmcnt(0)
	v_add_u32_e32 v1, s42, v0
	v_ashrrev_i32_e32 v2, 31, v1
	v_lshlrev_b64 v[2:3], 1, v[1:2]
	v_mov_b32_e32 v4, s37
	v_add_co_u32_e32 v2, vcc, s36, v2
	v_addc_co_u32_e32 v3, vcc, v4, v3, vcc
	global_load_ushort v4, v[2:3], off
	v_add_u32_e32 v1, 0x100, v1
	v_cmp_gt_i32_e32 vcc, s50, v1
	s_and_saveexec_b64 s[2:3], vcc
	s_cbranch_execz .LBB82_309
; %bb.302:
	s_mov_b64 s[4:5], 0
	s_branch .LBB82_305
.LBB82_303:                             ;   in Loop: Header=BB82_305 Depth=1
	s_or_b64 exec, exec, s[10:11]
	v_mov_b32_e32 v4, v2
.LBB82_304:                             ;   in Loop: Header=BB82_305 Depth=1
	s_or_b64 exec, exec, s[8:9]
	v_add_u32_e32 v1, 0x100, v1
	v_cmp_le_i32_e32 vcc, s50, v1
	s_or_b64 s[4:5], vcc, s[4:5]
	s_andn2_b64 exec, exec, s[4:5]
	s_cbranch_execz .LBB82_308
.LBB82_305:                             ; =>This Inner Loop Header: Depth=1
	s_waitcnt vmcnt(0)
	v_cmp_o_f16_e32 vcc, v4, v4
	s_and_saveexec_b64 s[8:9], vcc
	s_cbranch_execz .LBB82_304
; %bb.306:                              ;   in Loop: Header=BB82_305 Depth=1
	v_ashrrev_i32_e32 v2, 31, v1
	v_lshlrev_b64 v[2:3], 1, v[1:2]
	v_mov_b32_e32 v5, s37
	v_add_co_u32_e32 v2, vcc, s36, v2
	v_addc_co_u32_e32 v3, vcc, v5, v3, vcc
	global_load_ushort v2, v[2:3], off
	s_waitcnt vmcnt(0)
	v_cmp_o_f16_e32 vcc, v2, v2
	s_and_saveexec_b64 s[10:11], vcc
	s_cbranch_execz .LBB82_303
; %bb.307:                              ;   in Loop: Header=BB82_305 Depth=1
	v_cmp_lt_f16_e32 vcc, v4, v2
	v_cndmask_b32_e32 v2, v4, v2, vcc
	s_branch .LBB82_303
.LBB82_308:
	s_or_b64 exec, exec, s[4:5]
.LBB82_309:
	s_or_b64 exec, exec, s[2:3]
.LBB82_310:
	s_or_b64 exec, exec, s[0:1]
	s_waitcnt lgkmcnt(0)
	v_mbcnt_lo_u32_b32 v1, -1, 0
	s_cmpk_lt_u32 s12, 0x100
	v_lshrrev_b32_e32 v2, 6, v0
	v_mbcnt_hi_u32_b32 v1, -1, v1
	s_cbranch_scc0 .LBB82_364
; %bb.311:
	v_and_b32_e32 v5, 63, v1
	v_cmp_ne_u32_e32 vcc, 63, v5
	v_addc_co_u32_e32 v6, vcc, 0, v1, vcc
	v_lshlrev_b32_e32 v6, 2, v6
	s_waitcnt vmcnt(0)
	v_and_b32_e32 v8, 0xffff, v4
	ds_bpermute_b32 v7, v6, v8
	v_and_b32_e32 v3, 0xc0, v0
	v_sub_u32_e64 v6, s12, v3 clamp
	v_add_u32_e32 v3, 1, v5
	v_cmp_lt_u32_e32 vcc, v3, v6
	v_mov_b32_e32 v3, v4
	s_and_saveexec_b64 s[0:1], vcc
	s_cbranch_execz .LBB82_317
; %bb.312:
	v_cmp_o_f16_e32 vcc, v4, v4
	v_mov_b32_e32 v3, v4
	s_and_saveexec_b64 s[2:3], vcc
	s_cbranch_execz .LBB82_316
; %bb.313:
	s_waitcnt lgkmcnt(0)
	v_cmp_o_f16_e32 vcc, v7, v7
	s_and_saveexec_b64 s[4:5], vcc
; %bb.314:
	v_cmp_lt_f16_e32 vcc, v4, v7
	v_cndmask_b32_e32 v7, v4, v7, vcc
; %bb.315:
	s_or_b64 exec, exec, s[4:5]
	v_mov_b32_e32 v3, v7
.LBB82_316:
	s_or_b64 exec, exec, s[2:3]
	v_and_b32_e32 v8, 0xffff, v3
.LBB82_317:
	s_or_b64 exec, exec, s[0:1]
	v_cmp_gt_u32_e32 vcc, 62, v5
	s_waitcnt lgkmcnt(0)
	v_cndmask_b32_e64 v7, 0, 2, vcc
	v_add_lshl_u32 v7, v7, v1, 2
	ds_bpermute_b32 v7, v7, v8
	v_add_u32_e32 v9, 2, v5
	v_cmp_lt_u32_e32 vcc, v9, v6
	s_and_saveexec_b64 s[0:1], vcc
	s_cbranch_execz .LBB82_323
; %bb.318:
	v_cmp_o_f16_e32 vcc, v3, v3
	s_and_saveexec_b64 s[2:3], vcc
	s_cbranch_execz .LBB82_322
; %bb.319:
	s_waitcnt lgkmcnt(0)
	v_cmp_o_f16_e32 vcc, v7, v7
	s_and_saveexec_b64 s[4:5], vcc
; %bb.320:
	v_cmp_lt_f16_e32 vcc, v3, v7
	v_cndmask_b32_e32 v7, v3, v7, vcc
; %bb.321:
	s_or_b64 exec, exec, s[4:5]
	v_mov_b32_e32 v3, v7
.LBB82_322:
	s_or_b64 exec, exec, s[2:3]
	v_and_b32_e32 v8, 0xffff, v3
.LBB82_323:
	s_or_b64 exec, exec, s[0:1]
	v_cmp_gt_u32_e32 vcc, 60, v5
	s_waitcnt lgkmcnt(0)
	v_cndmask_b32_e64 v7, 0, 4, vcc
	v_add_lshl_u32 v7, v7, v1, 2
	ds_bpermute_b32 v7, v7, v8
	v_add_u32_e32 v9, 4, v5
	v_cmp_lt_u32_e32 vcc, v9, v6
	s_and_saveexec_b64 s[0:1], vcc
	s_cbranch_execz .LBB82_329
; %bb.324:
	v_cmp_o_f16_e32 vcc, v3, v3
	s_and_saveexec_b64 s[2:3], vcc
	s_cbranch_execz .LBB82_328
; %bb.325:
	s_waitcnt lgkmcnt(0)
	v_cmp_o_f16_e32 vcc, v7, v7
	s_and_saveexec_b64 s[4:5], vcc
; %bb.326:
	v_cmp_lt_f16_e32 vcc, v3, v7
	v_cndmask_b32_e32 v7, v3, v7, vcc
; %bb.327:
	s_or_b64 exec, exec, s[4:5]
	v_mov_b32_e32 v3, v7
.LBB82_328:
	s_or_b64 exec, exec, s[2:3]
	v_and_b32_e32 v8, 0xffff, v3
.LBB82_329:
	;; [unrolled: 28-line block ×4, first 2 shown]
	s_or_b64 exec, exec, s[0:1]
	s_waitcnt lgkmcnt(0)
	v_lshlrev_b32_e32 v7, 2, v1
	v_or_b32_e32 v9, 0x80, v7
	ds_bpermute_b32 v8, v9, v8
	v_add_u32_e32 v5, 32, v5
	v_cmp_lt_u32_e32 vcc, v5, v6
	s_and_saveexec_b64 s[0:1], vcc
	s_cbranch_execz .LBB82_347
; %bb.342:
	v_cmp_o_f16_e32 vcc, v3, v3
	s_and_saveexec_b64 s[2:3], vcc
	s_cbranch_execz .LBB82_346
; %bb.343:
	s_waitcnt lgkmcnt(0)
	v_cmp_o_f16_e32 vcc, v8, v8
	s_and_saveexec_b64 s[4:5], vcc
; %bb.344:
	v_cmp_lt_f16_e32 vcc, v3, v8
	v_cndmask_b32_e32 v8, v3, v8, vcc
; %bb.345:
	s_or_b64 exec, exec, s[4:5]
	v_mov_b32_e32 v3, v8
.LBB82_346:
	s_or_b64 exec, exec, s[2:3]
.LBB82_347:
	s_or_b64 exec, exec, s[0:1]
	v_cmp_eq_u32_e32 vcc, 0, v1
	s_and_saveexec_b64 s[0:1], vcc
; %bb.348:
	v_lshlrev_b32_e32 v5, 1, v2
	ds_write_b16 v5, v3
; %bb.349:
	s_or_b64 exec, exec, s[0:1]
	v_cmp_gt_u32_e32 vcc, 4, v0
	s_waitcnt lgkmcnt(0)
	s_barrier
	s_and_saveexec_b64 s[0:1], vcc
	s_cbranch_execz .LBB82_363
; %bb.350:
	v_lshlrev_b32_e32 v3, 1, v1
	ds_read_u16 v3, v3
	v_and_b32_e32 v5, 3, v1
	v_cmp_ne_u32_e32 vcc, 3, v5
	v_addc_co_u32_e32 v6, vcc, 0, v1, vcc
	v_lshlrev_b32_e32 v6, 2, v6
	s_waitcnt lgkmcnt(0)
	v_and_b32_e32 v8, 0xffff, v3
	ds_bpermute_b32 v6, v6, v8
	s_add_i32 s12, s12, 63
	s_lshr_b32 s10, s12, 6
	v_add_u32_e32 v9, 1, v5
	v_cmp_gt_u32_e32 vcc, s10, v9
	s_and_saveexec_b64 s[2:3], vcc
	s_cbranch_execz .LBB82_356
; %bb.351:
	v_cmp_o_f16_e32 vcc, v3, v3
	s_and_saveexec_b64 s[4:5], vcc
	s_cbranch_execz .LBB82_355
; %bb.352:
	s_waitcnt lgkmcnt(0)
	v_cmp_o_f16_e32 vcc, v6, v6
	s_and_saveexec_b64 s[8:9], vcc
; %bb.353:
	v_cmp_lt_f16_e32 vcc, v3, v6
	v_cndmask_b32_e32 v6, v3, v6, vcc
; %bb.354:
	s_or_b64 exec, exec, s[8:9]
	v_mov_b32_e32 v3, v6
.LBB82_355:
	s_or_b64 exec, exec, s[4:5]
	v_and_b32_e32 v8, 0xffff, v3
.LBB82_356:
	s_or_b64 exec, exec, s[2:3]
	s_waitcnt lgkmcnt(0)
	v_or_b32_e32 v6, 8, v7
	ds_bpermute_b32 v6, v6, v8
	v_add_u32_e32 v5, 2, v5
	v_cmp_gt_u32_e32 vcc, s10, v5
	s_and_saveexec_b64 s[2:3], vcc
	s_cbranch_execz .LBB82_362
; %bb.357:
	v_cmp_o_f16_e32 vcc, v3, v3
	s_and_saveexec_b64 s[4:5], vcc
	s_cbranch_execz .LBB82_361
; %bb.358:
	s_waitcnt lgkmcnt(0)
	v_cmp_o_f16_e32 vcc, v6, v6
	s_and_saveexec_b64 s[8:9], vcc
; %bb.359:
	v_cmp_lt_f16_e32 vcc, v3, v6
	v_cndmask_b32_e32 v6, v3, v6, vcc
; %bb.360:
	s_or_b64 exec, exec, s[8:9]
	v_mov_b32_e32 v3, v6
.LBB82_361:
	s_or_b64 exec, exec, s[4:5]
.LBB82_362:
	s_or_b64 exec, exec, s[2:3]
.LBB82_363:
	s_or_b64 exec, exec, s[0:1]
	s_branch .LBB82_402
.LBB82_364:
                                        ; implicit-def: $vgpr3
	s_cbranch_execz .LBB82_402
; %bb.365:
	s_waitcnt vmcnt(0)
	v_and_b32_e32 v3, 0xffff, v4
	s_nop 1
	v_mov_b32_dpp v3, v3 quad_perm:[1,0,3,2] row_mask:0xf bank_mask:0xf bound_ctrl:1
	v_cmp_o_f16_e32 vcc, v3, v3
	s_and_saveexec_b64 s[0:1], vcc
	s_cbranch_execz .LBB82_369
; %bb.366:
	v_cmp_o_f16_e32 vcc, v4, v4
	s_and_saveexec_b64 s[2:3], vcc
; %bb.367:
	v_cmp_gt_f16_e32 vcc, v4, v3
	v_cndmask_b32_e32 v4, v3, v4, vcc
; %bb.368:
	s_or_b64 exec, exec, s[2:3]
	v_mov_b32_e32 v3, v4
.LBB82_369:
	s_or_b64 exec, exec, s[0:1]
	v_and_b32_e32 v4, 0xffff, v3
	s_nop 1
	v_mov_b32_dpp v4, v4 quad_perm:[2,3,0,1] row_mask:0xf bank_mask:0xf bound_ctrl:1
	v_cmp_o_f16_e32 vcc, v4, v4
	s_and_saveexec_b64 s[0:1], vcc
	s_cbranch_execz .LBB82_373
; %bb.370:
	v_cmp_o_f16_e32 vcc, v3, v3
	s_and_saveexec_b64 s[2:3], vcc
; %bb.371:
	v_cmp_gt_f16_e32 vcc, v3, v4
	v_cndmask_b32_e32 v3, v4, v3, vcc
; %bb.372:
	s_or_b64 exec, exec, s[2:3]
	v_mov_b32_e32 v4, v3
.LBB82_373:
	s_or_b64 exec, exec, s[0:1]
	v_and_b32_e32 v3, 0xffff, v4
	s_nop 1
	v_mov_b32_dpp v3, v3 row_ror:4 row_mask:0xf bank_mask:0xf bound_ctrl:1
	v_cmp_o_f16_e32 vcc, v3, v3
	s_and_saveexec_b64 s[0:1], vcc
	s_cbranch_execz .LBB82_377
; %bb.374:
	v_cmp_o_f16_e32 vcc, v4, v4
	s_and_saveexec_b64 s[2:3], vcc
; %bb.375:
	v_cmp_gt_f16_e32 vcc, v4, v3
	v_cndmask_b32_e32 v4, v3, v4, vcc
; %bb.376:
	s_or_b64 exec, exec, s[2:3]
	v_mov_b32_e32 v3, v4
.LBB82_377:
	s_or_b64 exec, exec, s[0:1]
	v_and_b32_e32 v4, 0xffff, v3
	s_nop 1
	v_mov_b32_dpp v4, v4 row_ror:8 row_mask:0xf bank_mask:0xf bound_ctrl:1
	v_cmp_o_f16_e32 vcc, v4, v4
	s_and_saveexec_b64 s[0:1], vcc
	s_cbranch_execz .LBB82_381
; %bb.378:
	v_cmp_o_f16_e32 vcc, v3, v3
	s_and_saveexec_b64 s[2:3], vcc
; %bb.379:
	v_cmp_gt_f16_e32 vcc, v3, v4
	v_cndmask_b32_e32 v3, v4, v3, vcc
; %bb.380:
	s_or_b64 exec, exec, s[2:3]
	v_mov_b32_e32 v4, v3
.LBB82_381:
	s_or_b64 exec, exec, s[0:1]
	v_and_b32_e32 v3, 0xffff, v4
	s_nop 1
	v_mov_b32_dpp v3, v3 row_bcast:15 row_mask:0xf bank_mask:0xf bound_ctrl:1
	v_cmp_o_f16_e32 vcc, v3, v3
	s_and_saveexec_b64 s[0:1], vcc
	s_cbranch_execz .LBB82_385
; %bb.382:
	v_cmp_o_f16_e32 vcc, v4, v4
	s_and_saveexec_b64 s[2:3], vcc
; %bb.383:
	v_cmp_gt_f16_e32 vcc, v4, v3
	v_cndmask_b32_e32 v4, v3, v4, vcc
; %bb.384:
	s_or_b64 exec, exec, s[2:3]
	v_mov_b32_e32 v3, v4
.LBB82_385:
	s_or_b64 exec, exec, s[0:1]
	v_and_b32_e32 v4, 0xffff, v3
	s_nop 1
	v_mov_b32_dpp v5, v4 row_bcast:31 row_mask:0xf bank_mask:0xf bound_ctrl:1
	v_cmp_o_f16_e32 vcc, v5, v5
	s_and_saveexec_b64 s[0:1], vcc
	s_cbranch_execz .LBB82_389
; %bb.386:
	v_cmp_o_f16_e32 vcc, v3, v3
	s_and_saveexec_b64 s[2:3], vcc
; %bb.387:
	v_cmp_gt_f16_e32 vcc, v3, v5
	v_cndmask_b32_e32 v3, v5, v3, vcc
; %bb.388:
	s_or_b64 exec, exec, s[2:3]
	v_mov_b32_e32 v5, v3
.LBB82_389:
	s_or_b64 exec, exec, s[0:1]
	v_lshlrev_b32_e32 v4, 2, v1
	v_or_b32_e32 v3, 0xfc, v4
	v_and_b32_e32 v5, 0xffff, v5
	ds_bpermute_b32 v3, v3, v5
	v_cmp_eq_u32_e32 vcc, 0, v1
	s_and_saveexec_b64 s[0:1], vcc
	s_cbranch_execz .LBB82_391
; %bb.390:
	v_lshlrev_b32_e32 v2, 1, v2
	s_waitcnt lgkmcnt(0)
	ds_write_b16 v2, v3
.LBB82_391:
	s_or_b64 exec, exec, s[0:1]
	v_cmp_gt_u32_e32 vcc, 64, v0
	s_waitcnt lgkmcnt(0)
	s_barrier
	s_and_saveexec_b64 s[0:1], vcc
	s_cbranch_execz .LBB82_401
; %bb.392:
	v_and_b32_e32 v2, 3, v1
	v_lshlrev_b32_e32 v3, 1, v2
	ds_read_u16 v3, v3
	v_cmp_ne_u32_e32 vcc, 3, v2
	v_addc_co_u32_e32 v1, vcc, 0, v1, vcc
	v_lshlrev_b32_e32 v1, 2, v1
	s_waitcnt lgkmcnt(0)
	v_and_b32_e32 v2, 0xffff, v3
	ds_bpermute_b32 v1, v1, v2
	v_cmp_o_f16_e32 vcc, v3, v3
	s_and_saveexec_b64 s[2:3], vcc
	s_cbranch_execz .LBB82_396
; %bb.393:
	s_waitcnt lgkmcnt(0)
	v_cmp_o_f16_e32 vcc, v1, v1
	s_and_saveexec_b64 s[4:5], vcc
; %bb.394:
	v_cmp_lt_f16_e32 vcc, v3, v1
	v_cndmask_b32_e32 v1, v3, v1, vcc
; %bb.395:
	s_or_b64 exec, exec, s[4:5]
	v_mov_b32_e32 v3, v1
.LBB82_396:
	s_or_b64 exec, exec, s[2:3]
	s_waitcnt lgkmcnt(0)
	v_or_b32_e32 v1, 8, v4
	v_and_b32_e32 v2, 0xffff, v3
	ds_bpermute_b32 v1, v1, v2
	v_cmp_o_f16_e32 vcc, v3, v3
	s_and_saveexec_b64 s[2:3], vcc
	s_cbranch_execz .LBB82_400
; %bb.397:
	s_waitcnt lgkmcnt(0)
	v_cmp_o_f16_e32 vcc, v1, v1
	s_and_saveexec_b64 s[4:5], vcc
; %bb.398:
	v_cmp_lt_f16_e32 vcc, v3, v1
	v_cndmask_b32_e32 v1, v3, v1, vcc
; %bb.399:
	s_or_b64 exec, exec, s[4:5]
	v_mov_b32_e32 v3, v1
.LBB82_400:
	s_or_b64 exec, exec, s[2:3]
.LBB82_401:
	s_or_b64 exec, exec, s[0:1]
.LBB82_402:
	v_cmp_eq_u32_e32 vcc, 0, v0
                                        ; implicit-def: $vgpr1
	s_and_saveexec_b64 s[0:1], vcc
	s_cbranch_execz .LBB82_408
; %bb.403:
	v_cmp_u_f16_e64 s[2:3], s33, s33
	s_and_b64 vcc, exec, s[2:3]
	s_waitcnt lgkmcnt(0)
	v_mov_b32_e32 v1, s33
	s_cbranch_vccnz .LBB82_407
; %bb.404:
	v_cmp_o_f16_e32 vcc, v3, v3
	s_and_saveexec_b64 s[2:3], vcc
; %bb.405:
	v_mov_b32_e32 v0, s33
	v_cmp_lt_f16_e32 vcc, s33, v3
	v_cndmask_b32_e32 v3, v0, v3, vcc
; %bb.406:
	s_or_b64 exec, exec, s[2:3]
	v_mov_b32_e32 v1, v3
.LBB82_407:
	s_or_b64 s[34:35], s[34:35], exec
.LBB82_408:
	s_or_b64 exec, exec, s[0:1]
	s_and_saveexec_b64 s[0:1], s[34:35]
	s_cbranch_execz .LBB82_410
.LBB82_409:
	s_lshl_b64 s[0:1], s[40:41], 1
	s_add_u32 s2, s38, s0
	s_addc_u32 s3, s39, s1
	s_lshl_b64 s[0:1], s[6:7], 1
	s_add_u32 s0, s2, s0
	s_addc_u32 s1, s3, s1
	v_mov_b32_e32 v0, 0
	s_waitcnt lgkmcnt(0)
	global_store_short v0, v1, s[0:1]
.LBB82_410:
	s_endpgm
	.section	.rodata,"a",@progbits
	.p2align	6, 0x0
	.amdhsa_kernel _ZN7rocprim17ROCPRIM_400000_NS6detail17trampoline_kernelINS0_14default_configENS1_32segmented_reduce_config_selectorIN3c104HalfEEEZNS1_21segmented_reduce_implIS3_PKS6_PS6_PKiS6_N6hipcub16HIPCUB_304000_NS6detail27convert_result_type_wrapperISA_SB_N2at6native12_GLOBAL__N_19CustomMaxEEEEE10hipError_tPvRmT0_T1_jT2_SS_T4_T3_P12ihipStream_tbEUlT_E_NS1_11comp_targetILNS1_3genE2ELNS1_11target_archE906ELNS1_3gpuE6ELNS1_3repE0EEENS1_30default_config_static_selectorELNS0_4arch9wavefront6targetE1EEEvSR_
		.amdhsa_group_segment_fixed_size 8
		.amdhsa_private_segment_fixed_size 0
		.amdhsa_kernarg_size 48
		.amdhsa_user_sgpr_count 6
		.amdhsa_user_sgpr_private_segment_buffer 1
		.amdhsa_user_sgpr_dispatch_ptr 0
		.amdhsa_user_sgpr_queue_ptr 0
		.amdhsa_user_sgpr_kernarg_segment_ptr 1
		.amdhsa_user_sgpr_dispatch_id 0
		.amdhsa_user_sgpr_flat_scratch_init 0
		.amdhsa_user_sgpr_private_segment_size 0
		.amdhsa_uses_dynamic_stack 0
		.amdhsa_system_sgpr_private_segment_wavefront_offset 0
		.amdhsa_system_sgpr_workgroup_id_x 1
		.amdhsa_system_sgpr_workgroup_id_y 0
		.amdhsa_system_sgpr_workgroup_id_z 0
		.amdhsa_system_sgpr_workgroup_info 0
		.amdhsa_system_vgpr_workitem_id 0
		.amdhsa_next_free_vgpr 23
		.amdhsa_next_free_sgpr 51
		.amdhsa_reserve_vcc 1
		.amdhsa_reserve_flat_scratch 0
		.amdhsa_float_round_mode_32 0
		.amdhsa_float_round_mode_16_64 0
		.amdhsa_float_denorm_mode_32 3
		.amdhsa_float_denorm_mode_16_64 3
		.amdhsa_dx10_clamp 1
		.amdhsa_ieee_mode 1
		.amdhsa_fp16_overflow 0
		.amdhsa_exception_fp_ieee_invalid_op 0
		.amdhsa_exception_fp_denorm_src 0
		.amdhsa_exception_fp_ieee_div_zero 0
		.amdhsa_exception_fp_ieee_overflow 0
		.amdhsa_exception_fp_ieee_underflow 0
		.amdhsa_exception_fp_ieee_inexact 0
		.amdhsa_exception_int_div_zero 0
	.end_amdhsa_kernel
	.section	.text._ZN7rocprim17ROCPRIM_400000_NS6detail17trampoline_kernelINS0_14default_configENS1_32segmented_reduce_config_selectorIN3c104HalfEEEZNS1_21segmented_reduce_implIS3_PKS6_PS6_PKiS6_N6hipcub16HIPCUB_304000_NS6detail27convert_result_type_wrapperISA_SB_N2at6native12_GLOBAL__N_19CustomMaxEEEEE10hipError_tPvRmT0_T1_jT2_SS_T4_T3_P12ihipStream_tbEUlT_E_NS1_11comp_targetILNS1_3genE2ELNS1_11target_archE906ELNS1_3gpuE6ELNS1_3repE0EEENS1_30default_config_static_selectorELNS0_4arch9wavefront6targetE1EEEvSR_,"axG",@progbits,_ZN7rocprim17ROCPRIM_400000_NS6detail17trampoline_kernelINS0_14default_configENS1_32segmented_reduce_config_selectorIN3c104HalfEEEZNS1_21segmented_reduce_implIS3_PKS6_PS6_PKiS6_N6hipcub16HIPCUB_304000_NS6detail27convert_result_type_wrapperISA_SB_N2at6native12_GLOBAL__N_19CustomMaxEEEEE10hipError_tPvRmT0_T1_jT2_SS_T4_T3_P12ihipStream_tbEUlT_E_NS1_11comp_targetILNS1_3genE2ELNS1_11target_archE906ELNS1_3gpuE6ELNS1_3repE0EEENS1_30default_config_static_selectorELNS0_4arch9wavefront6targetE1EEEvSR_,comdat
.Lfunc_end82:
	.size	_ZN7rocprim17ROCPRIM_400000_NS6detail17trampoline_kernelINS0_14default_configENS1_32segmented_reduce_config_selectorIN3c104HalfEEEZNS1_21segmented_reduce_implIS3_PKS6_PS6_PKiS6_N6hipcub16HIPCUB_304000_NS6detail27convert_result_type_wrapperISA_SB_N2at6native12_GLOBAL__N_19CustomMaxEEEEE10hipError_tPvRmT0_T1_jT2_SS_T4_T3_P12ihipStream_tbEUlT_E_NS1_11comp_targetILNS1_3genE2ELNS1_11target_archE906ELNS1_3gpuE6ELNS1_3repE0EEENS1_30default_config_static_selectorELNS0_4arch9wavefront6targetE1EEEvSR_, .Lfunc_end82-_ZN7rocprim17ROCPRIM_400000_NS6detail17trampoline_kernelINS0_14default_configENS1_32segmented_reduce_config_selectorIN3c104HalfEEEZNS1_21segmented_reduce_implIS3_PKS6_PS6_PKiS6_N6hipcub16HIPCUB_304000_NS6detail27convert_result_type_wrapperISA_SB_N2at6native12_GLOBAL__N_19CustomMaxEEEEE10hipError_tPvRmT0_T1_jT2_SS_T4_T3_P12ihipStream_tbEUlT_E_NS1_11comp_targetILNS1_3genE2ELNS1_11target_archE906ELNS1_3gpuE6ELNS1_3repE0EEENS1_30default_config_static_selectorELNS0_4arch9wavefront6targetE1EEEvSR_
                                        ; -- End function
	.set _ZN7rocprim17ROCPRIM_400000_NS6detail17trampoline_kernelINS0_14default_configENS1_32segmented_reduce_config_selectorIN3c104HalfEEEZNS1_21segmented_reduce_implIS3_PKS6_PS6_PKiS6_N6hipcub16HIPCUB_304000_NS6detail27convert_result_type_wrapperISA_SB_N2at6native12_GLOBAL__N_19CustomMaxEEEEE10hipError_tPvRmT0_T1_jT2_SS_T4_T3_P12ihipStream_tbEUlT_E_NS1_11comp_targetILNS1_3genE2ELNS1_11target_archE906ELNS1_3gpuE6ELNS1_3repE0EEENS1_30default_config_static_selectorELNS0_4arch9wavefront6targetE1EEEvSR_.num_vgpr, 23
	.set _ZN7rocprim17ROCPRIM_400000_NS6detail17trampoline_kernelINS0_14default_configENS1_32segmented_reduce_config_selectorIN3c104HalfEEEZNS1_21segmented_reduce_implIS3_PKS6_PS6_PKiS6_N6hipcub16HIPCUB_304000_NS6detail27convert_result_type_wrapperISA_SB_N2at6native12_GLOBAL__N_19CustomMaxEEEEE10hipError_tPvRmT0_T1_jT2_SS_T4_T3_P12ihipStream_tbEUlT_E_NS1_11comp_targetILNS1_3genE2ELNS1_11target_archE906ELNS1_3gpuE6ELNS1_3repE0EEENS1_30default_config_static_selectorELNS0_4arch9wavefront6targetE1EEEvSR_.num_agpr, 0
	.set _ZN7rocprim17ROCPRIM_400000_NS6detail17trampoline_kernelINS0_14default_configENS1_32segmented_reduce_config_selectorIN3c104HalfEEEZNS1_21segmented_reduce_implIS3_PKS6_PS6_PKiS6_N6hipcub16HIPCUB_304000_NS6detail27convert_result_type_wrapperISA_SB_N2at6native12_GLOBAL__N_19CustomMaxEEEEE10hipError_tPvRmT0_T1_jT2_SS_T4_T3_P12ihipStream_tbEUlT_E_NS1_11comp_targetILNS1_3genE2ELNS1_11target_archE906ELNS1_3gpuE6ELNS1_3repE0EEENS1_30default_config_static_selectorELNS0_4arch9wavefront6targetE1EEEvSR_.numbered_sgpr, 51
	.set _ZN7rocprim17ROCPRIM_400000_NS6detail17trampoline_kernelINS0_14default_configENS1_32segmented_reduce_config_selectorIN3c104HalfEEEZNS1_21segmented_reduce_implIS3_PKS6_PS6_PKiS6_N6hipcub16HIPCUB_304000_NS6detail27convert_result_type_wrapperISA_SB_N2at6native12_GLOBAL__N_19CustomMaxEEEEE10hipError_tPvRmT0_T1_jT2_SS_T4_T3_P12ihipStream_tbEUlT_E_NS1_11comp_targetILNS1_3genE2ELNS1_11target_archE906ELNS1_3gpuE6ELNS1_3repE0EEENS1_30default_config_static_selectorELNS0_4arch9wavefront6targetE1EEEvSR_.num_named_barrier, 0
	.set _ZN7rocprim17ROCPRIM_400000_NS6detail17trampoline_kernelINS0_14default_configENS1_32segmented_reduce_config_selectorIN3c104HalfEEEZNS1_21segmented_reduce_implIS3_PKS6_PS6_PKiS6_N6hipcub16HIPCUB_304000_NS6detail27convert_result_type_wrapperISA_SB_N2at6native12_GLOBAL__N_19CustomMaxEEEEE10hipError_tPvRmT0_T1_jT2_SS_T4_T3_P12ihipStream_tbEUlT_E_NS1_11comp_targetILNS1_3genE2ELNS1_11target_archE906ELNS1_3gpuE6ELNS1_3repE0EEENS1_30default_config_static_selectorELNS0_4arch9wavefront6targetE1EEEvSR_.private_seg_size, 0
	.set _ZN7rocprim17ROCPRIM_400000_NS6detail17trampoline_kernelINS0_14default_configENS1_32segmented_reduce_config_selectorIN3c104HalfEEEZNS1_21segmented_reduce_implIS3_PKS6_PS6_PKiS6_N6hipcub16HIPCUB_304000_NS6detail27convert_result_type_wrapperISA_SB_N2at6native12_GLOBAL__N_19CustomMaxEEEEE10hipError_tPvRmT0_T1_jT2_SS_T4_T3_P12ihipStream_tbEUlT_E_NS1_11comp_targetILNS1_3genE2ELNS1_11target_archE906ELNS1_3gpuE6ELNS1_3repE0EEENS1_30default_config_static_selectorELNS0_4arch9wavefront6targetE1EEEvSR_.uses_vcc, 1
	.set _ZN7rocprim17ROCPRIM_400000_NS6detail17trampoline_kernelINS0_14default_configENS1_32segmented_reduce_config_selectorIN3c104HalfEEEZNS1_21segmented_reduce_implIS3_PKS6_PS6_PKiS6_N6hipcub16HIPCUB_304000_NS6detail27convert_result_type_wrapperISA_SB_N2at6native12_GLOBAL__N_19CustomMaxEEEEE10hipError_tPvRmT0_T1_jT2_SS_T4_T3_P12ihipStream_tbEUlT_E_NS1_11comp_targetILNS1_3genE2ELNS1_11target_archE906ELNS1_3gpuE6ELNS1_3repE0EEENS1_30default_config_static_selectorELNS0_4arch9wavefront6targetE1EEEvSR_.uses_flat_scratch, 0
	.set _ZN7rocprim17ROCPRIM_400000_NS6detail17trampoline_kernelINS0_14default_configENS1_32segmented_reduce_config_selectorIN3c104HalfEEEZNS1_21segmented_reduce_implIS3_PKS6_PS6_PKiS6_N6hipcub16HIPCUB_304000_NS6detail27convert_result_type_wrapperISA_SB_N2at6native12_GLOBAL__N_19CustomMaxEEEEE10hipError_tPvRmT0_T1_jT2_SS_T4_T3_P12ihipStream_tbEUlT_E_NS1_11comp_targetILNS1_3genE2ELNS1_11target_archE906ELNS1_3gpuE6ELNS1_3repE0EEENS1_30default_config_static_selectorELNS0_4arch9wavefront6targetE1EEEvSR_.has_dyn_sized_stack, 0
	.set _ZN7rocprim17ROCPRIM_400000_NS6detail17trampoline_kernelINS0_14default_configENS1_32segmented_reduce_config_selectorIN3c104HalfEEEZNS1_21segmented_reduce_implIS3_PKS6_PS6_PKiS6_N6hipcub16HIPCUB_304000_NS6detail27convert_result_type_wrapperISA_SB_N2at6native12_GLOBAL__N_19CustomMaxEEEEE10hipError_tPvRmT0_T1_jT2_SS_T4_T3_P12ihipStream_tbEUlT_E_NS1_11comp_targetILNS1_3genE2ELNS1_11target_archE906ELNS1_3gpuE6ELNS1_3repE0EEENS1_30default_config_static_selectorELNS0_4arch9wavefront6targetE1EEEvSR_.has_recursion, 0
	.set _ZN7rocprim17ROCPRIM_400000_NS6detail17trampoline_kernelINS0_14default_configENS1_32segmented_reduce_config_selectorIN3c104HalfEEEZNS1_21segmented_reduce_implIS3_PKS6_PS6_PKiS6_N6hipcub16HIPCUB_304000_NS6detail27convert_result_type_wrapperISA_SB_N2at6native12_GLOBAL__N_19CustomMaxEEEEE10hipError_tPvRmT0_T1_jT2_SS_T4_T3_P12ihipStream_tbEUlT_E_NS1_11comp_targetILNS1_3genE2ELNS1_11target_archE906ELNS1_3gpuE6ELNS1_3repE0EEENS1_30default_config_static_selectorELNS0_4arch9wavefront6targetE1EEEvSR_.has_indirect_call, 0
	.section	.AMDGPU.csdata,"",@progbits
; Kernel info:
; codeLenInByte = 7092
; TotalNumSgprs: 55
; NumVgprs: 23
; ScratchSize: 0
; MemoryBound: 0
; FloatMode: 240
; IeeeMode: 1
; LDSByteSize: 8 bytes/workgroup (compile time only)
; SGPRBlocks: 6
; VGPRBlocks: 5
; NumSGPRsForWavesPerEU: 55
; NumVGPRsForWavesPerEU: 23
; Occupancy: 10
; WaveLimiterHint : 1
; COMPUTE_PGM_RSRC2:SCRATCH_EN: 0
; COMPUTE_PGM_RSRC2:USER_SGPR: 6
; COMPUTE_PGM_RSRC2:TRAP_HANDLER: 0
; COMPUTE_PGM_RSRC2:TGID_X_EN: 1
; COMPUTE_PGM_RSRC2:TGID_Y_EN: 0
; COMPUTE_PGM_RSRC2:TGID_Z_EN: 0
; COMPUTE_PGM_RSRC2:TIDIG_COMP_CNT: 0
	.section	.text._ZN7rocprim17ROCPRIM_400000_NS6detail17trampoline_kernelINS0_14default_configENS1_32segmented_reduce_config_selectorIN3c104HalfEEEZNS1_21segmented_reduce_implIS3_PKS6_PS6_PKiS6_N6hipcub16HIPCUB_304000_NS6detail27convert_result_type_wrapperISA_SB_N2at6native12_GLOBAL__N_19CustomMaxEEEEE10hipError_tPvRmT0_T1_jT2_SS_T4_T3_P12ihipStream_tbEUlT_E_NS1_11comp_targetILNS1_3genE9ELNS1_11target_archE1100ELNS1_3gpuE3ELNS1_3repE0EEENS1_30default_config_static_selectorELNS0_4arch9wavefront6targetE1EEEvSR_,"axG",@progbits,_ZN7rocprim17ROCPRIM_400000_NS6detail17trampoline_kernelINS0_14default_configENS1_32segmented_reduce_config_selectorIN3c104HalfEEEZNS1_21segmented_reduce_implIS3_PKS6_PS6_PKiS6_N6hipcub16HIPCUB_304000_NS6detail27convert_result_type_wrapperISA_SB_N2at6native12_GLOBAL__N_19CustomMaxEEEEE10hipError_tPvRmT0_T1_jT2_SS_T4_T3_P12ihipStream_tbEUlT_E_NS1_11comp_targetILNS1_3genE9ELNS1_11target_archE1100ELNS1_3gpuE3ELNS1_3repE0EEENS1_30default_config_static_selectorELNS0_4arch9wavefront6targetE1EEEvSR_,comdat
	.globl	_ZN7rocprim17ROCPRIM_400000_NS6detail17trampoline_kernelINS0_14default_configENS1_32segmented_reduce_config_selectorIN3c104HalfEEEZNS1_21segmented_reduce_implIS3_PKS6_PS6_PKiS6_N6hipcub16HIPCUB_304000_NS6detail27convert_result_type_wrapperISA_SB_N2at6native12_GLOBAL__N_19CustomMaxEEEEE10hipError_tPvRmT0_T1_jT2_SS_T4_T3_P12ihipStream_tbEUlT_E_NS1_11comp_targetILNS1_3genE9ELNS1_11target_archE1100ELNS1_3gpuE3ELNS1_3repE0EEENS1_30default_config_static_selectorELNS0_4arch9wavefront6targetE1EEEvSR_ ; -- Begin function _ZN7rocprim17ROCPRIM_400000_NS6detail17trampoline_kernelINS0_14default_configENS1_32segmented_reduce_config_selectorIN3c104HalfEEEZNS1_21segmented_reduce_implIS3_PKS6_PS6_PKiS6_N6hipcub16HIPCUB_304000_NS6detail27convert_result_type_wrapperISA_SB_N2at6native12_GLOBAL__N_19CustomMaxEEEEE10hipError_tPvRmT0_T1_jT2_SS_T4_T3_P12ihipStream_tbEUlT_E_NS1_11comp_targetILNS1_3genE9ELNS1_11target_archE1100ELNS1_3gpuE3ELNS1_3repE0EEENS1_30default_config_static_selectorELNS0_4arch9wavefront6targetE1EEEvSR_
	.p2align	8
	.type	_ZN7rocprim17ROCPRIM_400000_NS6detail17trampoline_kernelINS0_14default_configENS1_32segmented_reduce_config_selectorIN3c104HalfEEEZNS1_21segmented_reduce_implIS3_PKS6_PS6_PKiS6_N6hipcub16HIPCUB_304000_NS6detail27convert_result_type_wrapperISA_SB_N2at6native12_GLOBAL__N_19CustomMaxEEEEE10hipError_tPvRmT0_T1_jT2_SS_T4_T3_P12ihipStream_tbEUlT_E_NS1_11comp_targetILNS1_3genE9ELNS1_11target_archE1100ELNS1_3gpuE3ELNS1_3repE0EEENS1_30default_config_static_selectorELNS0_4arch9wavefront6targetE1EEEvSR_,@function
_ZN7rocprim17ROCPRIM_400000_NS6detail17trampoline_kernelINS0_14default_configENS1_32segmented_reduce_config_selectorIN3c104HalfEEEZNS1_21segmented_reduce_implIS3_PKS6_PS6_PKiS6_N6hipcub16HIPCUB_304000_NS6detail27convert_result_type_wrapperISA_SB_N2at6native12_GLOBAL__N_19CustomMaxEEEEE10hipError_tPvRmT0_T1_jT2_SS_T4_T3_P12ihipStream_tbEUlT_E_NS1_11comp_targetILNS1_3genE9ELNS1_11target_archE1100ELNS1_3gpuE3ELNS1_3repE0EEENS1_30default_config_static_selectorELNS0_4arch9wavefront6targetE1EEEvSR_: ; @_ZN7rocprim17ROCPRIM_400000_NS6detail17trampoline_kernelINS0_14default_configENS1_32segmented_reduce_config_selectorIN3c104HalfEEEZNS1_21segmented_reduce_implIS3_PKS6_PS6_PKiS6_N6hipcub16HIPCUB_304000_NS6detail27convert_result_type_wrapperISA_SB_N2at6native12_GLOBAL__N_19CustomMaxEEEEE10hipError_tPvRmT0_T1_jT2_SS_T4_T3_P12ihipStream_tbEUlT_E_NS1_11comp_targetILNS1_3genE9ELNS1_11target_archE1100ELNS1_3gpuE3ELNS1_3repE0EEENS1_30default_config_static_selectorELNS0_4arch9wavefront6targetE1EEEvSR_
; %bb.0:
	.section	.rodata,"a",@progbits
	.p2align	6, 0x0
	.amdhsa_kernel _ZN7rocprim17ROCPRIM_400000_NS6detail17trampoline_kernelINS0_14default_configENS1_32segmented_reduce_config_selectorIN3c104HalfEEEZNS1_21segmented_reduce_implIS3_PKS6_PS6_PKiS6_N6hipcub16HIPCUB_304000_NS6detail27convert_result_type_wrapperISA_SB_N2at6native12_GLOBAL__N_19CustomMaxEEEEE10hipError_tPvRmT0_T1_jT2_SS_T4_T3_P12ihipStream_tbEUlT_E_NS1_11comp_targetILNS1_3genE9ELNS1_11target_archE1100ELNS1_3gpuE3ELNS1_3repE0EEENS1_30default_config_static_selectorELNS0_4arch9wavefront6targetE1EEEvSR_
		.amdhsa_group_segment_fixed_size 0
		.amdhsa_private_segment_fixed_size 0
		.amdhsa_kernarg_size 48
		.amdhsa_user_sgpr_count 6
		.amdhsa_user_sgpr_private_segment_buffer 1
		.amdhsa_user_sgpr_dispatch_ptr 0
		.amdhsa_user_sgpr_queue_ptr 0
		.amdhsa_user_sgpr_kernarg_segment_ptr 1
		.amdhsa_user_sgpr_dispatch_id 0
		.amdhsa_user_sgpr_flat_scratch_init 0
		.amdhsa_user_sgpr_private_segment_size 0
		.amdhsa_uses_dynamic_stack 0
		.amdhsa_system_sgpr_private_segment_wavefront_offset 0
		.amdhsa_system_sgpr_workgroup_id_x 1
		.amdhsa_system_sgpr_workgroup_id_y 0
		.amdhsa_system_sgpr_workgroup_id_z 0
		.amdhsa_system_sgpr_workgroup_info 0
		.amdhsa_system_vgpr_workitem_id 0
		.amdhsa_next_free_vgpr 1
		.amdhsa_next_free_sgpr 0
		.amdhsa_reserve_vcc 0
		.amdhsa_reserve_flat_scratch 0
		.amdhsa_float_round_mode_32 0
		.amdhsa_float_round_mode_16_64 0
		.amdhsa_float_denorm_mode_32 3
		.amdhsa_float_denorm_mode_16_64 3
		.amdhsa_dx10_clamp 1
		.amdhsa_ieee_mode 1
		.amdhsa_fp16_overflow 0
		.amdhsa_exception_fp_ieee_invalid_op 0
		.amdhsa_exception_fp_denorm_src 0
		.amdhsa_exception_fp_ieee_div_zero 0
		.amdhsa_exception_fp_ieee_overflow 0
		.amdhsa_exception_fp_ieee_underflow 0
		.amdhsa_exception_fp_ieee_inexact 0
		.amdhsa_exception_int_div_zero 0
	.end_amdhsa_kernel
	.section	.text._ZN7rocprim17ROCPRIM_400000_NS6detail17trampoline_kernelINS0_14default_configENS1_32segmented_reduce_config_selectorIN3c104HalfEEEZNS1_21segmented_reduce_implIS3_PKS6_PS6_PKiS6_N6hipcub16HIPCUB_304000_NS6detail27convert_result_type_wrapperISA_SB_N2at6native12_GLOBAL__N_19CustomMaxEEEEE10hipError_tPvRmT0_T1_jT2_SS_T4_T3_P12ihipStream_tbEUlT_E_NS1_11comp_targetILNS1_3genE9ELNS1_11target_archE1100ELNS1_3gpuE3ELNS1_3repE0EEENS1_30default_config_static_selectorELNS0_4arch9wavefront6targetE1EEEvSR_,"axG",@progbits,_ZN7rocprim17ROCPRIM_400000_NS6detail17trampoline_kernelINS0_14default_configENS1_32segmented_reduce_config_selectorIN3c104HalfEEEZNS1_21segmented_reduce_implIS3_PKS6_PS6_PKiS6_N6hipcub16HIPCUB_304000_NS6detail27convert_result_type_wrapperISA_SB_N2at6native12_GLOBAL__N_19CustomMaxEEEEE10hipError_tPvRmT0_T1_jT2_SS_T4_T3_P12ihipStream_tbEUlT_E_NS1_11comp_targetILNS1_3genE9ELNS1_11target_archE1100ELNS1_3gpuE3ELNS1_3repE0EEENS1_30default_config_static_selectorELNS0_4arch9wavefront6targetE1EEEvSR_,comdat
.Lfunc_end83:
	.size	_ZN7rocprim17ROCPRIM_400000_NS6detail17trampoline_kernelINS0_14default_configENS1_32segmented_reduce_config_selectorIN3c104HalfEEEZNS1_21segmented_reduce_implIS3_PKS6_PS6_PKiS6_N6hipcub16HIPCUB_304000_NS6detail27convert_result_type_wrapperISA_SB_N2at6native12_GLOBAL__N_19CustomMaxEEEEE10hipError_tPvRmT0_T1_jT2_SS_T4_T3_P12ihipStream_tbEUlT_E_NS1_11comp_targetILNS1_3genE9ELNS1_11target_archE1100ELNS1_3gpuE3ELNS1_3repE0EEENS1_30default_config_static_selectorELNS0_4arch9wavefront6targetE1EEEvSR_, .Lfunc_end83-_ZN7rocprim17ROCPRIM_400000_NS6detail17trampoline_kernelINS0_14default_configENS1_32segmented_reduce_config_selectorIN3c104HalfEEEZNS1_21segmented_reduce_implIS3_PKS6_PS6_PKiS6_N6hipcub16HIPCUB_304000_NS6detail27convert_result_type_wrapperISA_SB_N2at6native12_GLOBAL__N_19CustomMaxEEEEE10hipError_tPvRmT0_T1_jT2_SS_T4_T3_P12ihipStream_tbEUlT_E_NS1_11comp_targetILNS1_3genE9ELNS1_11target_archE1100ELNS1_3gpuE3ELNS1_3repE0EEENS1_30default_config_static_selectorELNS0_4arch9wavefront6targetE1EEEvSR_
                                        ; -- End function
	.set _ZN7rocprim17ROCPRIM_400000_NS6detail17trampoline_kernelINS0_14default_configENS1_32segmented_reduce_config_selectorIN3c104HalfEEEZNS1_21segmented_reduce_implIS3_PKS6_PS6_PKiS6_N6hipcub16HIPCUB_304000_NS6detail27convert_result_type_wrapperISA_SB_N2at6native12_GLOBAL__N_19CustomMaxEEEEE10hipError_tPvRmT0_T1_jT2_SS_T4_T3_P12ihipStream_tbEUlT_E_NS1_11comp_targetILNS1_3genE9ELNS1_11target_archE1100ELNS1_3gpuE3ELNS1_3repE0EEENS1_30default_config_static_selectorELNS0_4arch9wavefront6targetE1EEEvSR_.num_vgpr, 0
	.set _ZN7rocprim17ROCPRIM_400000_NS6detail17trampoline_kernelINS0_14default_configENS1_32segmented_reduce_config_selectorIN3c104HalfEEEZNS1_21segmented_reduce_implIS3_PKS6_PS6_PKiS6_N6hipcub16HIPCUB_304000_NS6detail27convert_result_type_wrapperISA_SB_N2at6native12_GLOBAL__N_19CustomMaxEEEEE10hipError_tPvRmT0_T1_jT2_SS_T4_T3_P12ihipStream_tbEUlT_E_NS1_11comp_targetILNS1_3genE9ELNS1_11target_archE1100ELNS1_3gpuE3ELNS1_3repE0EEENS1_30default_config_static_selectorELNS0_4arch9wavefront6targetE1EEEvSR_.num_agpr, 0
	.set _ZN7rocprim17ROCPRIM_400000_NS6detail17trampoline_kernelINS0_14default_configENS1_32segmented_reduce_config_selectorIN3c104HalfEEEZNS1_21segmented_reduce_implIS3_PKS6_PS6_PKiS6_N6hipcub16HIPCUB_304000_NS6detail27convert_result_type_wrapperISA_SB_N2at6native12_GLOBAL__N_19CustomMaxEEEEE10hipError_tPvRmT0_T1_jT2_SS_T4_T3_P12ihipStream_tbEUlT_E_NS1_11comp_targetILNS1_3genE9ELNS1_11target_archE1100ELNS1_3gpuE3ELNS1_3repE0EEENS1_30default_config_static_selectorELNS0_4arch9wavefront6targetE1EEEvSR_.numbered_sgpr, 0
	.set _ZN7rocprim17ROCPRIM_400000_NS6detail17trampoline_kernelINS0_14default_configENS1_32segmented_reduce_config_selectorIN3c104HalfEEEZNS1_21segmented_reduce_implIS3_PKS6_PS6_PKiS6_N6hipcub16HIPCUB_304000_NS6detail27convert_result_type_wrapperISA_SB_N2at6native12_GLOBAL__N_19CustomMaxEEEEE10hipError_tPvRmT0_T1_jT2_SS_T4_T3_P12ihipStream_tbEUlT_E_NS1_11comp_targetILNS1_3genE9ELNS1_11target_archE1100ELNS1_3gpuE3ELNS1_3repE0EEENS1_30default_config_static_selectorELNS0_4arch9wavefront6targetE1EEEvSR_.num_named_barrier, 0
	.set _ZN7rocprim17ROCPRIM_400000_NS6detail17trampoline_kernelINS0_14default_configENS1_32segmented_reduce_config_selectorIN3c104HalfEEEZNS1_21segmented_reduce_implIS3_PKS6_PS6_PKiS6_N6hipcub16HIPCUB_304000_NS6detail27convert_result_type_wrapperISA_SB_N2at6native12_GLOBAL__N_19CustomMaxEEEEE10hipError_tPvRmT0_T1_jT2_SS_T4_T3_P12ihipStream_tbEUlT_E_NS1_11comp_targetILNS1_3genE9ELNS1_11target_archE1100ELNS1_3gpuE3ELNS1_3repE0EEENS1_30default_config_static_selectorELNS0_4arch9wavefront6targetE1EEEvSR_.private_seg_size, 0
	.set _ZN7rocprim17ROCPRIM_400000_NS6detail17trampoline_kernelINS0_14default_configENS1_32segmented_reduce_config_selectorIN3c104HalfEEEZNS1_21segmented_reduce_implIS3_PKS6_PS6_PKiS6_N6hipcub16HIPCUB_304000_NS6detail27convert_result_type_wrapperISA_SB_N2at6native12_GLOBAL__N_19CustomMaxEEEEE10hipError_tPvRmT0_T1_jT2_SS_T4_T3_P12ihipStream_tbEUlT_E_NS1_11comp_targetILNS1_3genE9ELNS1_11target_archE1100ELNS1_3gpuE3ELNS1_3repE0EEENS1_30default_config_static_selectorELNS0_4arch9wavefront6targetE1EEEvSR_.uses_vcc, 0
	.set _ZN7rocprim17ROCPRIM_400000_NS6detail17trampoline_kernelINS0_14default_configENS1_32segmented_reduce_config_selectorIN3c104HalfEEEZNS1_21segmented_reduce_implIS3_PKS6_PS6_PKiS6_N6hipcub16HIPCUB_304000_NS6detail27convert_result_type_wrapperISA_SB_N2at6native12_GLOBAL__N_19CustomMaxEEEEE10hipError_tPvRmT0_T1_jT2_SS_T4_T3_P12ihipStream_tbEUlT_E_NS1_11comp_targetILNS1_3genE9ELNS1_11target_archE1100ELNS1_3gpuE3ELNS1_3repE0EEENS1_30default_config_static_selectorELNS0_4arch9wavefront6targetE1EEEvSR_.uses_flat_scratch, 0
	.set _ZN7rocprim17ROCPRIM_400000_NS6detail17trampoline_kernelINS0_14default_configENS1_32segmented_reduce_config_selectorIN3c104HalfEEEZNS1_21segmented_reduce_implIS3_PKS6_PS6_PKiS6_N6hipcub16HIPCUB_304000_NS6detail27convert_result_type_wrapperISA_SB_N2at6native12_GLOBAL__N_19CustomMaxEEEEE10hipError_tPvRmT0_T1_jT2_SS_T4_T3_P12ihipStream_tbEUlT_E_NS1_11comp_targetILNS1_3genE9ELNS1_11target_archE1100ELNS1_3gpuE3ELNS1_3repE0EEENS1_30default_config_static_selectorELNS0_4arch9wavefront6targetE1EEEvSR_.has_dyn_sized_stack, 0
	.set _ZN7rocprim17ROCPRIM_400000_NS6detail17trampoline_kernelINS0_14default_configENS1_32segmented_reduce_config_selectorIN3c104HalfEEEZNS1_21segmented_reduce_implIS3_PKS6_PS6_PKiS6_N6hipcub16HIPCUB_304000_NS6detail27convert_result_type_wrapperISA_SB_N2at6native12_GLOBAL__N_19CustomMaxEEEEE10hipError_tPvRmT0_T1_jT2_SS_T4_T3_P12ihipStream_tbEUlT_E_NS1_11comp_targetILNS1_3genE9ELNS1_11target_archE1100ELNS1_3gpuE3ELNS1_3repE0EEENS1_30default_config_static_selectorELNS0_4arch9wavefront6targetE1EEEvSR_.has_recursion, 0
	.set _ZN7rocprim17ROCPRIM_400000_NS6detail17trampoline_kernelINS0_14default_configENS1_32segmented_reduce_config_selectorIN3c104HalfEEEZNS1_21segmented_reduce_implIS3_PKS6_PS6_PKiS6_N6hipcub16HIPCUB_304000_NS6detail27convert_result_type_wrapperISA_SB_N2at6native12_GLOBAL__N_19CustomMaxEEEEE10hipError_tPvRmT0_T1_jT2_SS_T4_T3_P12ihipStream_tbEUlT_E_NS1_11comp_targetILNS1_3genE9ELNS1_11target_archE1100ELNS1_3gpuE3ELNS1_3repE0EEENS1_30default_config_static_selectorELNS0_4arch9wavefront6targetE1EEEvSR_.has_indirect_call, 0
	.section	.AMDGPU.csdata,"",@progbits
; Kernel info:
; codeLenInByte = 0
; TotalNumSgprs: 4
; NumVgprs: 0
; ScratchSize: 0
; MemoryBound: 0
; FloatMode: 240
; IeeeMode: 1
; LDSByteSize: 0 bytes/workgroup (compile time only)
; SGPRBlocks: 0
; VGPRBlocks: 0
; NumSGPRsForWavesPerEU: 4
; NumVGPRsForWavesPerEU: 1
; Occupancy: 10
; WaveLimiterHint : 0
; COMPUTE_PGM_RSRC2:SCRATCH_EN: 0
; COMPUTE_PGM_RSRC2:USER_SGPR: 6
; COMPUTE_PGM_RSRC2:TRAP_HANDLER: 0
; COMPUTE_PGM_RSRC2:TGID_X_EN: 1
; COMPUTE_PGM_RSRC2:TGID_Y_EN: 0
; COMPUTE_PGM_RSRC2:TGID_Z_EN: 0
; COMPUTE_PGM_RSRC2:TIDIG_COMP_CNT: 0
	.section	.text._ZN7rocprim17ROCPRIM_400000_NS6detail17trampoline_kernelINS0_14default_configENS1_32segmented_reduce_config_selectorIN3c104HalfEEEZNS1_21segmented_reduce_implIS3_PKS6_PS6_PKiS6_N6hipcub16HIPCUB_304000_NS6detail27convert_result_type_wrapperISA_SB_N2at6native12_GLOBAL__N_19CustomMaxEEEEE10hipError_tPvRmT0_T1_jT2_SS_T4_T3_P12ihipStream_tbEUlT_E_NS1_11comp_targetILNS1_3genE8ELNS1_11target_archE1030ELNS1_3gpuE2ELNS1_3repE0EEENS1_30default_config_static_selectorELNS0_4arch9wavefront6targetE1EEEvSR_,"axG",@progbits,_ZN7rocprim17ROCPRIM_400000_NS6detail17trampoline_kernelINS0_14default_configENS1_32segmented_reduce_config_selectorIN3c104HalfEEEZNS1_21segmented_reduce_implIS3_PKS6_PS6_PKiS6_N6hipcub16HIPCUB_304000_NS6detail27convert_result_type_wrapperISA_SB_N2at6native12_GLOBAL__N_19CustomMaxEEEEE10hipError_tPvRmT0_T1_jT2_SS_T4_T3_P12ihipStream_tbEUlT_E_NS1_11comp_targetILNS1_3genE8ELNS1_11target_archE1030ELNS1_3gpuE2ELNS1_3repE0EEENS1_30default_config_static_selectorELNS0_4arch9wavefront6targetE1EEEvSR_,comdat
	.globl	_ZN7rocprim17ROCPRIM_400000_NS6detail17trampoline_kernelINS0_14default_configENS1_32segmented_reduce_config_selectorIN3c104HalfEEEZNS1_21segmented_reduce_implIS3_PKS6_PS6_PKiS6_N6hipcub16HIPCUB_304000_NS6detail27convert_result_type_wrapperISA_SB_N2at6native12_GLOBAL__N_19CustomMaxEEEEE10hipError_tPvRmT0_T1_jT2_SS_T4_T3_P12ihipStream_tbEUlT_E_NS1_11comp_targetILNS1_3genE8ELNS1_11target_archE1030ELNS1_3gpuE2ELNS1_3repE0EEENS1_30default_config_static_selectorELNS0_4arch9wavefront6targetE1EEEvSR_ ; -- Begin function _ZN7rocprim17ROCPRIM_400000_NS6detail17trampoline_kernelINS0_14default_configENS1_32segmented_reduce_config_selectorIN3c104HalfEEEZNS1_21segmented_reduce_implIS3_PKS6_PS6_PKiS6_N6hipcub16HIPCUB_304000_NS6detail27convert_result_type_wrapperISA_SB_N2at6native12_GLOBAL__N_19CustomMaxEEEEE10hipError_tPvRmT0_T1_jT2_SS_T4_T3_P12ihipStream_tbEUlT_E_NS1_11comp_targetILNS1_3genE8ELNS1_11target_archE1030ELNS1_3gpuE2ELNS1_3repE0EEENS1_30default_config_static_selectorELNS0_4arch9wavefront6targetE1EEEvSR_
	.p2align	8
	.type	_ZN7rocprim17ROCPRIM_400000_NS6detail17trampoline_kernelINS0_14default_configENS1_32segmented_reduce_config_selectorIN3c104HalfEEEZNS1_21segmented_reduce_implIS3_PKS6_PS6_PKiS6_N6hipcub16HIPCUB_304000_NS6detail27convert_result_type_wrapperISA_SB_N2at6native12_GLOBAL__N_19CustomMaxEEEEE10hipError_tPvRmT0_T1_jT2_SS_T4_T3_P12ihipStream_tbEUlT_E_NS1_11comp_targetILNS1_3genE8ELNS1_11target_archE1030ELNS1_3gpuE2ELNS1_3repE0EEENS1_30default_config_static_selectorELNS0_4arch9wavefront6targetE1EEEvSR_,@function
_ZN7rocprim17ROCPRIM_400000_NS6detail17trampoline_kernelINS0_14default_configENS1_32segmented_reduce_config_selectorIN3c104HalfEEEZNS1_21segmented_reduce_implIS3_PKS6_PS6_PKiS6_N6hipcub16HIPCUB_304000_NS6detail27convert_result_type_wrapperISA_SB_N2at6native12_GLOBAL__N_19CustomMaxEEEEE10hipError_tPvRmT0_T1_jT2_SS_T4_T3_P12ihipStream_tbEUlT_E_NS1_11comp_targetILNS1_3genE8ELNS1_11target_archE1030ELNS1_3gpuE2ELNS1_3repE0EEENS1_30default_config_static_selectorELNS0_4arch9wavefront6targetE1EEEvSR_: ; @_ZN7rocprim17ROCPRIM_400000_NS6detail17trampoline_kernelINS0_14default_configENS1_32segmented_reduce_config_selectorIN3c104HalfEEEZNS1_21segmented_reduce_implIS3_PKS6_PS6_PKiS6_N6hipcub16HIPCUB_304000_NS6detail27convert_result_type_wrapperISA_SB_N2at6native12_GLOBAL__N_19CustomMaxEEEEE10hipError_tPvRmT0_T1_jT2_SS_T4_T3_P12ihipStream_tbEUlT_E_NS1_11comp_targetILNS1_3genE8ELNS1_11target_archE1030ELNS1_3gpuE2ELNS1_3repE0EEENS1_30default_config_static_selectorELNS0_4arch9wavefront6targetE1EEEvSR_
; %bb.0:
	.section	.rodata,"a",@progbits
	.p2align	6, 0x0
	.amdhsa_kernel _ZN7rocprim17ROCPRIM_400000_NS6detail17trampoline_kernelINS0_14default_configENS1_32segmented_reduce_config_selectorIN3c104HalfEEEZNS1_21segmented_reduce_implIS3_PKS6_PS6_PKiS6_N6hipcub16HIPCUB_304000_NS6detail27convert_result_type_wrapperISA_SB_N2at6native12_GLOBAL__N_19CustomMaxEEEEE10hipError_tPvRmT0_T1_jT2_SS_T4_T3_P12ihipStream_tbEUlT_E_NS1_11comp_targetILNS1_3genE8ELNS1_11target_archE1030ELNS1_3gpuE2ELNS1_3repE0EEENS1_30default_config_static_selectorELNS0_4arch9wavefront6targetE1EEEvSR_
		.amdhsa_group_segment_fixed_size 0
		.amdhsa_private_segment_fixed_size 0
		.amdhsa_kernarg_size 48
		.amdhsa_user_sgpr_count 6
		.amdhsa_user_sgpr_private_segment_buffer 1
		.amdhsa_user_sgpr_dispatch_ptr 0
		.amdhsa_user_sgpr_queue_ptr 0
		.amdhsa_user_sgpr_kernarg_segment_ptr 1
		.amdhsa_user_sgpr_dispatch_id 0
		.amdhsa_user_sgpr_flat_scratch_init 0
		.amdhsa_user_sgpr_private_segment_size 0
		.amdhsa_uses_dynamic_stack 0
		.amdhsa_system_sgpr_private_segment_wavefront_offset 0
		.amdhsa_system_sgpr_workgroup_id_x 1
		.amdhsa_system_sgpr_workgroup_id_y 0
		.amdhsa_system_sgpr_workgroup_id_z 0
		.amdhsa_system_sgpr_workgroup_info 0
		.amdhsa_system_vgpr_workitem_id 0
		.amdhsa_next_free_vgpr 1
		.amdhsa_next_free_sgpr 0
		.amdhsa_reserve_vcc 0
		.amdhsa_reserve_flat_scratch 0
		.amdhsa_float_round_mode_32 0
		.amdhsa_float_round_mode_16_64 0
		.amdhsa_float_denorm_mode_32 3
		.amdhsa_float_denorm_mode_16_64 3
		.amdhsa_dx10_clamp 1
		.amdhsa_ieee_mode 1
		.amdhsa_fp16_overflow 0
		.amdhsa_exception_fp_ieee_invalid_op 0
		.amdhsa_exception_fp_denorm_src 0
		.amdhsa_exception_fp_ieee_div_zero 0
		.amdhsa_exception_fp_ieee_overflow 0
		.amdhsa_exception_fp_ieee_underflow 0
		.amdhsa_exception_fp_ieee_inexact 0
		.amdhsa_exception_int_div_zero 0
	.end_amdhsa_kernel
	.section	.text._ZN7rocprim17ROCPRIM_400000_NS6detail17trampoline_kernelINS0_14default_configENS1_32segmented_reduce_config_selectorIN3c104HalfEEEZNS1_21segmented_reduce_implIS3_PKS6_PS6_PKiS6_N6hipcub16HIPCUB_304000_NS6detail27convert_result_type_wrapperISA_SB_N2at6native12_GLOBAL__N_19CustomMaxEEEEE10hipError_tPvRmT0_T1_jT2_SS_T4_T3_P12ihipStream_tbEUlT_E_NS1_11comp_targetILNS1_3genE8ELNS1_11target_archE1030ELNS1_3gpuE2ELNS1_3repE0EEENS1_30default_config_static_selectorELNS0_4arch9wavefront6targetE1EEEvSR_,"axG",@progbits,_ZN7rocprim17ROCPRIM_400000_NS6detail17trampoline_kernelINS0_14default_configENS1_32segmented_reduce_config_selectorIN3c104HalfEEEZNS1_21segmented_reduce_implIS3_PKS6_PS6_PKiS6_N6hipcub16HIPCUB_304000_NS6detail27convert_result_type_wrapperISA_SB_N2at6native12_GLOBAL__N_19CustomMaxEEEEE10hipError_tPvRmT0_T1_jT2_SS_T4_T3_P12ihipStream_tbEUlT_E_NS1_11comp_targetILNS1_3genE8ELNS1_11target_archE1030ELNS1_3gpuE2ELNS1_3repE0EEENS1_30default_config_static_selectorELNS0_4arch9wavefront6targetE1EEEvSR_,comdat
.Lfunc_end84:
	.size	_ZN7rocprim17ROCPRIM_400000_NS6detail17trampoline_kernelINS0_14default_configENS1_32segmented_reduce_config_selectorIN3c104HalfEEEZNS1_21segmented_reduce_implIS3_PKS6_PS6_PKiS6_N6hipcub16HIPCUB_304000_NS6detail27convert_result_type_wrapperISA_SB_N2at6native12_GLOBAL__N_19CustomMaxEEEEE10hipError_tPvRmT0_T1_jT2_SS_T4_T3_P12ihipStream_tbEUlT_E_NS1_11comp_targetILNS1_3genE8ELNS1_11target_archE1030ELNS1_3gpuE2ELNS1_3repE0EEENS1_30default_config_static_selectorELNS0_4arch9wavefront6targetE1EEEvSR_, .Lfunc_end84-_ZN7rocprim17ROCPRIM_400000_NS6detail17trampoline_kernelINS0_14default_configENS1_32segmented_reduce_config_selectorIN3c104HalfEEEZNS1_21segmented_reduce_implIS3_PKS6_PS6_PKiS6_N6hipcub16HIPCUB_304000_NS6detail27convert_result_type_wrapperISA_SB_N2at6native12_GLOBAL__N_19CustomMaxEEEEE10hipError_tPvRmT0_T1_jT2_SS_T4_T3_P12ihipStream_tbEUlT_E_NS1_11comp_targetILNS1_3genE8ELNS1_11target_archE1030ELNS1_3gpuE2ELNS1_3repE0EEENS1_30default_config_static_selectorELNS0_4arch9wavefront6targetE1EEEvSR_
                                        ; -- End function
	.set _ZN7rocprim17ROCPRIM_400000_NS6detail17trampoline_kernelINS0_14default_configENS1_32segmented_reduce_config_selectorIN3c104HalfEEEZNS1_21segmented_reduce_implIS3_PKS6_PS6_PKiS6_N6hipcub16HIPCUB_304000_NS6detail27convert_result_type_wrapperISA_SB_N2at6native12_GLOBAL__N_19CustomMaxEEEEE10hipError_tPvRmT0_T1_jT2_SS_T4_T3_P12ihipStream_tbEUlT_E_NS1_11comp_targetILNS1_3genE8ELNS1_11target_archE1030ELNS1_3gpuE2ELNS1_3repE0EEENS1_30default_config_static_selectorELNS0_4arch9wavefront6targetE1EEEvSR_.num_vgpr, 0
	.set _ZN7rocprim17ROCPRIM_400000_NS6detail17trampoline_kernelINS0_14default_configENS1_32segmented_reduce_config_selectorIN3c104HalfEEEZNS1_21segmented_reduce_implIS3_PKS6_PS6_PKiS6_N6hipcub16HIPCUB_304000_NS6detail27convert_result_type_wrapperISA_SB_N2at6native12_GLOBAL__N_19CustomMaxEEEEE10hipError_tPvRmT0_T1_jT2_SS_T4_T3_P12ihipStream_tbEUlT_E_NS1_11comp_targetILNS1_3genE8ELNS1_11target_archE1030ELNS1_3gpuE2ELNS1_3repE0EEENS1_30default_config_static_selectorELNS0_4arch9wavefront6targetE1EEEvSR_.num_agpr, 0
	.set _ZN7rocprim17ROCPRIM_400000_NS6detail17trampoline_kernelINS0_14default_configENS1_32segmented_reduce_config_selectorIN3c104HalfEEEZNS1_21segmented_reduce_implIS3_PKS6_PS6_PKiS6_N6hipcub16HIPCUB_304000_NS6detail27convert_result_type_wrapperISA_SB_N2at6native12_GLOBAL__N_19CustomMaxEEEEE10hipError_tPvRmT0_T1_jT2_SS_T4_T3_P12ihipStream_tbEUlT_E_NS1_11comp_targetILNS1_3genE8ELNS1_11target_archE1030ELNS1_3gpuE2ELNS1_3repE0EEENS1_30default_config_static_selectorELNS0_4arch9wavefront6targetE1EEEvSR_.numbered_sgpr, 0
	.set _ZN7rocprim17ROCPRIM_400000_NS6detail17trampoline_kernelINS0_14default_configENS1_32segmented_reduce_config_selectorIN3c104HalfEEEZNS1_21segmented_reduce_implIS3_PKS6_PS6_PKiS6_N6hipcub16HIPCUB_304000_NS6detail27convert_result_type_wrapperISA_SB_N2at6native12_GLOBAL__N_19CustomMaxEEEEE10hipError_tPvRmT0_T1_jT2_SS_T4_T3_P12ihipStream_tbEUlT_E_NS1_11comp_targetILNS1_3genE8ELNS1_11target_archE1030ELNS1_3gpuE2ELNS1_3repE0EEENS1_30default_config_static_selectorELNS0_4arch9wavefront6targetE1EEEvSR_.num_named_barrier, 0
	.set _ZN7rocprim17ROCPRIM_400000_NS6detail17trampoline_kernelINS0_14default_configENS1_32segmented_reduce_config_selectorIN3c104HalfEEEZNS1_21segmented_reduce_implIS3_PKS6_PS6_PKiS6_N6hipcub16HIPCUB_304000_NS6detail27convert_result_type_wrapperISA_SB_N2at6native12_GLOBAL__N_19CustomMaxEEEEE10hipError_tPvRmT0_T1_jT2_SS_T4_T3_P12ihipStream_tbEUlT_E_NS1_11comp_targetILNS1_3genE8ELNS1_11target_archE1030ELNS1_3gpuE2ELNS1_3repE0EEENS1_30default_config_static_selectorELNS0_4arch9wavefront6targetE1EEEvSR_.private_seg_size, 0
	.set _ZN7rocprim17ROCPRIM_400000_NS6detail17trampoline_kernelINS0_14default_configENS1_32segmented_reduce_config_selectorIN3c104HalfEEEZNS1_21segmented_reduce_implIS3_PKS6_PS6_PKiS6_N6hipcub16HIPCUB_304000_NS6detail27convert_result_type_wrapperISA_SB_N2at6native12_GLOBAL__N_19CustomMaxEEEEE10hipError_tPvRmT0_T1_jT2_SS_T4_T3_P12ihipStream_tbEUlT_E_NS1_11comp_targetILNS1_3genE8ELNS1_11target_archE1030ELNS1_3gpuE2ELNS1_3repE0EEENS1_30default_config_static_selectorELNS0_4arch9wavefront6targetE1EEEvSR_.uses_vcc, 0
	.set _ZN7rocprim17ROCPRIM_400000_NS6detail17trampoline_kernelINS0_14default_configENS1_32segmented_reduce_config_selectorIN3c104HalfEEEZNS1_21segmented_reduce_implIS3_PKS6_PS6_PKiS6_N6hipcub16HIPCUB_304000_NS6detail27convert_result_type_wrapperISA_SB_N2at6native12_GLOBAL__N_19CustomMaxEEEEE10hipError_tPvRmT0_T1_jT2_SS_T4_T3_P12ihipStream_tbEUlT_E_NS1_11comp_targetILNS1_3genE8ELNS1_11target_archE1030ELNS1_3gpuE2ELNS1_3repE0EEENS1_30default_config_static_selectorELNS0_4arch9wavefront6targetE1EEEvSR_.uses_flat_scratch, 0
	.set _ZN7rocprim17ROCPRIM_400000_NS6detail17trampoline_kernelINS0_14default_configENS1_32segmented_reduce_config_selectorIN3c104HalfEEEZNS1_21segmented_reduce_implIS3_PKS6_PS6_PKiS6_N6hipcub16HIPCUB_304000_NS6detail27convert_result_type_wrapperISA_SB_N2at6native12_GLOBAL__N_19CustomMaxEEEEE10hipError_tPvRmT0_T1_jT2_SS_T4_T3_P12ihipStream_tbEUlT_E_NS1_11comp_targetILNS1_3genE8ELNS1_11target_archE1030ELNS1_3gpuE2ELNS1_3repE0EEENS1_30default_config_static_selectorELNS0_4arch9wavefront6targetE1EEEvSR_.has_dyn_sized_stack, 0
	.set _ZN7rocprim17ROCPRIM_400000_NS6detail17trampoline_kernelINS0_14default_configENS1_32segmented_reduce_config_selectorIN3c104HalfEEEZNS1_21segmented_reduce_implIS3_PKS6_PS6_PKiS6_N6hipcub16HIPCUB_304000_NS6detail27convert_result_type_wrapperISA_SB_N2at6native12_GLOBAL__N_19CustomMaxEEEEE10hipError_tPvRmT0_T1_jT2_SS_T4_T3_P12ihipStream_tbEUlT_E_NS1_11comp_targetILNS1_3genE8ELNS1_11target_archE1030ELNS1_3gpuE2ELNS1_3repE0EEENS1_30default_config_static_selectorELNS0_4arch9wavefront6targetE1EEEvSR_.has_recursion, 0
	.set _ZN7rocprim17ROCPRIM_400000_NS6detail17trampoline_kernelINS0_14default_configENS1_32segmented_reduce_config_selectorIN3c104HalfEEEZNS1_21segmented_reduce_implIS3_PKS6_PS6_PKiS6_N6hipcub16HIPCUB_304000_NS6detail27convert_result_type_wrapperISA_SB_N2at6native12_GLOBAL__N_19CustomMaxEEEEE10hipError_tPvRmT0_T1_jT2_SS_T4_T3_P12ihipStream_tbEUlT_E_NS1_11comp_targetILNS1_3genE8ELNS1_11target_archE1030ELNS1_3gpuE2ELNS1_3repE0EEENS1_30default_config_static_selectorELNS0_4arch9wavefront6targetE1EEEvSR_.has_indirect_call, 0
	.section	.AMDGPU.csdata,"",@progbits
; Kernel info:
; codeLenInByte = 0
; TotalNumSgprs: 4
; NumVgprs: 0
; ScratchSize: 0
; MemoryBound: 0
; FloatMode: 240
; IeeeMode: 1
; LDSByteSize: 0 bytes/workgroup (compile time only)
; SGPRBlocks: 0
; VGPRBlocks: 0
; NumSGPRsForWavesPerEU: 4
; NumVGPRsForWavesPerEU: 1
; Occupancy: 10
; WaveLimiterHint : 0
; COMPUTE_PGM_RSRC2:SCRATCH_EN: 0
; COMPUTE_PGM_RSRC2:USER_SGPR: 6
; COMPUTE_PGM_RSRC2:TRAP_HANDLER: 0
; COMPUTE_PGM_RSRC2:TGID_X_EN: 1
; COMPUTE_PGM_RSRC2:TGID_Y_EN: 0
; COMPUTE_PGM_RSRC2:TGID_Z_EN: 0
; COMPUTE_PGM_RSRC2:TIDIG_COMP_CNT: 0
	.section	.text._ZN7rocprim17ROCPRIM_400000_NS6detail17trampoline_kernelINS0_14default_configENS1_32segmented_reduce_config_selectorIN3c104HalfEEEZNS1_21segmented_reduce_implIS3_PKS6_PS6_PKiS6_N6hipcub16HIPCUB_304000_NS6detail27convert_result_type_wrapperISA_SB_N2at6native12_GLOBAL__N_19CustomSumEEEEE10hipError_tPvRmT0_T1_jT2_SS_T4_T3_P12ihipStream_tbEUlT_E_NS1_11comp_targetILNS1_3genE0ELNS1_11target_archE4294967295ELNS1_3gpuE0ELNS1_3repE0EEENS1_30default_config_static_selectorELNS0_4arch9wavefront6targetE1EEEvSR_,"axG",@progbits,_ZN7rocprim17ROCPRIM_400000_NS6detail17trampoline_kernelINS0_14default_configENS1_32segmented_reduce_config_selectorIN3c104HalfEEEZNS1_21segmented_reduce_implIS3_PKS6_PS6_PKiS6_N6hipcub16HIPCUB_304000_NS6detail27convert_result_type_wrapperISA_SB_N2at6native12_GLOBAL__N_19CustomSumEEEEE10hipError_tPvRmT0_T1_jT2_SS_T4_T3_P12ihipStream_tbEUlT_E_NS1_11comp_targetILNS1_3genE0ELNS1_11target_archE4294967295ELNS1_3gpuE0ELNS1_3repE0EEENS1_30default_config_static_selectorELNS0_4arch9wavefront6targetE1EEEvSR_,comdat
	.globl	_ZN7rocprim17ROCPRIM_400000_NS6detail17trampoline_kernelINS0_14default_configENS1_32segmented_reduce_config_selectorIN3c104HalfEEEZNS1_21segmented_reduce_implIS3_PKS6_PS6_PKiS6_N6hipcub16HIPCUB_304000_NS6detail27convert_result_type_wrapperISA_SB_N2at6native12_GLOBAL__N_19CustomSumEEEEE10hipError_tPvRmT0_T1_jT2_SS_T4_T3_P12ihipStream_tbEUlT_E_NS1_11comp_targetILNS1_3genE0ELNS1_11target_archE4294967295ELNS1_3gpuE0ELNS1_3repE0EEENS1_30default_config_static_selectorELNS0_4arch9wavefront6targetE1EEEvSR_ ; -- Begin function _ZN7rocprim17ROCPRIM_400000_NS6detail17trampoline_kernelINS0_14default_configENS1_32segmented_reduce_config_selectorIN3c104HalfEEEZNS1_21segmented_reduce_implIS3_PKS6_PS6_PKiS6_N6hipcub16HIPCUB_304000_NS6detail27convert_result_type_wrapperISA_SB_N2at6native12_GLOBAL__N_19CustomSumEEEEE10hipError_tPvRmT0_T1_jT2_SS_T4_T3_P12ihipStream_tbEUlT_E_NS1_11comp_targetILNS1_3genE0ELNS1_11target_archE4294967295ELNS1_3gpuE0ELNS1_3repE0EEENS1_30default_config_static_selectorELNS0_4arch9wavefront6targetE1EEEvSR_
	.p2align	8
	.type	_ZN7rocprim17ROCPRIM_400000_NS6detail17trampoline_kernelINS0_14default_configENS1_32segmented_reduce_config_selectorIN3c104HalfEEEZNS1_21segmented_reduce_implIS3_PKS6_PS6_PKiS6_N6hipcub16HIPCUB_304000_NS6detail27convert_result_type_wrapperISA_SB_N2at6native12_GLOBAL__N_19CustomSumEEEEE10hipError_tPvRmT0_T1_jT2_SS_T4_T3_P12ihipStream_tbEUlT_E_NS1_11comp_targetILNS1_3genE0ELNS1_11target_archE4294967295ELNS1_3gpuE0ELNS1_3repE0EEENS1_30default_config_static_selectorELNS0_4arch9wavefront6targetE1EEEvSR_,@function
_ZN7rocprim17ROCPRIM_400000_NS6detail17trampoline_kernelINS0_14default_configENS1_32segmented_reduce_config_selectorIN3c104HalfEEEZNS1_21segmented_reduce_implIS3_PKS6_PS6_PKiS6_N6hipcub16HIPCUB_304000_NS6detail27convert_result_type_wrapperISA_SB_N2at6native12_GLOBAL__N_19CustomSumEEEEE10hipError_tPvRmT0_T1_jT2_SS_T4_T3_P12ihipStream_tbEUlT_E_NS1_11comp_targetILNS1_3genE0ELNS1_11target_archE4294967295ELNS1_3gpuE0ELNS1_3repE0EEENS1_30default_config_static_selectorELNS0_4arch9wavefront6targetE1EEEvSR_: ; @_ZN7rocprim17ROCPRIM_400000_NS6detail17trampoline_kernelINS0_14default_configENS1_32segmented_reduce_config_selectorIN3c104HalfEEEZNS1_21segmented_reduce_implIS3_PKS6_PS6_PKiS6_N6hipcub16HIPCUB_304000_NS6detail27convert_result_type_wrapperISA_SB_N2at6native12_GLOBAL__N_19CustomSumEEEEE10hipError_tPvRmT0_T1_jT2_SS_T4_T3_P12ihipStream_tbEUlT_E_NS1_11comp_targetILNS1_3genE0ELNS1_11target_archE4294967295ELNS1_3gpuE0ELNS1_3repE0EEENS1_30default_config_static_selectorELNS0_4arch9wavefront6targetE1EEEvSR_
; %bb.0:
	.section	.rodata,"a",@progbits
	.p2align	6, 0x0
	.amdhsa_kernel _ZN7rocprim17ROCPRIM_400000_NS6detail17trampoline_kernelINS0_14default_configENS1_32segmented_reduce_config_selectorIN3c104HalfEEEZNS1_21segmented_reduce_implIS3_PKS6_PS6_PKiS6_N6hipcub16HIPCUB_304000_NS6detail27convert_result_type_wrapperISA_SB_N2at6native12_GLOBAL__N_19CustomSumEEEEE10hipError_tPvRmT0_T1_jT2_SS_T4_T3_P12ihipStream_tbEUlT_E_NS1_11comp_targetILNS1_3genE0ELNS1_11target_archE4294967295ELNS1_3gpuE0ELNS1_3repE0EEENS1_30default_config_static_selectorELNS0_4arch9wavefront6targetE1EEEvSR_
		.amdhsa_group_segment_fixed_size 0
		.amdhsa_private_segment_fixed_size 0
		.amdhsa_kernarg_size 48
		.amdhsa_user_sgpr_count 6
		.amdhsa_user_sgpr_private_segment_buffer 1
		.amdhsa_user_sgpr_dispatch_ptr 0
		.amdhsa_user_sgpr_queue_ptr 0
		.amdhsa_user_sgpr_kernarg_segment_ptr 1
		.amdhsa_user_sgpr_dispatch_id 0
		.amdhsa_user_sgpr_flat_scratch_init 0
		.amdhsa_user_sgpr_private_segment_size 0
		.amdhsa_uses_dynamic_stack 0
		.amdhsa_system_sgpr_private_segment_wavefront_offset 0
		.amdhsa_system_sgpr_workgroup_id_x 1
		.amdhsa_system_sgpr_workgroup_id_y 0
		.amdhsa_system_sgpr_workgroup_id_z 0
		.amdhsa_system_sgpr_workgroup_info 0
		.amdhsa_system_vgpr_workitem_id 0
		.amdhsa_next_free_vgpr 1
		.amdhsa_next_free_sgpr 0
		.amdhsa_reserve_vcc 0
		.amdhsa_reserve_flat_scratch 0
		.amdhsa_float_round_mode_32 0
		.amdhsa_float_round_mode_16_64 0
		.amdhsa_float_denorm_mode_32 3
		.amdhsa_float_denorm_mode_16_64 3
		.amdhsa_dx10_clamp 1
		.amdhsa_ieee_mode 1
		.amdhsa_fp16_overflow 0
		.amdhsa_exception_fp_ieee_invalid_op 0
		.amdhsa_exception_fp_denorm_src 0
		.amdhsa_exception_fp_ieee_div_zero 0
		.amdhsa_exception_fp_ieee_overflow 0
		.amdhsa_exception_fp_ieee_underflow 0
		.amdhsa_exception_fp_ieee_inexact 0
		.amdhsa_exception_int_div_zero 0
	.end_amdhsa_kernel
	.section	.text._ZN7rocprim17ROCPRIM_400000_NS6detail17trampoline_kernelINS0_14default_configENS1_32segmented_reduce_config_selectorIN3c104HalfEEEZNS1_21segmented_reduce_implIS3_PKS6_PS6_PKiS6_N6hipcub16HIPCUB_304000_NS6detail27convert_result_type_wrapperISA_SB_N2at6native12_GLOBAL__N_19CustomSumEEEEE10hipError_tPvRmT0_T1_jT2_SS_T4_T3_P12ihipStream_tbEUlT_E_NS1_11comp_targetILNS1_3genE0ELNS1_11target_archE4294967295ELNS1_3gpuE0ELNS1_3repE0EEENS1_30default_config_static_selectorELNS0_4arch9wavefront6targetE1EEEvSR_,"axG",@progbits,_ZN7rocprim17ROCPRIM_400000_NS6detail17trampoline_kernelINS0_14default_configENS1_32segmented_reduce_config_selectorIN3c104HalfEEEZNS1_21segmented_reduce_implIS3_PKS6_PS6_PKiS6_N6hipcub16HIPCUB_304000_NS6detail27convert_result_type_wrapperISA_SB_N2at6native12_GLOBAL__N_19CustomSumEEEEE10hipError_tPvRmT0_T1_jT2_SS_T4_T3_P12ihipStream_tbEUlT_E_NS1_11comp_targetILNS1_3genE0ELNS1_11target_archE4294967295ELNS1_3gpuE0ELNS1_3repE0EEENS1_30default_config_static_selectorELNS0_4arch9wavefront6targetE1EEEvSR_,comdat
.Lfunc_end85:
	.size	_ZN7rocprim17ROCPRIM_400000_NS6detail17trampoline_kernelINS0_14default_configENS1_32segmented_reduce_config_selectorIN3c104HalfEEEZNS1_21segmented_reduce_implIS3_PKS6_PS6_PKiS6_N6hipcub16HIPCUB_304000_NS6detail27convert_result_type_wrapperISA_SB_N2at6native12_GLOBAL__N_19CustomSumEEEEE10hipError_tPvRmT0_T1_jT2_SS_T4_T3_P12ihipStream_tbEUlT_E_NS1_11comp_targetILNS1_3genE0ELNS1_11target_archE4294967295ELNS1_3gpuE0ELNS1_3repE0EEENS1_30default_config_static_selectorELNS0_4arch9wavefront6targetE1EEEvSR_, .Lfunc_end85-_ZN7rocprim17ROCPRIM_400000_NS6detail17trampoline_kernelINS0_14default_configENS1_32segmented_reduce_config_selectorIN3c104HalfEEEZNS1_21segmented_reduce_implIS3_PKS6_PS6_PKiS6_N6hipcub16HIPCUB_304000_NS6detail27convert_result_type_wrapperISA_SB_N2at6native12_GLOBAL__N_19CustomSumEEEEE10hipError_tPvRmT0_T1_jT2_SS_T4_T3_P12ihipStream_tbEUlT_E_NS1_11comp_targetILNS1_3genE0ELNS1_11target_archE4294967295ELNS1_3gpuE0ELNS1_3repE0EEENS1_30default_config_static_selectorELNS0_4arch9wavefront6targetE1EEEvSR_
                                        ; -- End function
	.set _ZN7rocprim17ROCPRIM_400000_NS6detail17trampoline_kernelINS0_14default_configENS1_32segmented_reduce_config_selectorIN3c104HalfEEEZNS1_21segmented_reduce_implIS3_PKS6_PS6_PKiS6_N6hipcub16HIPCUB_304000_NS6detail27convert_result_type_wrapperISA_SB_N2at6native12_GLOBAL__N_19CustomSumEEEEE10hipError_tPvRmT0_T1_jT2_SS_T4_T3_P12ihipStream_tbEUlT_E_NS1_11comp_targetILNS1_3genE0ELNS1_11target_archE4294967295ELNS1_3gpuE0ELNS1_3repE0EEENS1_30default_config_static_selectorELNS0_4arch9wavefront6targetE1EEEvSR_.num_vgpr, 0
	.set _ZN7rocprim17ROCPRIM_400000_NS6detail17trampoline_kernelINS0_14default_configENS1_32segmented_reduce_config_selectorIN3c104HalfEEEZNS1_21segmented_reduce_implIS3_PKS6_PS6_PKiS6_N6hipcub16HIPCUB_304000_NS6detail27convert_result_type_wrapperISA_SB_N2at6native12_GLOBAL__N_19CustomSumEEEEE10hipError_tPvRmT0_T1_jT2_SS_T4_T3_P12ihipStream_tbEUlT_E_NS1_11comp_targetILNS1_3genE0ELNS1_11target_archE4294967295ELNS1_3gpuE0ELNS1_3repE0EEENS1_30default_config_static_selectorELNS0_4arch9wavefront6targetE1EEEvSR_.num_agpr, 0
	.set _ZN7rocprim17ROCPRIM_400000_NS6detail17trampoline_kernelINS0_14default_configENS1_32segmented_reduce_config_selectorIN3c104HalfEEEZNS1_21segmented_reduce_implIS3_PKS6_PS6_PKiS6_N6hipcub16HIPCUB_304000_NS6detail27convert_result_type_wrapperISA_SB_N2at6native12_GLOBAL__N_19CustomSumEEEEE10hipError_tPvRmT0_T1_jT2_SS_T4_T3_P12ihipStream_tbEUlT_E_NS1_11comp_targetILNS1_3genE0ELNS1_11target_archE4294967295ELNS1_3gpuE0ELNS1_3repE0EEENS1_30default_config_static_selectorELNS0_4arch9wavefront6targetE1EEEvSR_.numbered_sgpr, 0
	.set _ZN7rocprim17ROCPRIM_400000_NS6detail17trampoline_kernelINS0_14default_configENS1_32segmented_reduce_config_selectorIN3c104HalfEEEZNS1_21segmented_reduce_implIS3_PKS6_PS6_PKiS6_N6hipcub16HIPCUB_304000_NS6detail27convert_result_type_wrapperISA_SB_N2at6native12_GLOBAL__N_19CustomSumEEEEE10hipError_tPvRmT0_T1_jT2_SS_T4_T3_P12ihipStream_tbEUlT_E_NS1_11comp_targetILNS1_3genE0ELNS1_11target_archE4294967295ELNS1_3gpuE0ELNS1_3repE0EEENS1_30default_config_static_selectorELNS0_4arch9wavefront6targetE1EEEvSR_.num_named_barrier, 0
	.set _ZN7rocprim17ROCPRIM_400000_NS6detail17trampoline_kernelINS0_14default_configENS1_32segmented_reduce_config_selectorIN3c104HalfEEEZNS1_21segmented_reduce_implIS3_PKS6_PS6_PKiS6_N6hipcub16HIPCUB_304000_NS6detail27convert_result_type_wrapperISA_SB_N2at6native12_GLOBAL__N_19CustomSumEEEEE10hipError_tPvRmT0_T1_jT2_SS_T4_T3_P12ihipStream_tbEUlT_E_NS1_11comp_targetILNS1_3genE0ELNS1_11target_archE4294967295ELNS1_3gpuE0ELNS1_3repE0EEENS1_30default_config_static_selectorELNS0_4arch9wavefront6targetE1EEEvSR_.private_seg_size, 0
	.set _ZN7rocprim17ROCPRIM_400000_NS6detail17trampoline_kernelINS0_14default_configENS1_32segmented_reduce_config_selectorIN3c104HalfEEEZNS1_21segmented_reduce_implIS3_PKS6_PS6_PKiS6_N6hipcub16HIPCUB_304000_NS6detail27convert_result_type_wrapperISA_SB_N2at6native12_GLOBAL__N_19CustomSumEEEEE10hipError_tPvRmT0_T1_jT2_SS_T4_T3_P12ihipStream_tbEUlT_E_NS1_11comp_targetILNS1_3genE0ELNS1_11target_archE4294967295ELNS1_3gpuE0ELNS1_3repE0EEENS1_30default_config_static_selectorELNS0_4arch9wavefront6targetE1EEEvSR_.uses_vcc, 0
	.set _ZN7rocprim17ROCPRIM_400000_NS6detail17trampoline_kernelINS0_14default_configENS1_32segmented_reduce_config_selectorIN3c104HalfEEEZNS1_21segmented_reduce_implIS3_PKS6_PS6_PKiS6_N6hipcub16HIPCUB_304000_NS6detail27convert_result_type_wrapperISA_SB_N2at6native12_GLOBAL__N_19CustomSumEEEEE10hipError_tPvRmT0_T1_jT2_SS_T4_T3_P12ihipStream_tbEUlT_E_NS1_11comp_targetILNS1_3genE0ELNS1_11target_archE4294967295ELNS1_3gpuE0ELNS1_3repE0EEENS1_30default_config_static_selectorELNS0_4arch9wavefront6targetE1EEEvSR_.uses_flat_scratch, 0
	.set _ZN7rocprim17ROCPRIM_400000_NS6detail17trampoline_kernelINS0_14default_configENS1_32segmented_reduce_config_selectorIN3c104HalfEEEZNS1_21segmented_reduce_implIS3_PKS6_PS6_PKiS6_N6hipcub16HIPCUB_304000_NS6detail27convert_result_type_wrapperISA_SB_N2at6native12_GLOBAL__N_19CustomSumEEEEE10hipError_tPvRmT0_T1_jT2_SS_T4_T3_P12ihipStream_tbEUlT_E_NS1_11comp_targetILNS1_3genE0ELNS1_11target_archE4294967295ELNS1_3gpuE0ELNS1_3repE0EEENS1_30default_config_static_selectorELNS0_4arch9wavefront6targetE1EEEvSR_.has_dyn_sized_stack, 0
	.set _ZN7rocprim17ROCPRIM_400000_NS6detail17trampoline_kernelINS0_14default_configENS1_32segmented_reduce_config_selectorIN3c104HalfEEEZNS1_21segmented_reduce_implIS3_PKS6_PS6_PKiS6_N6hipcub16HIPCUB_304000_NS6detail27convert_result_type_wrapperISA_SB_N2at6native12_GLOBAL__N_19CustomSumEEEEE10hipError_tPvRmT0_T1_jT2_SS_T4_T3_P12ihipStream_tbEUlT_E_NS1_11comp_targetILNS1_3genE0ELNS1_11target_archE4294967295ELNS1_3gpuE0ELNS1_3repE0EEENS1_30default_config_static_selectorELNS0_4arch9wavefront6targetE1EEEvSR_.has_recursion, 0
	.set _ZN7rocprim17ROCPRIM_400000_NS6detail17trampoline_kernelINS0_14default_configENS1_32segmented_reduce_config_selectorIN3c104HalfEEEZNS1_21segmented_reduce_implIS3_PKS6_PS6_PKiS6_N6hipcub16HIPCUB_304000_NS6detail27convert_result_type_wrapperISA_SB_N2at6native12_GLOBAL__N_19CustomSumEEEEE10hipError_tPvRmT0_T1_jT2_SS_T4_T3_P12ihipStream_tbEUlT_E_NS1_11comp_targetILNS1_3genE0ELNS1_11target_archE4294967295ELNS1_3gpuE0ELNS1_3repE0EEENS1_30default_config_static_selectorELNS0_4arch9wavefront6targetE1EEEvSR_.has_indirect_call, 0
	.section	.AMDGPU.csdata,"",@progbits
; Kernel info:
; codeLenInByte = 0
; TotalNumSgprs: 4
; NumVgprs: 0
; ScratchSize: 0
; MemoryBound: 0
; FloatMode: 240
; IeeeMode: 1
; LDSByteSize: 0 bytes/workgroup (compile time only)
; SGPRBlocks: 0
; VGPRBlocks: 0
; NumSGPRsForWavesPerEU: 4
; NumVGPRsForWavesPerEU: 1
; Occupancy: 10
; WaveLimiterHint : 0
; COMPUTE_PGM_RSRC2:SCRATCH_EN: 0
; COMPUTE_PGM_RSRC2:USER_SGPR: 6
; COMPUTE_PGM_RSRC2:TRAP_HANDLER: 0
; COMPUTE_PGM_RSRC2:TGID_X_EN: 1
; COMPUTE_PGM_RSRC2:TGID_Y_EN: 0
; COMPUTE_PGM_RSRC2:TGID_Z_EN: 0
; COMPUTE_PGM_RSRC2:TIDIG_COMP_CNT: 0
	.section	.text._ZN7rocprim17ROCPRIM_400000_NS6detail17trampoline_kernelINS0_14default_configENS1_32segmented_reduce_config_selectorIN3c104HalfEEEZNS1_21segmented_reduce_implIS3_PKS6_PS6_PKiS6_N6hipcub16HIPCUB_304000_NS6detail27convert_result_type_wrapperISA_SB_N2at6native12_GLOBAL__N_19CustomSumEEEEE10hipError_tPvRmT0_T1_jT2_SS_T4_T3_P12ihipStream_tbEUlT_E_NS1_11comp_targetILNS1_3genE5ELNS1_11target_archE942ELNS1_3gpuE9ELNS1_3repE0EEENS1_30default_config_static_selectorELNS0_4arch9wavefront6targetE1EEEvSR_,"axG",@progbits,_ZN7rocprim17ROCPRIM_400000_NS6detail17trampoline_kernelINS0_14default_configENS1_32segmented_reduce_config_selectorIN3c104HalfEEEZNS1_21segmented_reduce_implIS3_PKS6_PS6_PKiS6_N6hipcub16HIPCUB_304000_NS6detail27convert_result_type_wrapperISA_SB_N2at6native12_GLOBAL__N_19CustomSumEEEEE10hipError_tPvRmT0_T1_jT2_SS_T4_T3_P12ihipStream_tbEUlT_E_NS1_11comp_targetILNS1_3genE5ELNS1_11target_archE942ELNS1_3gpuE9ELNS1_3repE0EEENS1_30default_config_static_selectorELNS0_4arch9wavefront6targetE1EEEvSR_,comdat
	.globl	_ZN7rocprim17ROCPRIM_400000_NS6detail17trampoline_kernelINS0_14default_configENS1_32segmented_reduce_config_selectorIN3c104HalfEEEZNS1_21segmented_reduce_implIS3_PKS6_PS6_PKiS6_N6hipcub16HIPCUB_304000_NS6detail27convert_result_type_wrapperISA_SB_N2at6native12_GLOBAL__N_19CustomSumEEEEE10hipError_tPvRmT0_T1_jT2_SS_T4_T3_P12ihipStream_tbEUlT_E_NS1_11comp_targetILNS1_3genE5ELNS1_11target_archE942ELNS1_3gpuE9ELNS1_3repE0EEENS1_30default_config_static_selectorELNS0_4arch9wavefront6targetE1EEEvSR_ ; -- Begin function _ZN7rocprim17ROCPRIM_400000_NS6detail17trampoline_kernelINS0_14default_configENS1_32segmented_reduce_config_selectorIN3c104HalfEEEZNS1_21segmented_reduce_implIS3_PKS6_PS6_PKiS6_N6hipcub16HIPCUB_304000_NS6detail27convert_result_type_wrapperISA_SB_N2at6native12_GLOBAL__N_19CustomSumEEEEE10hipError_tPvRmT0_T1_jT2_SS_T4_T3_P12ihipStream_tbEUlT_E_NS1_11comp_targetILNS1_3genE5ELNS1_11target_archE942ELNS1_3gpuE9ELNS1_3repE0EEENS1_30default_config_static_selectorELNS0_4arch9wavefront6targetE1EEEvSR_
	.p2align	8
	.type	_ZN7rocprim17ROCPRIM_400000_NS6detail17trampoline_kernelINS0_14default_configENS1_32segmented_reduce_config_selectorIN3c104HalfEEEZNS1_21segmented_reduce_implIS3_PKS6_PS6_PKiS6_N6hipcub16HIPCUB_304000_NS6detail27convert_result_type_wrapperISA_SB_N2at6native12_GLOBAL__N_19CustomSumEEEEE10hipError_tPvRmT0_T1_jT2_SS_T4_T3_P12ihipStream_tbEUlT_E_NS1_11comp_targetILNS1_3genE5ELNS1_11target_archE942ELNS1_3gpuE9ELNS1_3repE0EEENS1_30default_config_static_selectorELNS0_4arch9wavefront6targetE1EEEvSR_,@function
_ZN7rocprim17ROCPRIM_400000_NS6detail17trampoline_kernelINS0_14default_configENS1_32segmented_reduce_config_selectorIN3c104HalfEEEZNS1_21segmented_reduce_implIS3_PKS6_PS6_PKiS6_N6hipcub16HIPCUB_304000_NS6detail27convert_result_type_wrapperISA_SB_N2at6native12_GLOBAL__N_19CustomSumEEEEE10hipError_tPvRmT0_T1_jT2_SS_T4_T3_P12ihipStream_tbEUlT_E_NS1_11comp_targetILNS1_3genE5ELNS1_11target_archE942ELNS1_3gpuE9ELNS1_3repE0EEENS1_30default_config_static_selectorELNS0_4arch9wavefront6targetE1EEEvSR_: ; @_ZN7rocprim17ROCPRIM_400000_NS6detail17trampoline_kernelINS0_14default_configENS1_32segmented_reduce_config_selectorIN3c104HalfEEEZNS1_21segmented_reduce_implIS3_PKS6_PS6_PKiS6_N6hipcub16HIPCUB_304000_NS6detail27convert_result_type_wrapperISA_SB_N2at6native12_GLOBAL__N_19CustomSumEEEEE10hipError_tPvRmT0_T1_jT2_SS_T4_T3_P12ihipStream_tbEUlT_E_NS1_11comp_targetILNS1_3genE5ELNS1_11target_archE942ELNS1_3gpuE9ELNS1_3repE0EEENS1_30default_config_static_selectorELNS0_4arch9wavefront6targetE1EEEvSR_
; %bb.0:
	.section	.rodata,"a",@progbits
	.p2align	6, 0x0
	.amdhsa_kernel _ZN7rocprim17ROCPRIM_400000_NS6detail17trampoline_kernelINS0_14default_configENS1_32segmented_reduce_config_selectorIN3c104HalfEEEZNS1_21segmented_reduce_implIS3_PKS6_PS6_PKiS6_N6hipcub16HIPCUB_304000_NS6detail27convert_result_type_wrapperISA_SB_N2at6native12_GLOBAL__N_19CustomSumEEEEE10hipError_tPvRmT0_T1_jT2_SS_T4_T3_P12ihipStream_tbEUlT_E_NS1_11comp_targetILNS1_3genE5ELNS1_11target_archE942ELNS1_3gpuE9ELNS1_3repE0EEENS1_30default_config_static_selectorELNS0_4arch9wavefront6targetE1EEEvSR_
		.amdhsa_group_segment_fixed_size 0
		.amdhsa_private_segment_fixed_size 0
		.amdhsa_kernarg_size 48
		.amdhsa_user_sgpr_count 6
		.amdhsa_user_sgpr_private_segment_buffer 1
		.amdhsa_user_sgpr_dispatch_ptr 0
		.amdhsa_user_sgpr_queue_ptr 0
		.amdhsa_user_sgpr_kernarg_segment_ptr 1
		.amdhsa_user_sgpr_dispatch_id 0
		.amdhsa_user_sgpr_flat_scratch_init 0
		.amdhsa_user_sgpr_private_segment_size 0
		.amdhsa_uses_dynamic_stack 0
		.amdhsa_system_sgpr_private_segment_wavefront_offset 0
		.amdhsa_system_sgpr_workgroup_id_x 1
		.amdhsa_system_sgpr_workgroup_id_y 0
		.amdhsa_system_sgpr_workgroup_id_z 0
		.amdhsa_system_sgpr_workgroup_info 0
		.amdhsa_system_vgpr_workitem_id 0
		.amdhsa_next_free_vgpr 1
		.amdhsa_next_free_sgpr 0
		.amdhsa_reserve_vcc 0
		.amdhsa_reserve_flat_scratch 0
		.amdhsa_float_round_mode_32 0
		.amdhsa_float_round_mode_16_64 0
		.amdhsa_float_denorm_mode_32 3
		.amdhsa_float_denorm_mode_16_64 3
		.amdhsa_dx10_clamp 1
		.amdhsa_ieee_mode 1
		.amdhsa_fp16_overflow 0
		.amdhsa_exception_fp_ieee_invalid_op 0
		.amdhsa_exception_fp_denorm_src 0
		.amdhsa_exception_fp_ieee_div_zero 0
		.amdhsa_exception_fp_ieee_overflow 0
		.amdhsa_exception_fp_ieee_underflow 0
		.amdhsa_exception_fp_ieee_inexact 0
		.amdhsa_exception_int_div_zero 0
	.end_amdhsa_kernel
	.section	.text._ZN7rocprim17ROCPRIM_400000_NS6detail17trampoline_kernelINS0_14default_configENS1_32segmented_reduce_config_selectorIN3c104HalfEEEZNS1_21segmented_reduce_implIS3_PKS6_PS6_PKiS6_N6hipcub16HIPCUB_304000_NS6detail27convert_result_type_wrapperISA_SB_N2at6native12_GLOBAL__N_19CustomSumEEEEE10hipError_tPvRmT0_T1_jT2_SS_T4_T3_P12ihipStream_tbEUlT_E_NS1_11comp_targetILNS1_3genE5ELNS1_11target_archE942ELNS1_3gpuE9ELNS1_3repE0EEENS1_30default_config_static_selectorELNS0_4arch9wavefront6targetE1EEEvSR_,"axG",@progbits,_ZN7rocprim17ROCPRIM_400000_NS6detail17trampoline_kernelINS0_14default_configENS1_32segmented_reduce_config_selectorIN3c104HalfEEEZNS1_21segmented_reduce_implIS3_PKS6_PS6_PKiS6_N6hipcub16HIPCUB_304000_NS6detail27convert_result_type_wrapperISA_SB_N2at6native12_GLOBAL__N_19CustomSumEEEEE10hipError_tPvRmT0_T1_jT2_SS_T4_T3_P12ihipStream_tbEUlT_E_NS1_11comp_targetILNS1_3genE5ELNS1_11target_archE942ELNS1_3gpuE9ELNS1_3repE0EEENS1_30default_config_static_selectorELNS0_4arch9wavefront6targetE1EEEvSR_,comdat
.Lfunc_end86:
	.size	_ZN7rocprim17ROCPRIM_400000_NS6detail17trampoline_kernelINS0_14default_configENS1_32segmented_reduce_config_selectorIN3c104HalfEEEZNS1_21segmented_reduce_implIS3_PKS6_PS6_PKiS6_N6hipcub16HIPCUB_304000_NS6detail27convert_result_type_wrapperISA_SB_N2at6native12_GLOBAL__N_19CustomSumEEEEE10hipError_tPvRmT0_T1_jT2_SS_T4_T3_P12ihipStream_tbEUlT_E_NS1_11comp_targetILNS1_3genE5ELNS1_11target_archE942ELNS1_3gpuE9ELNS1_3repE0EEENS1_30default_config_static_selectorELNS0_4arch9wavefront6targetE1EEEvSR_, .Lfunc_end86-_ZN7rocprim17ROCPRIM_400000_NS6detail17trampoline_kernelINS0_14default_configENS1_32segmented_reduce_config_selectorIN3c104HalfEEEZNS1_21segmented_reduce_implIS3_PKS6_PS6_PKiS6_N6hipcub16HIPCUB_304000_NS6detail27convert_result_type_wrapperISA_SB_N2at6native12_GLOBAL__N_19CustomSumEEEEE10hipError_tPvRmT0_T1_jT2_SS_T4_T3_P12ihipStream_tbEUlT_E_NS1_11comp_targetILNS1_3genE5ELNS1_11target_archE942ELNS1_3gpuE9ELNS1_3repE0EEENS1_30default_config_static_selectorELNS0_4arch9wavefront6targetE1EEEvSR_
                                        ; -- End function
	.set _ZN7rocprim17ROCPRIM_400000_NS6detail17trampoline_kernelINS0_14default_configENS1_32segmented_reduce_config_selectorIN3c104HalfEEEZNS1_21segmented_reduce_implIS3_PKS6_PS6_PKiS6_N6hipcub16HIPCUB_304000_NS6detail27convert_result_type_wrapperISA_SB_N2at6native12_GLOBAL__N_19CustomSumEEEEE10hipError_tPvRmT0_T1_jT2_SS_T4_T3_P12ihipStream_tbEUlT_E_NS1_11comp_targetILNS1_3genE5ELNS1_11target_archE942ELNS1_3gpuE9ELNS1_3repE0EEENS1_30default_config_static_selectorELNS0_4arch9wavefront6targetE1EEEvSR_.num_vgpr, 0
	.set _ZN7rocprim17ROCPRIM_400000_NS6detail17trampoline_kernelINS0_14default_configENS1_32segmented_reduce_config_selectorIN3c104HalfEEEZNS1_21segmented_reduce_implIS3_PKS6_PS6_PKiS6_N6hipcub16HIPCUB_304000_NS6detail27convert_result_type_wrapperISA_SB_N2at6native12_GLOBAL__N_19CustomSumEEEEE10hipError_tPvRmT0_T1_jT2_SS_T4_T3_P12ihipStream_tbEUlT_E_NS1_11comp_targetILNS1_3genE5ELNS1_11target_archE942ELNS1_3gpuE9ELNS1_3repE0EEENS1_30default_config_static_selectorELNS0_4arch9wavefront6targetE1EEEvSR_.num_agpr, 0
	.set _ZN7rocprim17ROCPRIM_400000_NS6detail17trampoline_kernelINS0_14default_configENS1_32segmented_reduce_config_selectorIN3c104HalfEEEZNS1_21segmented_reduce_implIS3_PKS6_PS6_PKiS6_N6hipcub16HIPCUB_304000_NS6detail27convert_result_type_wrapperISA_SB_N2at6native12_GLOBAL__N_19CustomSumEEEEE10hipError_tPvRmT0_T1_jT2_SS_T4_T3_P12ihipStream_tbEUlT_E_NS1_11comp_targetILNS1_3genE5ELNS1_11target_archE942ELNS1_3gpuE9ELNS1_3repE0EEENS1_30default_config_static_selectorELNS0_4arch9wavefront6targetE1EEEvSR_.numbered_sgpr, 0
	.set _ZN7rocprim17ROCPRIM_400000_NS6detail17trampoline_kernelINS0_14default_configENS1_32segmented_reduce_config_selectorIN3c104HalfEEEZNS1_21segmented_reduce_implIS3_PKS6_PS6_PKiS6_N6hipcub16HIPCUB_304000_NS6detail27convert_result_type_wrapperISA_SB_N2at6native12_GLOBAL__N_19CustomSumEEEEE10hipError_tPvRmT0_T1_jT2_SS_T4_T3_P12ihipStream_tbEUlT_E_NS1_11comp_targetILNS1_3genE5ELNS1_11target_archE942ELNS1_3gpuE9ELNS1_3repE0EEENS1_30default_config_static_selectorELNS0_4arch9wavefront6targetE1EEEvSR_.num_named_barrier, 0
	.set _ZN7rocprim17ROCPRIM_400000_NS6detail17trampoline_kernelINS0_14default_configENS1_32segmented_reduce_config_selectorIN3c104HalfEEEZNS1_21segmented_reduce_implIS3_PKS6_PS6_PKiS6_N6hipcub16HIPCUB_304000_NS6detail27convert_result_type_wrapperISA_SB_N2at6native12_GLOBAL__N_19CustomSumEEEEE10hipError_tPvRmT0_T1_jT2_SS_T4_T3_P12ihipStream_tbEUlT_E_NS1_11comp_targetILNS1_3genE5ELNS1_11target_archE942ELNS1_3gpuE9ELNS1_3repE0EEENS1_30default_config_static_selectorELNS0_4arch9wavefront6targetE1EEEvSR_.private_seg_size, 0
	.set _ZN7rocprim17ROCPRIM_400000_NS6detail17trampoline_kernelINS0_14default_configENS1_32segmented_reduce_config_selectorIN3c104HalfEEEZNS1_21segmented_reduce_implIS3_PKS6_PS6_PKiS6_N6hipcub16HIPCUB_304000_NS6detail27convert_result_type_wrapperISA_SB_N2at6native12_GLOBAL__N_19CustomSumEEEEE10hipError_tPvRmT0_T1_jT2_SS_T4_T3_P12ihipStream_tbEUlT_E_NS1_11comp_targetILNS1_3genE5ELNS1_11target_archE942ELNS1_3gpuE9ELNS1_3repE0EEENS1_30default_config_static_selectorELNS0_4arch9wavefront6targetE1EEEvSR_.uses_vcc, 0
	.set _ZN7rocprim17ROCPRIM_400000_NS6detail17trampoline_kernelINS0_14default_configENS1_32segmented_reduce_config_selectorIN3c104HalfEEEZNS1_21segmented_reduce_implIS3_PKS6_PS6_PKiS6_N6hipcub16HIPCUB_304000_NS6detail27convert_result_type_wrapperISA_SB_N2at6native12_GLOBAL__N_19CustomSumEEEEE10hipError_tPvRmT0_T1_jT2_SS_T4_T3_P12ihipStream_tbEUlT_E_NS1_11comp_targetILNS1_3genE5ELNS1_11target_archE942ELNS1_3gpuE9ELNS1_3repE0EEENS1_30default_config_static_selectorELNS0_4arch9wavefront6targetE1EEEvSR_.uses_flat_scratch, 0
	.set _ZN7rocprim17ROCPRIM_400000_NS6detail17trampoline_kernelINS0_14default_configENS1_32segmented_reduce_config_selectorIN3c104HalfEEEZNS1_21segmented_reduce_implIS3_PKS6_PS6_PKiS6_N6hipcub16HIPCUB_304000_NS6detail27convert_result_type_wrapperISA_SB_N2at6native12_GLOBAL__N_19CustomSumEEEEE10hipError_tPvRmT0_T1_jT2_SS_T4_T3_P12ihipStream_tbEUlT_E_NS1_11comp_targetILNS1_3genE5ELNS1_11target_archE942ELNS1_3gpuE9ELNS1_3repE0EEENS1_30default_config_static_selectorELNS0_4arch9wavefront6targetE1EEEvSR_.has_dyn_sized_stack, 0
	.set _ZN7rocprim17ROCPRIM_400000_NS6detail17trampoline_kernelINS0_14default_configENS1_32segmented_reduce_config_selectorIN3c104HalfEEEZNS1_21segmented_reduce_implIS3_PKS6_PS6_PKiS6_N6hipcub16HIPCUB_304000_NS6detail27convert_result_type_wrapperISA_SB_N2at6native12_GLOBAL__N_19CustomSumEEEEE10hipError_tPvRmT0_T1_jT2_SS_T4_T3_P12ihipStream_tbEUlT_E_NS1_11comp_targetILNS1_3genE5ELNS1_11target_archE942ELNS1_3gpuE9ELNS1_3repE0EEENS1_30default_config_static_selectorELNS0_4arch9wavefront6targetE1EEEvSR_.has_recursion, 0
	.set _ZN7rocprim17ROCPRIM_400000_NS6detail17trampoline_kernelINS0_14default_configENS1_32segmented_reduce_config_selectorIN3c104HalfEEEZNS1_21segmented_reduce_implIS3_PKS6_PS6_PKiS6_N6hipcub16HIPCUB_304000_NS6detail27convert_result_type_wrapperISA_SB_N2at6native12_GLOBAL__N_19CustomSumEEEEE10hipError_tPvRmT0_T1_jT2_SS_T4_T3_P12ihipStream_tbEUlT_E_NS1_11comp_targetILNS1_3genE5ELNS1_11target_archE942ELNS1_3gpuE9ELNS1_3repE0EEENS1_30default_config_static_selectorELNS0_4arch9wavefront6targetE1EEEvSR_.has_indirect_call, 0
	.section	.AMDGPU.csdata,"",@progbits
; Kernel info:
; codeLenInByte = 0
; TotalNumSgprs: 4
; NumVgprs: 0
; ScratchSize: 0
; MemoryBound: 0
; FloatMode: 240
; IeeeMode: 1
; LDSByteSize: 0 bytes/workgroup (compile time only)
; SGPRBlocks: 0
; VGPRBlocks: 0
; NumSGPRsForWavesPerEU: 4
; NumVGPRsForWavesPerEU: 1
; Occupancy: 10
; WaveLimiterHint : 0
; COMPUTE_PGM_RSRC2:SCRATCH_EN: 0
; COMPUTE_PGM_RSRC2:USER_SGPR: 6
; COMPUTE_PGM_RSRC2:TRAP_HANDLER: 0
; COMPUTE_PGM_RSRC2:TGID_X_EN: 1
; COMPUTE_PGM_RSRC2:TGID_Y_EN: 0
; COMPUTE_PGM_RSRC2:TGID_Z_EN: 0
; COMPUTE_PGM_RSRC2:TIDIG_COMP_CNT: 0
	.section	.text._ZN7rocprim17ROCPRIM_400000_NS6detail17trampoline_kernelINS0_14default_configENS1_32segmented_reduce_config_selectorIN3c104HalfEEEZNS1_21segmented_reduce_implIS3_PKS6_PS6_PKiS6_N6hipcub16HIPCUB_304000_NS6detail27convert_result_type_wrapperISA_SB_N2at6native12_GLOBAL__N_19CustomSumEEEEE10hipError_tPvRmT0_T1_jT2_SS_T4_T3_P12ihipStream_tbEUlT_E_NS1_11comp_targetILNS1_3genE10ELNS1_11target_archE1201ELNS1_3gpuE5ELNS1_3repE0EEENS1_30default_config_static_selectorELNS0_4arch9wavefront6targetE1EEEvSR_,"axG",@progbits,_ZN7rocprim17ROCPRIM_400000_NS6detail17trampoline_kernelINS0_14default_configENS1_32segmented_reduce_config_selectorIN3c104HalfEEEZNS1_21segmented_reduce_implIS3_PKS6_PS6_PKiS6_N6hipcub16HIPCUB_304000_NS6detail27convert_result_type_wrapperISA_SB_N2at6native12_GLOBAL__N_19CustomSumEEEEE10hipError_tPvRmT0_T1_jT2_SS_T4_T3_P12ihipStream_tbEUlT_E_NS1_11comp_targetILNS1_3genE10ELNS1_11target_archE1201ELNS1_3gpuE5ELNS1_3repE0EEENS1_30default_config_static_selectorELNS0_4arch9wavefront6targetE1EEEvSR_,comdat
	.globl	_ZN7rocprim17ROCPRIM_400000_NS6detail17trampoline_kernelINS0_14default_configENS1_32segmented_reduce_config_selectorIN3c104HalfEEEZNS1_21segmented_reduce_implIS3_PKS6_PS6_PKiS6_N6hipcub16HIPCUB_304000_NS6detail27convert_result_type_wrapperISA_SB_N2at6native12_GLOBAL__N_19CustomSumEEEEE10hipError_tPvRmT0_T1_jT2_SS_T4_T3_P12ihipStream_tbEUlT_E_NS1_11comp_targetILNS1_3genE10ELNS1_11target_archE1201ELNS1_3gpuE5ELNS1_3repE0EEENS1_30default_config_static_selectorELNS0_4arch9wavefront6targetE1EEEvSR_ ; -- Begin function _ZN7rocprim17ROCPRIM_400000_NS6detail17trampoline_kernelINS0_14default_configENS1_32segmented_reduce_config_selectorIN3c104HalfEEEZNS1_21segmented_reduce_implIS3_PKS6_PS6_PKiS6_N6hipcub16HIPCUB_304000_NS6detail27convert_result_type_wrapperISA_SB_N2at6native12_GLOBAL__N_19CustomSumEEEEE10hipError_tPvRmT0_T1_jT2_SS_T4_T3_P12ihipStream_tbEUlT_E_NS1_11comp_targetILNS1_3genE10ELNS1_11target_archE1201ELNS1_3gpuE5ELNS1_3repE0EEENS1_30default_config_static_selectorELNS0_4arch9wavefront6targetE1EEEvSR_
	.p2align	8
	.type	_ZN7rocprim17ROCPRIM_400000_NS6detail17trampoline_kernelINS0_14default_configENS1_32segmented_reduce_config_selectorIN3c104HalfEEEZNS1_21segmented_reduce_implIS3_PKS6_PS6_PKiS6_N6hipcub16HIPCUB_304000_NS6detail27convert_result_type_wrapperISA_SB_N2at6native12_GLOBAL__N_19CustomSumEEEEE10hipError_tPvRmT0_T1_jT2_SS_T4_T3_P12ihipStream_tbEUlT_E_NS1_11comp_targetILNS1_3genE10ELNS1_11target_archE1201ELNS1_3gpuE5ELNS1_3repE0EEENS1_30default_config_static_selectorELNS0_4arch9wavefront6targetE1EEEvSR_,@function
_ZN7rocprim17ROCPRIM_400000_NS6detail17trampoline_kernelINS0_14default_configENS1_32segmented_reduce_config_selectorIN3c104HalfEEEZNS1_21segmented_reduce_implIS3_PKS6_PS6_PKiS6_N6hipcub16HIPCUB_304000_NS6detail27convert_result_type_wrapperISA_SB_N2at6native12_GLOBAL__N_19CustomSumEEEEE10hipError_tPvRmT0_T1_jT2_SS_T4_T3_P12ihipStream_tbEUlT_E_NS1_11comp_targetILNS1_3genE10ELNS1_11target_archE1201ELNS1_3gpuE5ELNS1_3repE0EEENS1_30default_config_static_selectorELNS0_4arch9wavefront6targetE1EEEvSR_: ; @_ZN7rocprim17ROCPRIM_400000_NS6detail17trampoline_kernelINS0_14default_configENS1_32segmented_reduce_config_selectorIN3c104HalfEEEZNS1_21segmented_reduce_implIS3_PKS6_PS6_PKiS6_N6hipcub16HIPCUB_304000_NS6detail27convert_result_type_wrapperISA_SB_N2at6native12_GLOBAL__N_19CustomSumEEEEE10hipError_tPvRmT0_T1_jT2_SS_T4_T3_P12ihipStream_tbEUlT_E_NS1_11comp_targetILNS1_3genE10ELNS1_11target_archE1201ELNS1_3gpuE5ELNS1_3repE0EEENS1_30default_config_static_selectorELNS0_4arch9wavefront6targetE1EEEvSR_
; %bb.0:
	.section	.rodata,"a",@progbits
	.p2align	6, 0x0
	.amdhsa_kernel _ZN7rocprim17ROCPRIM_400000_NS6detail17trampoline_kernelINS0_14default_configENS1_32segmented_reduce_config_selectorIN3c104HalfEEEZNS1_21segmented_reduce_implIS3_PKS6_PS6_PKiS6_N6hipcub16HIPCUB_304000_NS6detail27convert_result_type_wrapperISA_SB_N2at6native12_GLOBAL__N_19CustomSumEEEEE10hipError_tPvRmT0_T1_jT2_SS_T4_T3_P12ihipStream_tbEUlT_E_NS1_11comp_targetILNS1_3genE10ELNS1_11target_archE1201ELNS1_3gpuE5ELNS1_3repE0EEENS1_30default_config_static_selectorELNS0_4arch9wavefront6targetE1EEEvSR_
		.amdhsa_group_segment_fixed_size 0
		.amdhsa_private_segment_fixed_size 0
		.amdhsa_kernarg_size 48
		.amdhsa_user_sgpr_count 6
		.amdhsa_user_sgpr_private_segment_buffer 1
		.amdhsa_user_sgpr_dispatch_ptr 0
		.amdhsa_user_sgpr_queue_ptr 0
		.amdhsa_user_sgpr_kernarg_segment_ptr 1
		.amdhsa_user_sgpr_dispatch_id 0
		.amdhsa_user_sgpr_flat_scratch_init 0
		.amdhsa_user_sgpr_private_segment_size 0
		.amdhsa_uses_dynamic_stack 0
		.amdhsa_system_sgpr_private_segment_wavefront_offset 0
		.amdhsa_system_sgpr_workgroup_id_x 1
		.amdhsa_system_sgpr_workgroup_id_y 0
		.amdhsa_system_sgpr_workgroup_id_z 0
		.amdhsa_system_sgpr_workgroup_info 0
		.amdhsa_system_vgpr_workitem_id 0
		.amdhsa_next_free_vgpr 1
		.amdhsa_next_free_sgpr 0
		.amdhsa_reserve_vcc 0
		.amdhsa_reserve_flat_scratch 0
		.amdhsa_float_round_mode_32 0
		.amdhsa_float_round_mode_16_64 0
		.amdhsa_float_denorm_mode_32 3
		.amdhsa_float_denorm_mode_16_64 3
		.amdhsa_dx10_clamp 1
		.amdhsa_ieee_mode 1
		.amdhsa_fp16_overflow 0
		.amdhsa_exception_fp_ieee_invalid_op 0
		.amdhsa_exception_fp_denorm_src 0
		.amdhsa_exception_fp_ieee_div_zero 0
		.amdhsa_exception_fp_ieee_overflow 0
		.amdhsa_exception_fp_ieee_underflow 0
		.amdhsa_exception_fp_ieee_inexact 0
		.amdhsa_exception_int_div_zero 0
	.end_amdhsa_kernel
	.section	.text._ZN7rocprim17ROCPRIM_400000_NS6detail17trampoline_kernelINS0_14default_configENS1_32segmented_reduce_config_selectorIN3c104HalfEEEZNS1_21segmented_reduce_implIS3_PKS6_PS6_PKiS6_N6hipcub16HIPCUB_304000_NS6detail27convert_result_type_wrapperISA_SB_N2at6native12_GLOBAL__N_19CustomSumEEEEE10hipError_tPvRmT0_T1_jT2_SS_T4_T3_P12ihipStream_tbEUlT_E_NS1_11comp_targetILNS1_3genE10ELNS1_11target_archE1201ELNS1_3gpuE5ELNS1_3repE0EEENS1_30default_config_static_selectorELNS0_4arch9wavefront6targetE1EEEvSR_,"axG",@progbits,_ZN7rocprim17ROCPRIM_400000_NS6detail17trampoline_kernelINS0_14default_configENS1_32segmented_reduce_config_selectorIN3c104HalfEEEZNS1_21segmented_reduce_implIS3_PKS6_PS6_PKiS6_N6hipcub16HIPCUB_304000_NS6detail27convert_result_type_wrapperISA_SB_N2at6native12_GLOBAL__N_19CustomSumEEEEE10hipError_tPvRmT0_T1_jT2_SS_T4_T3_P12ihipStream_tbEUlT_E_NS1_11comp_targetILNS1_3genE10ELNS1_11target_archE1201ELNS1_3gpuE5ELNS1_3repE0EEENS1_30default_config_static_selectorELNS0_4arch9wavefront6targetE1EEEvSR_,comdat
.Lfunc_end87:
	.size	_ZN7rocprim17ROCPRIM_400000_NS6detail17trampoline_kernelINS0_14default_configENS1_32segmented_reduce_config_selectorIN3c104HalfEEEZNS1_21segmented_reduce_implIS3_PKS6_PS6_PKiS6_N6hipcub16HIPCUB_304000_NS6detail27convert_result_type_wrapperISA_SB_N2at6native12_GLOBAL__N_19CustomSumEEEEE10hipError_tPvRmT0_T1_jT2_SS_T4_T3_P12ihipStream_tbEUlT_E_NS1_11comp_targetILNS1_3genE10ELNS1_11target_archE1201ELNS1_3gpuE5ELNS1_3repE0EEENS1_30default_config_static_selectorELNS0_4arch9wavefront6targetE1EEEvSR_, .Lfunc_end87-_ZN7rocprim17ROCPRIM_400000_NS6detail17trampoline_kernelINS0_14default_configENS1_32segmented_reduce_config_selectorIN3c104HalfEEEZNS1_21segmented_reduce_implIS3_PKS6_PS6_PKiS6_N6hipcub16HIPCUB_304000_NS6detail27convert_result_type_wrapperISA_SB_N2at6native12_GLOBAL__N_19CustomSumEEEEE10hipError_tPvRmT0_T1_jT2_SS_T4_T3_P12ihipStream_tbEUlT_E_NS1_11comp_targetILNS1_3genE10ELNS1_11target_archE1201ELNS1_3gpuE5ELNS1_3repE0EEENS1_30default_config_static_selectorELNS0_4arch9wavefront6targetE1EEEvSR_
                                        ; -- End function
	.set _ZN7rocprim17ROCPRIM_400000_NS6detail17trampoline_kernelINS0_14default_configENS1_32segmented_reduce_config_selectorIN3c104HalfEEEZNS1_21segmented_reduce_implIS3_PKS6_PS6_PKiS6_N6hipcub16HIPCUB_304000_NS6detail27convert_result_type_wrapperISA_SB_N2at6native12_GLOBAL__N_19CustomSumEEEEE10hipError_tPvRmT0_T1_jT2_SS_T4_T3_P12ihipStream_tbEUlT_E_NS1_11comp_targetILNS1_3genE10ELNS1_11target_archE1201ELNS1_3gpuE5ELNS1_3repE0EEENS1_30default_config_static_selectorELNS0_4arch9wavefront6targetE1EEEvSR_.num_vgpr, 0
	.set _ZN7rocprim17ROCPRIM_400000_NS6detail17trampoline_kernelINS0_14default_configENS1_32segmented_reduce_config_selectorIN3c104HalfEEEZNS1_21segmented_reduce_implIS3_PKS6_PS6_PKiS6_N6hipcub16HIPCUB_304000_NS6detail27convert_result_type_wrapperISA_SB_N2at6native12_GLOBAL__N_19CustomSumEEEEE10hipError_tPvRmT0_T1_jT2_SS_T4_T3_P12ihipStream_tbEUlT_E_NS1_11comp_targetILNS1_3genE10ELNS1_11target_archE1201ELNS1_3gpuE5ELNS1_3repE0EEENS1_30default_config_static_selectorELNS0_4arch9wavefront6targetE1EEEvSR_.num_agpr, 0
	.set _ZN7rocprim17ROCPRIM_400000_NS6detail17trampoline_kernelINS0_14default_configENS1_32segmented_reduce_config_selectorIN3c104HalfEEEZNS1_21segmented_reduce_implIS3_PKS6_PS6_PKiS6_N6hipcub16HIPCUB_304000_NS6detail27convert_result_type_wrapperISA_SB_N2at6native12_GLOBAL__N_19CustomSumEEEEE10hipError_tPvRmT0_T1_jT2_SS_T4_T3_P12ihipStream_tbEUlT_E_NS1_11comp_targetILNS1_3genE10ELNS1_11target_archE1201ELNS1_3gpuE5ELNS1_3repE0EEENS1_30default_config_static_selectorELNS0_4arch9wavefront6targetE1EEEvSR_.numbered_sgpr, 0
	.set _ZN7rocprim17ROCPRIM_400000_NS6detail17trampoline_kernelINS0_14default_configENS1_32segmented_reduce_config_selectorIN3c104HalfEEEZNS1_21segmented_reduce_implIS3_PKS6_PS6_PKiS6_N6hipcub16HIPCUB_304000_NS6detail27convert_result_type_wrapperISA_SB_N2at6native12_GLOBAL__N_19CustomSumEEEEE10hipError_tPvRmT0_T1_jT2_SS_T4_T3_P12ihipStream_tbEUlT_E_NS1_11comp_targetILNS1_3genE10ELNS1_11target_archE1201ELNS1_3gpuE5ELNS1_3repE0EEENS1_30default_config_static_selectorELNS0_4arch9wavefront6targetE1EEEvSR_.num_named_barrier, 0
	.set _ZN7rocprim17ROCPRIM_400000_NS6detail17trampoline_kernelINS0_14default_configENS1_32segmented_reduce_config_selectorIN3c104HalfEEEZNS1_21segmented_reduce_implIS3_PKS6_PS6_PKiS6_N6hipcub16HIPCUB_304000_NS6detail27convert_result_type_wrapperISA_SB_N2at6native12_GLOBAL__N_19CustomSumEEEEE10hipError_tPvRmT0_T1_jT2_SS_T4_T3_P12ihipStream_tbEUlT_E_NS1_11comp_targetILNS1_3genE10ELNS1_11target_archE1201ELNS1_3gpuE5ELNS1_3repE0EEENS1_30default_config_static_selectorELNS0_4arch9wavefront6targetE1EEEvSR_.private_seg_size, 0
	.set _ZN7rocprim17ROCPRIM_400000_NS6detail17trampoline_kernelINS0_14default_configENS1_32segmented_reduce_config_selectorIN3c104HalfEEEZNS1_21segmented_reduce_implIS3_PKS6_PS6_PKiS6_N6hipcub16HIPCUB_304000_NS6detail27convert_result_type_wrapperISA_SB_N2at6native12_GLOBAL__N_19CustomSumEEEEE10hipError_tPvRmT0_T1_jT2_SS_T4_T3_P12ihipStream_tbEUlT_E_NS1_11comp_targetILNS1_3genE10ELNS1_11target_archE1201ELNS1_3gpuE5ELNS1_3repE0EEENS1_30default_config_static_selectorELNS0_4arch9wavefront6targetE1EEEvSR_.uses_vcc, 0
	.set _ZN7rocprim17ROCPRIM_400000_NS6detail17trampoline_kernelINS0_14default_configENS1_32segmented_reduce_config_selectorIN3c104HalfEEEZNS1_21segmented_reduce_implIS3_PKS6_PS6_PKiS6_N6hipcub16HIPCUB_304000_NS6detail27convert_result_type_wrapperISA_SB_N2at6native12_GLOBAL__N_19CustomSumEEEEE10hipError_tPvRmT0_T1_jT2_SS_T4_T3_P12ihipStream_tbEUlT_E_NS1_11comp_targetILNS1_3genE10ELNS1_11target_archE1201ELNS1_3gpuE5ELNS1_3repE0EEENS1_30default_config_static_selectorELNS0_4arch9wavefront6targetE1EEEvSR_.uses_flat_scratch, 0
	.set _ZN7rocprim17ROCPRIM_400000_NS6detail17trampoline_kernelINS0_14default_configENS1_32segmented_reduce_config_selectorIN3c104HalfEEEZNS1_21segmented_reduce_implIS3_PKS6_PS6_PKiS6_N6hipcub16HIPCUB_304000_NS6detail27convert_result_type_wrapperISA_SB_N2at6native12_GLOBAL__N_19CustomSumEEEEE10hipError_tPvRmT0_T1_jT2_SS_T4_T3_P12ihipStream_tbEUlT_E_NS1_11comp_targetILNS1_3genE10ELNS1_11target_archE1201ELNS1_3gpuE5ELNS1_3repE0EEENS1_30default_config_static_selectorELNS0_4arch9wavefront6targetE1EEEvSR_.has_dyn_sized_stack, 0
	.set _ZN7rocprim17ROCPRIM_400000_NS6detail17trampoline_kernelINS0_14default_configENS1_32segmented_reduce_config_selectorIN3c104HalfEEEZNS1_21segmented_reduce_implIS3_PKS6_PS6_PKiS6_N6hipcub16HIPCUB_304000_NS6detail27convert_result_type_wrapperISA_SB_N2at6native12_GLOBAL__N_19CustomSumEEEEE10hipError_tPvRmT0_T1_jT2_SS_T4_T3_P12ihipStream_tbEUlT_E_NS1_11comp_targetILNS1_3genE10ELNS1_11target_archE1201ELNS1_3gpuE5ELNS1_3repE0EEENS1_30default_config_static_selectorELNS0_4arch9wavefront6targetE1EEEvSR_.has_recursion, 0
	.set _ZN7rocprim17ROCPRIM_400000_NS6detail17trampoline_kernelINS0_14default_configENS1_32segmented_reduce_config_selectorIN3c104HalfEEEZNS1_21segmented_reduce_implIS3_PKS6_PS6_PKiS6_N6hipcub16HIPCUB_304000_NS6detail27convert_result_type_wrapperISA_SB_N2at6native12_GLOBAL__N_19CustomSumEEEEE10hipError_tPvRmT0_T1_jT2_SS_T4_T3_P12ihipStream_tbEUlT_E_NS1_11comp_targetILNS1_3genE10ELNS1_11target_archE1201ELNS1_3gpuE5ELNS1_3repE0EEENS1_30default_config_static_selectorELNS0_4arch9wavefront6targetE1EEEvSR_.has_indirect_call, 0
	.section	.AMDGPU.csdata,"",@progbits
; Kernel info:
; codeLenInByte = 0
; TotalNumSgprs: 4
; NumVgprs: 0
; ScratchSize: 0
; MemoryBound: 0
; FloatMode: 240
; IeeeMode: 1
; LDSByteSize: 0 bytes/workgroup (compile time only)
; SGPRBlocks: 0
; VGPRBlocks: 0
; NumSGPRsForWavesPerEU: 4
; NumVGPRsForWavesPerEU: 1
; Occupancy: 10
; WaveLimiterHint : 0
; COMPUTE_PGM_RSRC2:SCRATCH_EN: 0
; COMPUTE_PGM_RSRC2:USER_SGPR: 6
; COMPUTE_PGM_RSRC2:TRAP_HANDLER: 0
; COMPUTE_PGM_RSRC2:TGID_X_EN: 1
; COMPUTE_PGM_RSRC2:TGID_Y_EN: 0
; COMPUTE_PGM_RSRC2:TGID_Z_EN: 0
; COMPUTE_PGM_RSRC2:TIDIG_COMP_CNT: 0
	.section	.text._ZN7rocprim17ROCPRIM_400000_NS6detail17trampoline_kernelINS0_14default_configENS1_32segmented_reduce_config_selectorIN3c104HalfEEEZNS1_21segmented_reduce_implIS3_PKS6_PS6_PKiS6_N6hipcub16HIPCUB_304000_NS6detail27convert_result_type_wrapperISA_SB_N2at6native12_GLOBAL__N_19CustomSumEEEEE10hipError_tPvRmT0_T1_jT2_SS_T4_T3_P12ihipStream_tbEUlT_E_NS1_11comp_targetILNS1_3genE4ELNS1_11target_archE910ELNS1_3gpuE8ELNS1_3repE0EEENS1_30default_config_static_selectorELNS0_4arch9wavefront6targetE1EEEvSR_,"axG",@progbits,_ZN7rocprim17ROCPRIM_400000_NS6detail17trampoline_kernelINS0_14default_configENS1_32segmented_reduce_config_selectorIN3c104HalfEEEZNS1_21segmented_reduce_implIS3_PKS6_PS6_PKiS6_N6hipcub16HIPCUB_304000_NS6detail27convert_result_type_wrapperISA_SB_N2at6native12_GLOBAL__N_19CustomSumEEEEE10hipError_tPvRmT0_T1_jT2_SS_T4_T3_P12ihipStream_tbEUlT_E_NS1_11comp_targetILNS1_3genE4ELNS1_11target_archE910ELNS1_3gpuE8ELNS1_3repE0EEENS1_30default_config_static_selectorELNS0_4arch9wavefront6targetE1EEEvSR_,comdat
	.globl	_ZN7rocprim17ROCPRIM_400000_NS6detail17trampoline_kernelINS0_14default_configENS1_32segmented_reduce_config_selectorIN3c104HalfEEEZNS1_21segmented_reduce_implIS3_PKS6_PS6_PKiS6_N6hipcub16HIPCUB_304000_NS6detail27convert_result_type_wrapperISA_SB_N2at6native12_GLOBAL__N_19CustomSumEEEEE10hipError_tPvRmT0_T1_jT2_SS_T4_T3_P12ihipStream_tbEUlT_E_NS1_11comp_targetILNS1_3genE4ELNS1_11target_archE910ELNS1_3gpuE8ELNS1_3repE0EEENS1_30default_config_static_selectorELNS0_4arch9wavefront6targetE1EEEvSR_ ; -- Begin function _ZN7rocprim17ROCPRIM_400000_NS6detail17trampoline_kernelINS0_14default_configENS1_32segmented_reduce_config_selectorIN3c104HalfEEEZNS1_21segmented_reduce_implIS3_PKS6_PS6_PKiS6_N6hipcub16HIPCUB_304000_NS6detail27convert_result_type_wrapperISA_SB_N2at6native12_GLOBAL__N_19CustomSumEEEEE10hipError_tPvRmT0_T1_jT2_SS_T4_T3_P12ihipStream_tbEUlT_E_NS1_11comp_targetILNS1_3genE4ELNS1_11target_archE910ELNS1_3gpuE8ELNS1_3repE0EEENS1_30default_config_static_selectorELNS0_4arch9wavefront6targetE1EEEvSR_
	.p2align	8
	.type	_ZN7rocprim17ROCPRIM_400000_NS6detail17trampoline_kernelINS0_14default_configENS1_32segmented_reduce_config_selectorIN3c104HalfEEEZNS1_21segmented_reduce_implIS3_PKS6_PS6_PKiS6_N6hipcub16HIPCUB_304000_NS6detail27convert_result_type_wrapperISA_SB_N2at6native12_GLOBAL__N_19CustomSumEEEEE10hipError_tPvRmT0_T1_jT2_SS_T4_T3_P12ihipStream_tbEUlT_E_NS1_11comp_targetILNS1_3genE4ELNS1_11target_archE910ELNS1_3gpuE8ELNS1_3repE0EEENS1_30default_config_static_selectorELNS0_4arch9wavefront6targetE1EEEvSR_,@function
_ZN7rocprim17ROCPRIM_400000_NS6detail17trampoline_kernelINS0_14default_configENS1_32segmented_reduce_config_selectorIN3c104HalfEEEZNS1_21segmented_reduce_implIS3_PKS6_PS6_PKiS6_N6hipcub16HIPCUB_304000_NS6detail27convert_result_type_wrapperISA_SB_N2at6native12_GLOBAL__N_19CustomSumEEEEE10hipError_tPvRmT0_T1_jT2_SS_T4_T3_P12ihipStream_tbEUlT_E_NS1_11comp_targetILNS1_3genE4ELNS1_11target_archE910ELNS1_3gpuE8ELNS1_3repE0EEENS1_30default_config_static_selectorELNS0_4arch9wavefront6targetE1EEEvSR_: ; @_ZN7rocprim17ROCPRIM_400000_NS6detail17trampoline_kernelINS0_14default_configENS1_32segmented_reduce_config_selectorIN3c104HalfEEEZNS1_21segmented_reduce_implIS3_PKS6_PS6_PKiS6_N6hipcub16HIPCUB_304000_NS6detail27convert_result_type_wrapperISA_SB_N2at6native12_GLOBAL__N_19CustomSumEEEEE10hipError_tPvRmT0_T1_jT2_SS_T4_T3_P12ihipStream_tbEUlT_E_NS1_11comp_targetILNS1_3genE4ELNS1_11target_archE910ELNS1_3gpuE8ELNS1_3repE0EEENS1_30default_config_static_selectorELNS0_4arch9wavefront6targetE1EEEvSR_
; %bb.0:
	.section	.rodata,"a",@progbits
	.p2align	6, 0x0
	.amdhsa_kernel _ZN7rocprim17ROCPRIM_400000_NS6detail17trampoline_kernelINS0_14default_configENS1_32segmented_reduce_config_selectorIN3c104HalfEEEZNS1_21segmented_reduce_implIS3_PKS6_PS6_PKiS6_N6hipcub16HIPCUB_304000_NS6detail27convert_result_type_wrapperISA_SB_N2at6native12_GLOBAL__N_19CustomSumEEEEE10hipError_tPvRmT0_T1_jT2_SS_T4_T3_P12ihipStream_tbEUlT_E_NS1_11comp_targetILNS1_3genE4ELNS1_11target_archE910ELNS1_3gpuE8ELNS1_3repE0EEENS1_30default_config_static_selectorELNS0_4arch9wavefront6targetE1EEEvSR_
		.amdhsa_group_segment_fixed_size 0
		.amdhsa_private_segment_fixed_size 0
		.amdhsa_kernarg_size 48
		.amdhsa_user_sgpr_count 6
		.amdhsa_user_sgpr_private_segment_buffer 1
		.amdhsa_user_sgpr_dispatch_ptr 0
		.amdhsa_user_sgpr_queue_ptr 0
		.amdhsa_user_sgpr_kernarg_segment_ptr 1
		.amdhsa_user_sgpr_dispatch_id 0
		.amdhsa_user_sgpr_flat_scratch_init 0
		.amdhsa_user_sgpr_private_segment_size 0
		.amdhsa_uses_dynamic_stack 0
		.amdhsa_system_sgpr_private_segment_wavefront_offset 0
		.amdhsa_system_sgpr_workgroup_id_x 1
		.amdhsa_system_sgpr_workgroup_id_y 0
		.amdhsa_system_sgpr_workgroup_id_z 0
		.amdhsa_system_sgpr_workgroup_info 0
		.amdhsa_system_vgpr_workitem_id 0
		.amdhsa_next_free_vgpr 1
		.amdhsa_next_free_sgpr 0
		.amdhsa_reserve_vcc 0
		.amdhsa_reserve_flat_scratch 0
		.amdhsa_float_round_mode_32 0
		.amdhsa_float_round_mode_16_64 0
		.amdhsa_float_denorm_mode_32 3
		.amdhsa_float_denorm_mode_16_64 3
		.amdhsa_dx10_clamp 1
		.amdhsa_ieee_mode 1
		.amdhsa_fp16_overflow 0
		.amdhsa_exception_fp_ieee_invalid_op 0
		.amdhsa_exception_fp_denorm_src 0
		.amdhsa_exception_fp_ieee_div_zero 0
		.amdhsa_exception_fp_ieee_overflow 0
		.amdhsa_exception_fp_ieee_underflow 0
		.amdhsa_exception_fp_ieee_inexact 0
		.amdhsa_exception_int_div_zero 0
	.end_amdhsa_kernel
	.section	.text._ZN7rocprim17ROCPRIM_400000_NS6detail17trampoline_kernelINS0_14default_configENS1_32segmented_reduce_config_selectorIN3c104HalfEEEZNS1_21segmented_reduce_implIS3_PKS6_PS6_PKiS6_N6hipcub16HIPCUB_304000_NS6detail27convert_result_type_wrapperISA_SB_N2at6native12_GLOBAL__N_19CustomSumEEEEE10hipError_tPvRmT0_T1_jT2_SS_T4_T3_P12ihipStream_tbEUlT_E_NS1_11comp_targetILNS1_3genE4ELNS1_11target_archE910ELNS1_3gpuE8ELNS1_3repE0EEENS1_30default_config_static_selectorELNS0_4arch9wavefront6targetE1EEEvSR_,"axG",@progbits,_ZN7rocprim17ROCPRIM_400000_NS6detail17trampoline_kernelINS0_14default_configENS1_32segmented_reduce_config_selectorIN3c104HalfEEEZNS1_21segmented_reduce_implIS3_PKS6_PS6_PKiS6_N6hipcub16HIPCUB_304000_NS6detail27convert_result_type_wrapperISA_SB_N2at6native12_GLOBAL__N_19CustomSumEEEEE10hipError_tPvRmT0_T1_jT2_SS_T4_T3_P12ihipStream_tbEUlT_E_NS1_11comp_targetILNS1_3genE4ELNS1_11target_archE910ELNS1_3gpuE8ELNS1_3repE0EEENS1_30default_config_static_selectorELNS0_4arch9wavefront6targetE1EEEvSR_,comdat
.Lfunc_end88:
	.size	_ZN7rocprim17ROCPRIM_400000_NS6detail17trampoline_kernelINS0_14default_configENS1_32segmented_reduce_config_selectorIN3c104HalfEEEZNS1_21segmented_reduce_implIS3_PKS6_PS6_PKiS6_N6hipcub16HIPCUB_304000_NS6detail27convert_result_type_wrapperISA_SB_N2at6native12_GLOBAL__N_19CustomSumEEEEE10hipError_tPvRmT0_T1_jT2_SS_T4_T3_P12ihipStream_tbEUlT_E_NS1_11comp_targetILNS1_3genE4ELNS1_11target_archE910ELNS1_3gpuE8ELNS1_3repE0EEENS1_30default_config_static_selectorELNS0_4arch9wavefront6targetE1EEEvSR_, .Lfunc_end88-_ZN7rocprim17ROCPRIM_400000_NS6detail17trampoline_kernelINS0_14default_configENS1_32segmented_reduce_config_selectorIN3c104HalfEEEZNS1_21segmented_reduce_implIS3_PKS6_PS6_PKiS6_N6hipcub16HIPCUB_304000_NS6detail27convert_result_type_wrapperISA_SB_N2at6native12_GLOBAL__N_19CustomSumEEEEE10hipError_tPvRmT0_T1_jT2_SS_T4_T3_P12ihipStream_tbEUlT_E_NS1_11comp_targetILNS1_3genE4ELNS1_11target_archE910ELNS1_3gpuE8ELNS1_3repE0EEENS1_30default_config_static_selectorELNS0_4arch9wavefront6targetE1EEEvSR_
                                        ; -- End function
	.set _ZN7rocprim17ROCPRIM_400000_NS6detail17trampoline_kernelINS0_14default_configENS1_32segmented_reduce_config_selectorIN3c104HalfEEEZNS1_21segmented_reduce_implIS3_PKS6_PS6_PKiS6_N6hipcub16HIPCUB_304000_NS6detail27convert_result_type_wrapperISA_SB_N2at6native12_GLOBAL__N_19CustomSumEEEEE10hipError_tPvRmT0_T1_jT2_SS_T4_T3_P12ihipStream_tbEUlT_E_NS1_11comp_targetILNS1_3genE4ELNS1_11target_archE910ELNS1_3gpuE8ELNS1_3repE0EEENS1_30default_config_static_selectorELNS0_4arch9wavefront6targetE1EEEvSR_.num_vgpr, 0
	.set _ZN7rocprim17ROCPRIM_400000_NS6detail17trampoline_kernelINS0_14default_configENS1_32segmented_reduce_config_selectorIN3c104HalfEEEZNS1_21segmented_reduce_implIS3_PKS6_PS6_PKiS6_N6hipcub16HIPCUB_304000_NS6detail27convert_result_type_wrapperISA_SB_N2at6native12_GLOBAL__N_19CustomSumEEEEE10hipError_tPvRmT0_T1_jT2_SS_T4_T3_P12ihipStream_tbEUlT_E_NS1_11comp_targetILNS1_3genE4ELNS1_11target_archE910ELNS1_3gpuE8ELNS1_3repE0EEENS1_30default_config_static_selectorELNS0_4arch9wavefront6targetE1EEEvSR_.num_agpr, 0
	.set _ZN7rocprim17ROCPRIM_400000_NS6detail17trampoline_kernelINS0_14default_configENS1_32segmented_reduce_config_selectorIN3c104HalfEEEZNS1_21segmented_reduce_implIS3_PKS6_PS6_PKiS6_N6hipcub16HIPCUB_304000_NS6detail27convert_result_type_wrapperISA_SB_N2at6native12_GLOBAL__N_19CustomSumEEEEE10hipError_tPvRmT0_T1_jT2_SS_T4_T3_P12ihipStream_tbEUlT_E_NS1_11comp_targetILNS1_3genE4ELNS1_11target_archE910ELNS1_3gpuE8ELNS1_3repE0EEENS1_30default_config_static_selectorELNS0_4arch9wavefront6targetE1EEEvSR_.numbered_sgpr, 0
	.set _ZN7rocprim17ROCPRIM_400000_NS6detail17trampoline_kernelINS0_14default_configENS1_32segmented_reduce_config_selectorIN3c104HalfEEEZNS1_21segmented_reduce_implIS3_PKS6_PS6_PKiS6_N6hipcub16HIPCUB_304000_NS6detail27convert_result_type_wrapperISA_SB_N2at6native12_GLOBAL__N_19CustomSumEEEEE10hipError_tPvRmT0_T1_jT2_SS_T4_T3_P12ihipStream_tbEUlT_E_NS1_11comp_targetILNS1_3genE4ELNS1_11target_archE910ELNS1_3gpuE8ELNS1_3repE0EEENS1_30default_config_static_selectorELNS0_4arch9wavefront6targetE1EEEvSR_.num_named_barrier, 0
	.set _ZN7rocprim17ROCPRIM_400000_NS6detail17trampoline_kernelINS0_14default_configENS1_32segmented_reduce_config_selectorIN3c104HalfEEEZNS1_21segmented_reduce_implIS3_PKS6_PS6_PKiS6_N6hipcub16HIPCUB_304000_NS6detail27convert_result_type_wrapperISA_SB_N2at6native12_GLOBAL__N_19CustomSumEEEEE10hipError_tPvRmT0_T1_jT2_SS_T4_T3_P12ihipStream_tbEUlT_E_NS1_11comp_targetILNS1_3genE4ELNS1_11target_archE910ELNS1_3gpuE8ELNS1_3repE0EEENS1_30default_config_static_selectorELNS0_4arch9wavefront6targetE1EEEvSR_.private_seg_size, 0
	.set _ZN7rocprim17ROCPRIM_400000_NS6detail17trampoline_kernelINS0_14default_configENS1_32segmented_reduce_config_selectorIN3c104HalfEEEZNS1_21segmented_reduce_implIS3_PKS6_PS6_PKiS6_N6hipcub16HIPCUB_304000_NS6detail27convert_result_type_wrapperISA_SB_N2at6native12_GLOBAL__N_19CustomSumEEEEE10hipError_tPvRmT0_T1_jT2_SS_T4_T3_P12ihipStream_tbEUlT_E_NS1_11comp_targetILNS1_3genE4ELNS1_11target_archE910ELNS1_3gpuE8ELNS1_3repE0EEENS1_30default_config_static_selectorELNS0_4arch9wavefront6targetE1EEEvSR_.uses_vcc, 0
	.set _ZN7rocprim17ROCPRIM_400000_NS6detail17trampoline_kernelINS0_14default_configENS1_32segmented_reduce_config_selectorIN3c104HalfEEEZNS1_21segmented_reduce_implIS3_PKS6_PS6_PKiS6_N6hipcub16HIPCUB_304000_NS6detail27convert_result_type_wrapperISA_SB_N2at6native12_GLOBAL__N_19CustomSumEEEEE10hipError_tPvRmT0_T1_jT2_SS_T4_T3_P12ihipStream_tbEUlT_E_NS1_11comp_targetILNS1_3genE4ELNS1_11target_archE910ELNS1_3gpuE8ELNS1_3repE0EEENS1_30default_config_static_selectorELNS0_4arch9wavefront6targetE1EEEvSR_.uses_flat_scratch, 0
	.set _ZN7rocprim17ROCPRIM_400000_NS6detail17trampoline_kernelINS0_14default_configENS1_32segmented_reduce_config_selectorIN3c104HalfEEEZNS1_21segmented_reduce_implIS3_PKS6_PS6_PKiS6_N6hipcub16HIPCUB_304000_NS6detail27convert_result_type_wrapperISA_SB_N2at6native12_GLOBAL__N_19CustomSumEEEEE10hipError_tPvRmT0_T1_jT2_SS_T4_T3_P12ihipStream_tbEUlT_E_NS1_11comp_targetILNS1_3genE4ELNS1_11target_archE910ELNS1_3gpuE8ELNS1_3repE0EEENS1_30default_config_static_selectorELNS0_4arch9wavefront6targetE1EEEvSR_.has_dyn_sized_stack, 0
	.set _ZN7rocprim17ROCPRIM_400000_NS6detail17trampoline_kernelINS0_14default_configENS1_32segmented_reduce_config_selectorIN3c104HalfEEEZNS1_21segmented_reduce_implIS3_PKS6_PS6_PKiS6_N6hipcub16HIPCUB_304000_NS6detail27convert_result_type_wrapperISA_SB_N2at6native12_GLOBAL__N_19CustomSumEEEEE10hipError_tPvRmT0_T1_jT2_SS_T4_T3_P12ihipStream_tbEUlT_E_NS1_11comp_targetILNS1_3genE4ELNS1_11target_archE910ELNS1_3gpuE8ELNS1_3repE0EEENS1_30default_config_static_selectorELNS0_4arch9wavefront6targetE1EEEvSR_.has_recursion, 0
	.set _ZN7rocprim17ROCPRIM_400000_NS6detail17trampoline_kernelINS0_14default_configENS1_32segmented_reduce_config_selectorIN3c104HalfEEEZNS1_21segmented_reduce_implIS3_PKS6_PS6_PKiS6_N6hipcub16HIPCUB_304000_NS6detail27convert_result_type_wrapperISA_SB_N2at6native12_GLOBAL__N_19CustomSumEEEEE10hipError_tPvRmT0_T1_jT2_SS_T4_T3_P12ihipStream_tbEUlT_E_NS1_11comp_targetILNS1_3genE4ELNS1_11target_archE910ELNS1_3gpuE8ELNS1_3repE0EEENS1_30default_config_static_selectorELNS0_4arch9wavefront6targetE1EEEvSR_.has_indirect_call, 0
	.section	.AMDGPU.csdata,"",@progbits
; Kernel info:
; codeLenInByte = 0
; TotalNumSgprs: 4
; NumVgprs: 0
; ScratchSize: 0
; MemoryBound: 0
; FloatMode: 240
; IeeeMode: 1
; LDSByteSize: 0 bytes/workgroup (compile time only)
; SGPRBlocks: 0
; VGPRBlocks: 0
; NumSGPRsForWavesPerEU: 4
; NumVGPRsForWavesPerEU: 1
; Occupancy: 10
; WaveLimiterHint : 0
; COMPUTE_PGM_RSRC2:SCRATCH_EN: 0
; COMPUTE_PGM_RSRC2:USER_SGPR: 6
; COMPUTE_PGM_RSRC2:TRAP_HANDLER: 0
; COMPUTE_PGM_RSRC2:TGID_X_EN: 1
; COMPUTE_PGM_RSRC2:TGID_Y_EN: 0
; COMPUTE_PGM_RSRC2:TGID_Z_EN: 0
; COMPUTE_PGM_RSRC2:TIDIG_COMP_CNT: 0
	.section	.text._ZN7rocprim17ROCPRIM_400000_NS6detail17trampoline_kernelINS0_14default_configENS1_32segmented_reduce_config_selectorIN3c104HalfEEEZNS1_21segmented_reduce_implIS3_PKS6_PS6_PKiS6_N6hipcub16HIPCUB_304000_NS6detail27convert_result_type_wrapperISA_SB_N2at6native12_GLOBAL__N_19CustomSumEEEEE10hipError_tPvRmT0_T1_jT2_SS_T4_T3_P12ihipStream_tbEUlT_E_NS1_11comp_targetILNS1_3genE3ELNS1_11target_archE908ELNS1_3gpuE7ELNS1_3repE0EEENS1_30default_config_static_selectorELNS0_4arch9wavefront6targetE1EEEvSR_,"axG",@progbits,_ZN7rocprim17ROCPRIM_400000_NS6detail17trampoline_kernelINS0_14default_configENS1_32segmented_reduce_config_selectorIN3c104HalfEEEZNS1_21segmented_reduce_implIS3_PKS6_PS6_PKiS6_N6hipcub16HIPCUB_304000_NS6detail27convert_result_type_wrapperISA_SB_N2at6native12_GLOBAL__N_19CustomSumEEEEE10hipError_tPvRmT0_T1_jT2_SS_T4_T3_P12ihipStream_tbEUlT_E_NS1_11comp_targetILNS1_3genE3ELNS1_11target_archE908ELNS1_3gpuE7ELNS1_3repE0EEENS1_30default_config_static_selectorELNS0_4arch9wavefront6targetE1EEEvSR_,comdat
	.globl	_ZN7rocprim17ROCPRIM_400000_NS6detail17trampoline_kernelINS0_14default_configENS1_32segmented_reduce_config_selectorIN3c104HalfEEEZNS1_21segmented_reduce_implIS3_PKS6_PS6_PKiS6_N6hipcub16HIPCUB_304000_NS6detail27convert_result_type_wrapperISA_SB_N2at6native12_GLOBAL__N_19CustomSumEEEEE10hipError_tPvRmT0_T1_jT2_SS_T4_T3_P12ihipStream_tbEUlT_E_NS1_11comp_targetILNS1_3genE3ELNS1_11target_archE908ELNS1_3gpuE7ELNS1_3repE0EEENS1_30default_config_static_selectorELNS0_4arch9wavefront6targetE1EEEvSR_ ; -- Begin function _ZN7rocprim17ROCPRIM_400000_NS6detail17trampoline_kernelINS0_14default_configENS1_32segmented_reduce_config_selectorIN3c104HalfEEEZNS1_21segmented_reduce_implIS3_PKS6_PS6_PKiS6_N6hipcub16HIPCUB_304000_NS6detail27convert_result_type_wrapperISA_SB_N2at6native12_GLOBAL__N_19CustomSumEEEEE10hipError_tPvRmT0_T1_jT2_SS_T4_T3_P12ihipStream_tbEUlT_E_NS1_11comp_targetILNS1_3genE3ELNS1_11target_archE908ELNS1_3gpuE7ELNS1_3repE0EEENS1_30default_config_static_selectorELNS0_4arch9wavefront6targetE1EEEvSR_
	.p2align	8
	.type	_ZN7rocprim17ROCPRIM_400000_NS6detail17trampoline_kernelINS0_14default_configENS1_32segmented_reduce_config_selectorIN3c104HalfEEEZNS1_21segmented_reduce_implIS3_PKS6_PS6_PKiS6_N6hipcub16HIPCUB_304000_NS6detail27convert_result_type_wrapperISA_SB_N2at6native12_GLOBAL__N_19CustomSumEEEEE10hipError_tPvRmT0_T1_jT2_SS_T4_T3_P12ihipStream_tbEUlT_E_NS1_11comp_targetILNS1_3genE3ELNS1_11target_archE908ELNS1_3gpuE7ELNS1_3repE0EEENS1_30default_config_static_selectorELNS0_4arch9wavefront6targetE1EEEvSR_,@function
_ZN7rocprim17ROCPRIM_400000_NS6detail17trampoline_kernelINS0_14default_configENS1_32segmented_reduce_config_selectorIN3c104HalfEEEZNS1_21segmented_reduce_implIS3_PKS6_PS6_PKiS6_N6hipcub16HIPCUB_304000_NS6detail27convert_result_type_wrapperISA_SB_N2at6native12_GLOBAL__N_19CustomSumEEEEE10hipError_tPvRmT0_T1_jT2_SS_T4_T3_P12ihipStream_tbEUlT_E_NS1_11comp_targetILNS1_3genE3ELNS1_11target_archE908ELNS1_3gpuE7ELNS1_3repE0EEENS1_30default_config_static_selectorELNS0_4arch9wavefront6targetE1EEEvSR_: ; @_ZN7rocprim17ROCPRIM_400000_NS6detail17trampoline_kernelINS0_14default_configENS1_32segmented_reduce_config_selectorIN3c104HalfEEEZNS1_21segmented_reduce_implIS3_PKS6_PS6_PKiS6_N6hipcub16HIPCUB_304000_NS6detail27convert_result_type_wrapperISA_SB_N2at6native12_GLOBAL__N_19CustomSumEEEEE10hipError_tPvRmT0_T1_jT2_SS_T4_T3_P12ihipStream_tbEUlT_E_NS1_11comp_targetILNS1_3genE3ELNS1_11target_archE908ELNS1_3gpuE7ELNS1_3repE0EEENS1_30default_config_static_selectorELNS0_4arch9wavefront6targetE1EEEvSR_
; %bb.0:
	.section	.rodata,"a",@progbits
	.p2align	6, 0x0
	.amdhsa_kernel _ZN7rocprim17ROCPRIM_400000_NS6detail17trampoline_kernelINS0_14default_configENS1_32segmented_reduce_config_selectorIN3c104HalfEEEZNS1_21segmented_reduce_implIS3_PKS6_PS6_PKiS6_N6hipcub16HIPCUB_304000_NS6detail27convert_result_type_wrapperISA_SB_N2at6native12_GLOBAL__N_19CustomSumEEEEE10hipError_tPvRmT0_T1_jT2_SS_T4_T3_P12ihipStream_tbEUlT_E_NS1_11comp_targetILNS1_3genE3ELNS1_11target_archE908ELNS1_3gpuE7ELNS1_3repE0EEENS1_30default_config_static_selectorELNS0_4arch9wavefront6targetE1EEEvSR_
		.amdhsa_group_segment_fixed_size 0
		.amdhsa_private_segment_fixed_size 0
		.amdhsa_kernarg_size 48
		.amdhsa_user_sgpr_count 6
		.amdhsa_user_sgpr_private_segment_buffer 1
		.amdhsa_user_sgpr_dispatch_ptr 0
		.amdhsa_user_sgpr_queue_ptr 0
		.amdhsa_user_sgpr_kernarg_segment_ptr 1
		.amdhsa_user_sgpr_dispatch_id 0
		.amdhsa_user_sgpr_flat_scratch_init 0
		.amdhsa_user_sgpr_private_segment_size 0
		.amdhsa_uses_dynamic_stack 0
		.amdhsa_system_sgpr_private_segment_wavefront_offset 0
		.amdhsa_system_sgpr_workgroup_id_x 1
		.amdhsa_system_sgpr_workgroup_id_y 0
		.amdhsa_system_sgpr_workgroup_id_z 0
		.amdhsa_system_sgpr_workgroup_info 0
		.amdhsa_system_vgpr_workitem_id 0
		.amdhsa_next_free_vgpr 1
		.amdhsa_next_free_sgpr 0
		.amdhsa_reserve_vcc 0
		.amdhsa_reserve_flat_scratch 0
		.amdhsa_float_round_mode_32 0
		.amdhsa_float_round_mode_16_64 0
		.amdhsa_float_denorm_mode_32 3
		.amdhsa_float_denorm_mode_16_64 3
		.amdhsa_dx10_clamp 1
		.amdhsa_ieee_mode 1
		.amdhsa_fp16_overflow 0
		.amdhsa_exception_fp_ieee_invalid_op 0
		.amdhsa_exception_fp_denorm_src 0
		.amdhsa_exception_fp_ieee_div_zero 0
		.amdhsa_exception_fp_ieee_overflow 0
		.amdhsa_exception_fp_ieee_underflow 0
		.amdhsa_exception_fp_ieee_inexact 0
		.amdhsa_exception_int_div_zero 0
	.end_amdhsa_kernel
	.section	.text._ZN7rocprim17ROCPRIM_400000_NS6detail17trampoline_kernelINS0_14default_configENS1_32segmented_reduce_config_selectorIN3c104HalfEEEZNS1_21segmented_reduce_implIS3_PKS6_PS6_PKiS6_N6hipcub16HIPCUB_304000_NS6detail27convert_result_type_wrapperISA_SB_N2at6native12_GLOBAL__N_19CustomSumEEEEE10hipError_tPvRmT0_T1_jT2_SS_T4_T3_P12ihipStream_tbEUlT_E_NS1_11comp_targetILNS1_3genE3ELNS1_11target_archE908ELNS1_3gpuE7ELNS1_3repE0EEENS1_30default_config_static_selectorELNS0_4arch9wavefront6targetE1EEEvSR_,"axG",@progbits,_ZN7rocprim17ROCPRIM_400000_NS6detail17trampoline_kernelINS0_14default_configENS1_32segmented_reduce_config_selectorIN3c104HalfEEEZNS1_21segmented_reduce_implIS3_PKS6_PS6_PKiS6_N6hipcub16HIPCUB_304000_NS6detail27convert_result_type_wrapperISA_SB_N2at6native12_GLOBAL__N_19CustomSumEEEEE10hipError_tPvRmT0_T1_jT2_SS_T4_T3_P12ihipStream_tbEUlT_E_NS1_11comp_targetILNS1_3genE3ELNS1_11target_archE908ELNS1_3gpuE7ELNS1_3repE0EEENS1_30default_config_static_selectorELNS0_4arch9wavefront6targetE1EEEvSR_,comdat
.Lfunc_end89:
	.size	_ZN7rocprim17ROCPRIM_400000_NS6detail17trampoline_kernelINS0_14default_configENS1_32segmented_reduce_config_selectorIN3c104HalfEEEZNS1_21segmented_reduce_implIS3_PKS6_PS6_PKiS6_N6hipcub16HIPCUB_304000_NS6detail27convert_result_type_wrapperISA_SB_N2at6native12_GLOBAL__N_19CustomSumEEEEE10hipError_tPvRmT0_T1_jT2_SS_T4_T3_P12ihipStream_tbEUlT_E_NS1_11comp_targetILNS1_3genE3ELNS1_11target_archE908ELNS1_3gpuE7ELNS1_3repE0EEENS1_30default_config_static_selectorELNS0_4arch9wavefront6targetE1EEEvSR_, .Lfunc_end89-_ZN7rocprim17ROCPRIM_400000_NS6detail17trampoline_kernelINS0_14default_configENS1_32segmented_reduce_config_selectorIN3c104HalfEEEZNS1_21segmented_reduce_implIS3_PKS6_PS6_PKiS6_N6hipcub16HIPCUB_304000_NS6detail27convert_result_type_wrapperISA_SB_N2at6native12_GLOBAL__N_19CustomSumEEEEE10hipError_tPvRmT0_T1_jT2_SS_T4_T3_P12ihipStream_tbEUlT_E_NS1_11comp_targetILNS1_3genE3ELNS1_11target_archE908ELNS1_3gpuE7ELNS1_3repE0EEENS1_30default_config_static_selectorELNS0_4arch9wavefront6targetE1EEEvSR_
                                        ; -- End function
	.set _ZN7rocprim17ROCPRIM_400000_NS6detail17trampoline_kernelINS0_14default_configENS1_32segmented_reduce_config_selectorIN3c104HalfEEEZNS1_21segmented_reduce_implIS3_PKS6_PS6_PKiS6_N6hipcub16HIPCUB_304000_NS6detail27convert_result_type_wrapperISA_SB_N2at6native12_GLOBAL__N_19CustomSumEEEEE10hipError_tPvRmT0_T1_jT2_SS_T4_T3_P12ihipStream_tbEUlT_E_NS1_11comp_targetILNS1_3genE3ELNS1_11target_archE908ELNS1_3gpuE7ELNS1_3repE0EEENS1_30default_config_static_selectorELNS0_4arch9wavefront6targetE1EEEvSR_.num_vgpr, 0
	.set _ZN7rocprim17ROCPRIM_400000_NS6detail17trampoline_kernelINS0_14default_configENS1_32segmented_reduce_config_selectorIN3c104HalfEEEZNS1_21segmented_reduce_implIS3_PKS6_PS6_PKiS6_N6hipcub16HIPCUB_304000_NS6detail27convert_result_type_wrapperISA_SB_N2at6native12_GLOBAL__N_19CustomSumEEEEE10hipError_tPvRmT0_T1_jT2_SS_T4_T3_P12ihipStream_tbEUlT_E_NS1_11comp_targetILNS1_3genE3ELNS1_11target_archE908ELNS1_3gpuE7ELNS1_3repE0EEENS1_30default_config_static_selectorELNS0_4arch9wavefront6targetE1EEEvSR_.num_agpr, 0
	.set _ZN7rocprim17ROCPRIM_400000_NS6detail17trampoline_kernelINS0_14default_configENS1_32segmented_reduce_config_selectorIN3c104HalfEEEZNS1_21segmented_reduce_implIS3_PKS6_PS6_PKiS6_N6hipcub16HIPCUB_304000_NS6detail27convert_result_type_wrapperISA_SB_N2at6native12_GLOBAL__N_19CustomSumEEEEE10hipError_tPvRmT0_T1_jT2_SS_T4_T3_P12ihipStream_tbEUlT_E_NS1_11comp_targetILNS1_3genE3ELNS1_11target_archE908ELNS1_3gpuE7ELNS1_3repE0EEENS1_30default_config_static_selectorELNS0_4arch9wavefront6targetE1EEEvSR_.numbered_sgpr, 0
	.set _ZN7rocprim17ROCPRIM_400000_NS6detail17trampoline_kernelINS0_14default_configENS1_32segmented_reduce_config_selectorIN3c104HalfEEEZNS1_21segmented_reduce_implIS3_PKS6_PS6_PKiS6_N6hipcub16HIPCUB_304000_NS6detail27convert_result_type_wrapperISA_SB_N2at6native12_GLOBAL__N_19CustomSumEEEEE10hipError_tPvRmT0_T1_jT2_SS_T4_T3_P12ihipStream_tbEUlT_E_NS1_11comp_targetILNS1_3genE3ELNS1_11target_archE908ELNS1_3gpuE7ELNS1_3repE0EEENS1_30default_config_static_selectorELNS0_4arch9wavefront6targetE1EEEvSR_.num_named_barrier, 0
	.set _ZN7rocprim17ROCPRIM_400000_NS6detail17trampoline_kernelINS0_14default_configENS1_32segmented_reduce_config_selectorIN3c104HalfEEEZNS1_21segmented_reduce_implIS3_PKS6_PS6_PKiS6_N6hipcub16HIPCUB_304000_NS6detail27convert_result_type_wrapperISA_SB_N2at6native12_GLOBAL__N_19CustomSumEEEEE10hipError_tPvRmT0_T1_jT2_SS_T4_T3_P12ihipStream_tbEUlT_E_NS1_11comp_targetILNS1_3genE3ELNS1_11target_archE908ELNS1_3gpuE7ELNS1_3repE0EEENS1_30default_config_static_selectorELNS0_4arch9wavefront6targetE1EEEvSR_.private_seg_size, 0
	.set _ZN7rocprim17ROCPRIM_400000_NS6detail17trampoline_kernelINS0_14default_configENS1_32segmented_reduce_config_selectorIN3c104HalfEEEZNS1_21segmented_reduce_implIS3_PKS6_PS6_PKiS6_N6hipcub16HIPCUB_304000_NS6detail27convert_result_type_wrapperISA_SB_N2at6native12_GLOBAL__N_19CustomSumEEEEE10hipError_tPvRmT0_T1_jT2_SS_T4_T3_P12ihipStream_tbEUlT_E_NS1_11comp_targetILNS1_3genE3ELNS1_11target_archE908ELNS1_3gpuE7ELNS1_3repE0EEENS1_30default_config_static_selectorELNS0_4arch9wavefront6targetE1EEEvSR_.uses_vcc, 0
	.set _ZN7rocprim17ROCPRIM_400000_NS6detail17trampoline_kernelINS0_14default_configENS1_32segmented_reduce_config_selectorIN3c104HalfEEEZNS1_21segmented_reduce_implIS3_PKS6_PS6_PKiS6_N6hipcub16HIPCUB_304000_NS6detail27convert_result_type_wrapperISA_SB_N2at6native12_GLOBAL__N_19CustomSumEEEEE10hipError_tPvRmT0_T1_jT2_SS_T4_T3_P12ihipStream_tbEUlT_E_NS1_11comp_targetILNS1_3genE3ELNS1_11target_archE908ELNS1_3gpuE7ELNS1_3repE0EEENS1_30default_config_static_selectorELNS0_4arch9wavefront6targetE1EEEvSR_.uses_flat_scratch, 0
	.set _ZN7rocprim17ROCPRIM_400000_NS6detail17trampoline_kernelINS0_14default_configENS1_32segmented_reduce_config_selectorIN3c104HalfEEEZNS1_21segmented_reduce_implIS3_PKS6_PS6_PKiS6_N6hipcub16HIPCUB_304000_NS6detail27convert_result_type_wrapperISA_SB_N2at6native12_GLOBAL__N_19CustomSumEEEEE10hipError_tPvRmT0_T1_jT2_SS_T4_T3_P12ihipStream_tbEUlT_E_NS1_11comp_targetILNS1_3genE3ELNS1_11target_archE908ELNS1_3gpuE7ELNS1_3repE0EEENS1_30default_config_static_selectorELNS0_4arch9wavefront6targetE1EEEvSR_.has_dyn_sized_stack, 0
	.set _ZN7rocprim17ROCPRIM_400000_NS6detail17trampoline_kernelINS0_14default_configENS1_32segmented_reduce_config_selectorIN3c104HalfEEEZNS1_21segmented_reduce_implIS3_PKS6_PS6_PKiS6_N6hipcub16HIPCUB_304000_NS6detail27convert_result_type_wrapperISA_SB_N2at6native12_GLOBAL__N_19CustomSumEEEEE10hipError_tPvRmT0_T1_jT2_SS_T4_T3_P12ihipStream_tbEUlT_E_NS1_11comp_targetILNS1_3genE3ELNS1_11target_archE908ELNS1_3gpuE7ELNS1_3repE0EEENS1_30default_config_static_selectorELNS0_4arch9wavefront6targetE1EEEvSR_.has_recursion, 0
	.set _ZN7rocprim17ROCPRIM_400000_NS6detail17trampoline_kernelINS0_14default_configENS1_32segmented_reduce_config_selectorIN3c104HalfEEEZNS1_21segmented_reduce_implIS3_PKS6_PS6_PKiS6_N6hipcub16HIPCUB_304000_NS6detail27convert_result_type_wrapperISA_SB_N2at6native12_GLOBAL__N_19CustomSumEEEEE10hipError_tPvRmT0_T1_jT2_SS_T4_T3_P12ihipStream_tbEUlT_E_NS1_11comp_targetILNS1_3genE3ELNS1_11target_archE908ELNS1_3gpuE7ELNS1_3repE0EEENS1_30default_config_static_selectorELNS0_4arch9wavefront6targetE1EEEvSR_.has_indirect_call, 0
	.section	.AMDGPU.csdata,"",@progbits
; Kernel info:
; codeLenInByte = 0
; TotalNumSgprs: 4
; NumVgprs: 0
; ScratchSize: 0
; MemoryBound: 0
; FloatMode: 240
; IeeeMode: 1
; LDSByteSize: 0 bytes/workgroup (compile time only)
; SGPRBlocks: 0
; VGPRBlocks: 0
; NumSGPRsForWavesPerEU: 4
; NumVGPRsForWavesPerEU: 1
; Occupancy: 10
; WaveLimiterHint : 0
; COMPUTE_PGM_RSRC2:SCRATCH_EN: 0
; COMPUTE_PGM_RSRC2:USER_SGPR: 6
; COMPUTE_PGM_RSRC2:TRAP_HANDLER: 0
; COMPUTE_PGM_RSRC2:TGID_X_EN: 1
; COMPUTE_PGM_RSRC2:TGID_Y_EN: 0
; COMPUTE_PGM_RSRC2:TGID_Z_EN: 0
; COMPUTE_PGM_RSRC2:TIDIG_COMP_CNT: 0
	.section	.text._ZN7rocprim17ROCPRIM_400000_NS6detail17trampoline_kernelINS0_14default_configENS1_32segmented_reduce_config_selectorIN3c104HalfEEEZNS1_21segmented_reduce_implIS3_PKS6_PS6_PKiS6_N6hipcub16HIPCUB_304000_NS6detail27convert_result_type_wrapperISA_SB_N2at6native12_GLOBAL__N_19CustomSumEEEEE10hipError_tPvRmT0_T1_jT2_SS_T4_T3_P12ihipStream_tbEUlT_E_NS1_11comp_targetILNS1_3genE2ELNS1_11target_archE906ELNS1_3gpuE6ELNS1_3repE0EEENS1_30default_config_static_selectorELNS0_4arch9wavefront6targetE1EEEvSR_,"axG",@progbits,_ZN7rocprim17ROCPRIM_400000_NS6detail17trampoline_kernelINS0_14default_configENS1_32segmented_reduce_config_selectorIN3c104HalfEEEZNS1_21segmented_reduce_implIS3_PKS6_PS6_PKiS6_N6hipcub16HIPCUB_304000_NS6detail27convert_result_type_wrapperISA_SB_N2at6native12_GLOBAL__N_19CustomSumEEEEE10hipError_tPvRmT0_T1_jT2_SS_T4_T3_P12ihipStream_tbEUlT_E_NS1_11comp_targetILNS1_3genE2ELNS1_11target_archE906ELNS1_3gpuE6ELNS1_3repE0EEENS1_30default_config_static_selectorELNS0_4arch9wavefront6targetE1EEEvSR_,comdat
	.globl	_ZN7rocprim17ROCPRIM_400000_NS6detail17trampoline_kernelINS0_14default_configENS1_32segmented_reduce_config_selectorIN3c104HalfEEEZNS1_21segmented_reduce_implIS3_PKS6_PS6_PKiS6_N6hipcub16HIPCUB_304000_NS6detail27convert_result_type_wrapperISA_SB_N2at6native12_GLOBAL__N_19CustomSumEEEEE10hipError_tPvRmT0_T1_jT2_SS_T4_T3_P12ihipStream_tbEUlT_E_NS1_11comp_targetILNS1_3genE2ELNS1_11target_archE906ELNS1_3gpuE6ELNS1_3repE0EEENS1_30default_config_static_selectorELNS0_4arch9wavefront6targetE1EEEvSR_ ; -- Begin function _ZN7rocprim17ROCPRIM_400000_NS6detail17trampoline_kernelINS0_14default_configENS1_32segmented_reduce_config_selectorIN3c104HalfEEEZNS1_21segmented_reduce_implIS3_PKS6_PS6_PKiS6_N6hipcub16HIPCUB_304000_NS6detail27convert_result_type_wrapperISA_SB_N2at6native12_GLOBAL__N_19CustomSumEEEEE10hipError_tPvRmT0_T1_jT2_SS_T4_T3_P12ihipStream_tbEUlT_E_NS1_11comp_targetILNS1_3genE2ELNS1_11target_archE906ELNS1_3gpuE6ELNS1_3repE0EEENS1_30default_config_static_selectorELNS0_4arch9wavefront6targetE1EEEvSR_
	.p2align	8
	.type	_ZN7rocprim17ROCPRIM_400000_NS6detail17trampoline_kernelINS0_14default_configENS1_32segmented_reduce_config_selectorIN3c104HalfEEEZNS1_21segmented_reduce_implIS3_PKS6_PS6_PKiS6_N6hipcub16HIPCUB_304000_NS6detail27convert_result_type_wrapperISA_SB_N2at6native12_GLOBAL__N_19CustomSumEEEEE10hipError_tPvRmT0_T1_jT2_SS_T4_T3_P12ihipStream_tbEUlT_E_NS1_11comp_targetILNS1_3genE2ELNS1_11target_archE906ELNS1_3gpuE6ELNS1_3repE0EEENS1_30default_config_static_selectorELNS0_4arch9wavefront6targetE1EEEvSR_,@function
_ZN7rocprim17ROCPRIM_400000_NS6detail17trampoline_kernelINS0_14default_configENS1_32segmented_reduce_config_selectorIN3c104HalfEEEZNS1_21segmented_reduce_implIS3_PKS6_PS6_PKiS6_N6hipcub16HIPCUB_304000_NS6detail27convert_result_type_wrapperISA_SB_N2at6native12_GLOBAL__N_19CustomSumEEEEE10hipError_tPvRmT0_T1_jT2_SS_T4_T3_P12ihipStream_tbEUlT_E_NS1_11comp_targetILNS1_3genE2ELNS1_11target_archE906ELNS1_3gpuE6ELNS1_3repE0EEENS1_30default_config_static_selectorELNS0_4arch9wavefront6targetE1EEEvSR_: ; @_ZN7rocprim17ROCPRIM_400000_NS6detail17trampoline_kernelINS0_14default_configENS1_32segmented_reduce_config_selectorIN3c104HalfEEEZNS1_21segmented_reduce_implIS3_PKS6_PS6_PKiS6_N6hipcub16HIPCUB_304000_NS6detail27convert_result_type_wrapperISA_SB_N2at6native12_GLOBAL__N_19CustomSumEEEEE10hipError_tPvRmT0_T1_jT2_SS_T4_T3_P12ihipStream_tbEUlT_E_NS1_11comp_targetILNS1_3genE2ELNS1_11target_archE906ELNS1_3gpuE6ELNS1_3repE0EEENS1_30default_config_static_selectorELNS0_4arch9wavefront6targetE1EEEvSR_
; %bb.0:
	s_load_dword s2, s[4:5], 0x28
	s_load_dwordx8 s[36:43], s[4:5], 0x0
	s_load_dwordx2 s[0:1], s[4:5], 0x20
	s_mov_b32 s7, 0
	v_cmp_eq_u32_e32 vcc, 0, v0
	s_waitcnt lgkmcnt(0)
	s_lshr_b32 s33, s2, 16
	s_lshl_b64 s[2:3], s[40:41], 1
	s_add_u32 s44, s38, s2
	s_addc_u32 s45, s39, s3
	s_lshl_b64 s[2:3], s[40:41], 2
	s_add_u32 s4, s42, s2
	s_addc_u32 s5, s43, s3
	s_add_u32 s8, s0, s2
	s_addc_u32 s9, s1, s3
	s_lshl_b64 s[0:1], s[6:7], 2
	s_add_u32 s2, s4, s0
	s_addc_u32 s3, s5, s1
	s_add_u32 s0, s8, s0
	s_addc_u32 s1, s9, s1
	s_load_dword s34, s[2:3], 0x0
	s_load_dword s42, s[0:1], 0x0
	s_mov_b64 s[0:1], -1
	s_waitcnt lgkmcnt(0)
	s_cmp_gt_i32 s42, s34
	s_cbranch_scc1 .LBB90_4
; %bb.1:
	s_and_saveexec_b64 s[0:1], vcc
	s_cbranch_execz .LBB90_3
; %bb.2:
	s_lshl_b64 s[2:3], s[6:7], 1
	s_add_u32 s2, s44, s2
	s_addc_u32 s3, s45, s3
	v_mov_b32_e32 v1, 0
	v_mov_b32_e32 v2, s33
	global_store_short v1, v2, s[2:3]
.LBB90_3:
	s_or_b64 exec, exec, s[0:1]
	s_mov_b64 s[0:1], 0
.LBB90_4:
	s_andn2_b64 vcc, exec, s[0:1]
	s_cbranch_vccnz .LBB90_69
; %bb.5:
	s_add_i32 s0, s34, 0x1000
	s_cmp_le_i32 s0, s42
	s_movk_i32 s1, 0x1000
	s_cbranch_scc0 .LBB90_46
; %bb.6:
	s_ashr_i32 s35, s34, 31
	s_lshl_b64 s[2:3], s[34:35], 1
	s_add_u32 s2, s36, s2
	s_addc_u32 s3, s37, s3
	v_lshlrev_b32_e32 v18, 1, v0
	v_mov_b32_e32 v1, s3
	v_add_co_u32_e32 v9, vcc, s2, v18
	v_addc_co_u32_e32 v10, vcc, 0, v1, vcc
	global_load_ushort v1, v18, s[2:3]
	global_load_ushort v2, v18, s[2:3] offset:512
	global_load_ushort v3, v18, s[2:3] offset:1024
	;; [unrolled: 1-line block ×7, first 2 shown]
	v_add_co_u32_e32 v19, vcc, s1, v9
	v_addc_co_u32_e32 v20, vcc, 0, v10, vcc
	global_load_ushort v9, v[19:20], off
	global_load_ushort v10, v[19:20], off offset:512
	global_load_ushort v11, v[19:20], off offset:1024
	;; [unrolled: 1-line block ×7, first 2 shown]
	s_add_i32 s1, s34, 0x2000
	s_cmp_ge_i32 s1, s42
	s_waitcnt vmcnt(14)
	v_add_f16_e32 v17, v1, v2
	s_waitcnt vmcnt(13)
	v_add_f16_e32 v17, v17, v3
	;; [unrolled: 2-line block ×15, first 2 shown]
	s_cbranch_scc1 .LBB90_9
; %bb.7:
	v_mov_b32_e32 v1, s37
	v_add_co_u32_e32 v19, vcc, s36, v18
	v_addc_co_u32_e32 v20, vcc, 0, v1, vcc
	s_movk_i32 s1, 0x1000
.LBB90_8:                               ; =>This Inner Loop Header: Depth=1
	s_mov_b32 s2, s0
	s_ashr_i32 s3, s0, 31
	s_lshl_b64 s[4:5], s[2:3], 1
	v_mov_b32_e32 v1, s5
	v_add_co_u32_e32 v9, vcc, s4, v19
	v_addc_co_u32_e32 v10, vcc, v20, v1, vcc
	global_load_ushort v1, v[9:10], off
	global_load_ushort v2, v[9:10], off offset:512
	global_load_ushort v3, v[9:10], off offset:1024
	;; [unrolled: 1-line block ×7, first 2 shown]
	v_add_co_u32_e32 v21, vcc, s1, v9
	v_addc_co_u32_e32 v22, vcc, 0, v10, vcc
	global_load_ushort v9, v[21:22], off
	global_load_ushort v10, v[21:22], off offset:512
	global_load_ushort v11, v[21:22], off offset:1024
	;; [unrolled: 1-line block ×7, first 2 shown]
	s_addk_i32 s0, 0x1000
	s_addk_i32 s2, 0x2000
	s_cmp_lt_i32 s2, s42
	s_waitcnt vmcnt(15)
	v_add_f16_e32 v17, v17, v1
	s_waitcnt vmcnt(14)
	v_add_f16_e32 v17, v17, v2
	;; [unrolled: 2-line block ×16, first 2 shown]
	s_cbranch_scc1 .LBB90_8
.LBB90_9:
	s_ashr_i32 s1, s0, 31
	s_sub_i32 s35, s42, s0
	s_lshl_b64 s[0:1], s[0:1], 1
	s_add_u32 s38, s36, s0
	s_addc_u32 s39, s37, s1
	v_cmp_gt_u32_e32 vcc, s35, v0
	s_and_saveexec_b64 s[0:1], vcc
	s_cbranch_execz .LBB90_11
; %bb.10:
	global_load_ushort v1, v18, s[38:39]
.LBB90_11:
	s_or_b64 exec, exec, s[0:1]
	v_or_b32_e32 v19, 0x100, v0
	v_cmp_gt_u32_e64 s[0:1], s35, v19
	s_and_saveexec_b64 s[2:3], s[0:1]
	s_cbranch_execz .LBB90_13
; %bb.12:
	global_load_ushort v2, v18, s[38:39] offset:512
.LBB90_13:
	s_or_b64 exec, exec, s[2:3]
	v_or_b32_e32 v19, 0x200, v0
	v_cmp_gt_u32_e64 s[2:3], s35, v19
	s_and_saveexec_b64 s[4:5], s[2:3]
	s_cbranch_execz .LBB90_15
; %bb.14:
	global_load_ushort v3, v18, s[38:39] offset:1024
.LBB90_15:
	;; [unrolled: 8-line block ×7, first 2 shown]
	s_or_b64 exec, exec, s[16:17]
	v_or_b32_e32 v18, 0x800, v0
	v_cmp_gt_u32_e64 s[16:17], s35, v18
	s_and_saveexec_b64 s[18:19], s[16:17]
	s_cbranch_execz .LBB90_27
; %bb.26:
	v_lshlrev_b32_e32 v9, 1, v18
	global_load_ushort v9, v9, s[38:39]
.LBB90_27:
	s_or_b64 exec, exec, s[18:19]
	v_or_b32_e32 v18, 0x900, v0
	v_cmp_gt_u32_e64 s[18:19], s35, v18
	s_and_saveexec_b64 s[20:21], s[18:19]
	s_cbranch_execz .LBB90_29
; %bb.28:
	v_lshlrev_b32_e32 v10, 1, v18
	global_load_ushort v10, v10, s[38:39]
.LBB90_29:
	;; [unrolled: 9-line block ×8, first 2 shown]
	s_or_b64 exec, exec, s[40:41]
	s_waitcnt vmcnt(0)
	v_add_f16_e32 v1, v17, v1
	v_cndmask_b32_e32 v1, v17, v1, vcc
	v_add_f16_e32 v2, v1, v2
	v_cndmask_b32_e64 v1, v1, v2, s[0:1]
	v_add_f16_e32 v2, v1, v3
	v_cndmask_b32_e64 v1, v1, v2, s[2:3]
	;; [unrolled: 2-line block ×15, first 2 shown]
	v_and_b32_e32 v3, 0xffff, v2
	v_mbcnt_lo_u32_b32 v1, -1, 0
	v_mbcnt_hi_u32_b32 v1, -1, v1
	v_add_f16_dpp v2, v3, v2 quad_perm:[1,0,3,2] row_mask:0xf bank_mask:0xf bound_ctrl:1
	v_lshlrev_b32_e32 v3, 2, v1
	v_or_b32_e32 v4, 0xfc, v3
	v_add_f16_dpp v2, v2, v2 quad_perm:[2,3,0,1] row_mask:0xf bank_mask:0xf bound_ctrl:1
	v_cmp_eq_u32_e32 vcc, 0, v1
	s_nop 0
	v_add_f16_dpp v2, v2, v2 row_ror:4 row_mask:0xf bank_mask:0xf bound_ctrl:1
	s_nop 1
	v_add_f16_dpp v2, v2, v2 row_ror:8 row_mask:0xf bank_mask:0xf bound_ctrl:1
	s_nop 1
	v_add_f16_dpp v2, v2, v2 row_bcast:15 row_mask:0xf bank_mask:0xf bound_ctrl:1
	s_nop 1
	v_add_f16_dpp v2, v2, v2 row_bcast:31 row_mask:0xf bank_mask:0xf bound_ctrl:1
	ds_bpermute_b32 v2, v4, v2
	s_and_saveexec_b64 s[0:1], vcc
	s_cbranch_execz .LBB90_43
; %bb.42:
	v_lshrrev_b32_e32 v4, 5, v0
	v_and_b32_e32 v4, 6, v4
	s_waitcnt lgkmcnt(0)
	ds_write_b16 v4, v2
.LBB90_43:
	s_or_b64 exec, exec, s[0:1]
	v_cmp_gt_u32_e32 vcc, 64, v0
	s_waitcnt lgkmcnt(0)
	s_barrier
	s_and_saveexec_b64 s[0:1], vcc
	s_cbranch_execz .LBB90_45
; %bb.44:
	v_and_b32_e32 v2, 3, v1
	v_lshlrev_b32_e32 v4, 1, v2
	ds_read_u16 v4, v4
	v_cmp_ne_u32_e32 vcc, 3, v2
	v_addc_co_u32_e32 v1, vcc, 0, v1, vcc
	v_lshlrev_b32_e32 v1, 2, v1
	s_waitcnt lgkmcnt(0)
	v_and_b32_e32 v2, 0xffff, v4
	ds_bpermute_b32 v1, v1, v2
	v_or_b32_e32 v2, 8, v3
	s_waitcnt lgkmcnt(0)
	v_add_f16_e32 v1, v4, v1
	ds_bpermute_b32 v2, v2, v1
	s_waitcnt lgkmcnt(0)
	v_add_f16_e32 v2, v1, v2
.LBB90_45:
	s_or_b64 exec, exec, s[0:1]
	s_branch .LBB90_67
.LBB90_46:
                                        ; implicit-def: $vgpr2
	s_cbranch_execz .LBB90_67
; %bb.47:
	s_sub_i32 s12, s42, s34
	v_cmp_gt_u32_e32 vcc, s12, v0
                                        ; implicit-def: $vgpr3
	s_and_saveexec_b64 s[0:1], vcc
	s_cbranch_execz .LBB90_53
; %bb.48:
	v_add_u32_e32 v1, s34, v0
	v_ashrrev_i32_e32 v2, 31, v1
	v_lshlrev_b64 v[2:3], 1, v[1:2]
	v_mov_b32_e32 v4, s37
	v_add_co_u32_e32 v2, vcc, s36, v2
	v_addc_co_u32_e32 v3, vcc, v4, v3, vcc
	global_load_ushort v3, v[2:3], off
	v_add_u32_e32 v1, 0x100, v1
	v_cmp_gt_i32_e32 vcc, s42, v1
	s_and_saveexec_b64 s[2:3], vcc
	s_cbranch_execz .LBB90_52
; %bb.49:
	s_mov_b64 s[4:5], 0
	v_mov_b32_e32 v4, s37
.LBB90_50:                              ; =>This Inner Loop Header: Depth=1
	v_ashrrev_i32_e32 v2, 31, v1
	v_lshlrev_b64 v[5:6], 1, v[1:2]
	v_add_u32_e32 v1, 0x100, v1
	v_add_co_u32_e32 v5, vcc, s36, v5
	v_addc_co_u32_e32 v6, vcc, v4, v6, vcc
	global_load_ushort v2, v[5:6], off
	v_cmp_le_i32_e32 vcc, s42, v1
	s_or_b64 s[4:5], vcc, s[4:5]
	s_waitcnt vmcnt(0)
	v_add_f16_e32 v3, v3, v2
	s_andn2_b64 exec, exec, s[4:5]
	s_cbranch_execnz .LBB90_50
; %bb.51:
	s_or_b64 exec, exec, s[4:5]
.LBB90_52:
	s_or_b64 exec, exec, s[2:3]
.LBB90_53:
	s_or_b64 exec, exec, s[0:1]
	s_cmpk_lt_u32 s12, 0x100
	v_mbcnt_lo_u32_b32 v1, -1, 0
	s_cbranch_scc0 .LBB90_61
; %bb.54:
	v_mbcnt_hi_u32_b32 v4, -1, v1
	v_and_b32_e32 v6, 63, v4
	v_cmp_ne_u32_e32 vcc, 63, v6
	v_addc_co_u32_e32 v2, vcc, 0, v4, vcc
	v_lshlrev_b32_e32 v2, 2, v2
	s_waitcnt vmcnt(0)
	v_and_b32_e32 v7, 0xffff, v3
	ds_bpermute_b32 v2, v2, v7
	v_and_b32_e32 v5, 0xc0, v0
	v_sub_u32_e64 v5, s12, v5 clamp
	v_add_u32_e32 v9, 1, v6
	v_cmp_lt_u32_e64 s[8:9], v9, v5
	s_waitcnt lgkmcnt(0)
	v_add_f16_e32 v8, v3, v2
	v_cmp_gt_u32_e32 vcc, 62, v6
	v_cndmask_b32_e64 v2, v7, v8, s[8:9]
	v_cndmask_b32_e64 v7, 0, 2, vcc
	v_add_lshl_u32 v7, v7, v4, 2
	ds_bpermute_b32 v7, v7, v2
	v_add_u32_e32 v10, 2, v6
	v_cndmask_b32_e64 v11, v3, v8, s[8:9]
	v_cmp_gt_u32_e64 s[0:1], 60, v6
	v_cmp_lt_u32_e32 vcc, v10, v5
	s_waitcnt lgkmcnt(0)
	v_add_f16_e32 v9, v11, v7
	v_cndmask_b32_e64 v7, 0, 4, s[0:1]
	v_cndmask_b32_e32 v2, v2, v9, vcc
	v_add_lshl_u32 v7, v7, v4, 2
	ds_bpermute_b32 v7, v7, v2
	v_add_u32_e32 v12, 4, v6
	v_cndmask_b32_e32 v11, v11, v9, vcc
	v_cmp_gt_u32_e64 s[2:3], 56, v6
	v_cmp_lt_u32_e64 s[0:1], v12, v5
	s_waitcnt lgkmcnt(0)
	v_add_f16_e32 v10, v11, v7
	v_cndmask_b32_e64 v7, 0, 8, s[2:3]
	v_cndmask_b32_e64 v2, v2, v10, s[0:1]
	v_add_lshl_u32 v7, v7, v4, 2
	ds_bpermute_b32 v7, v7, v2
	v_add_u32_e32 v12, 8, v6
	v_cndmask_b32_e64 v13, v11, v10, s[0:1]
	v_cmp_gt_u32_e64 s[4:5], 48, v6
	v_cmp_lt_u32_e64 s[2:3], v12, v5
	s_waitcnt lgkmcnt(0)
	v_add_f16_e32 v11, v13, v7
	v_cndmask_b32_e64 v7, 0, 16, s[4:5]
	v_cndmask_b32_e64 v2, v2, v11, s[2:3]
	v_add_lshl_u32 v7, v7, v4, 2
	ds_bpermute_b32 v7, v7, v2
	v_add_u32_e32 v14, 16, v6
	v_cndmask_b32_e64 v13, v13, v11, s[2:3]
	v_cmp_lt_u32_e64 s[4:5], v14, v5
	s_waitcnt lgkmcnt(0)
	v_add_f16_e32 v12, v13, v7
	v_lshlrev_b32_e32 v7, 2, v4
	v_cndmask_b32_e64 v2, v2, v12, s[4:5]
	v_or_b32_e32 v14, 0x80, v7
	ds_bpermute_b32 v14, v14, v2
	v_mov_b32_e32 v2, v3
	s_and_saveexec_b64 s[10:11], s[8:9]
	s_cbranch_execz .LBB90_56
; %bb.55:
	v_cndmask_b32_e32 v8, v8, v9, vcc
	v_cndmask_b32_e64 v8, v8, v10, s[0:1]
	v_add_u32_e32 v2, 32, v6
	v_cndmask_b32_e64 v6, v13, v12, s[4:5]
	v_cndmask_b32_e64 v8, v8, v11, s[2:3]
	s_waitcnt lgkmcnt(0)
	v_add_f16_e32 v6, v6, v14
	v_cndmask_b32_e64 v8, v8, v12, s[4:5]
	v_cmp_lt_u32_e32 vcc, v2, v5
	v_cndmask_b32_e32 v2, v8, v6, vcc
.LBB90_56:
	s_or_b64 exec, exec, s[10:11]
	v_cmp_eq_u32_e32 vcc, 0, v4
	s_and_saveexec_b64 s[0:1], vcc
; %bb.57:
	v_lshrrev_b32_e32 v5, 5, v0
	v_and_b32_e32 v5, 6, v5
	ds_write_b16 v5, v2
; %bb.58:
	s_or_b64 exec, exec, s[0:1]
	v_cmp_gt_u32_e32 vcc, 4, v0
	s_waitcnt lgkmcnt(0)
	s_barrier
	s_and_saveexec_b64 s[2:3], vcc
	s_cbranch_execz .LBB90_60
; %bb.59:
	v_lshlrev_b32_e32 v2, 1, v4
	ds_read_u16 v2, v2
	v_and_b32_e32 v5, 3, v4
	v_cmp_ne_u32_e32 vcc, 3, v5
	v_addc_co_u32_e32 v4, vcc, 0, v4, vcc
	v_lshlrev_b32_e32 v4, 2, v4
	s_waitcnt lgkmcnt(0)
	v_and_b32_e32 v6, 0xffff, v2
	ds_bpermute_b32 v4, v4, v6
	s_add_i32 s12, s12, 63
	s_lshr_b32 s0, s12, 6
	v_add_u32_e32 v8, 1, v5
	v_cmp_gt_u32_e32 vcc, s0, v8
	s_waitcnt lgkmcnt(0)
	v_add_f16_e32 v4, v2, v4
	v_cndmask_b32_e32 v6, v6, v4, vcc
	v_or_b32_e32 v7, 8, v7
	ds_bpermute_b32 v6, v7, v6
	v_add_u32_e32 v5, 2, v5
	v_cmp_gt_u32_e64 s[0:1], s0, v5
	s_waitcnt lgkmcnt(0)
	v_add_f16_e32 v6, v4, v6
	v_cndmask_b32_e64 v4, v4, v6, s[0:1]
	v_cndmask_b32_e32 v2, v2, v4, vcc
.LBB90_60:
	s_or_b64 exec, exec, s[2:3]
	s_branch .LBB90_67
.LBB90_61:
                                        ; implicit-def: $vgpr2
	s_cbranch_execz .LBB90_67
; %bb.62:
	s_waitcnt vmcnt(0)
	v_and_b32_e32 v2, 0xffff, v3
	v_mbcnt_hi_u32_b32 v1, -1, v1
	v_cmp_eq_u32_e32 vcc, 0, v1
	v_add_f16_dpp v2, v2, v3 quad_perm:[1,0,3,2] row_mask:0xf bank_mask:0xf bound_ctrl:1
	v_lshlrev_b32_e32 v3, 2, v1
	v_or_b32_e32 v4, 0xfc, v3
	v_add_f16_dpp v2, v2, v2 quad_perm:[2,3,0,1] row_mask:0xf bank_mask:0xf bound_ctrl:1
	s_nop 1
	v_add_f16_dpp v2, v2, v2 row_ror:4 row_mask:0xf bank_mask:0xf bound_ctrl:1
	s_nop 1
	v_add_f16_dpp v2, v2, v2 row_ror:8 row_mask:0xf bank_mask:0xf bound_ctrl:1
	s_nop 1
	v_add_f16_dpp v2, v2, v2 row_bcast:15 row_mask:0xf bank_mask:0xf bound_ctrl:1
	s_nop 1
	v_add_f16_dpp v2, v2, v2 row_bcast:31 row_mask:0xf bank_mask:0xf bound_ctrl:1
	ds_bpermute_b32 v2, v4, v2
	s_and_saveexec_b64 s[0:1], vcc
	s_cbranch_execz .LBB90_64
; %bb.63:
	v_lshrrev_b32_e32 v4, 5, v0
	v_and_b32_e32 v4, 6, v4
	s_waitcnt lgkmcnt(0)
	ds_write_b16 v4, v2
.LBB90_64:
	s_or_b64 exec, exec, s[0:1]
	v_cmp_gt_u32_e32 vcc, 64, v0
	s_waitcnt lgkmcnt(0)
	s_barrier
	s_and_saveexec_b64 s[0:1], vcc
	s_cbranch_execz .LBB90_66
; %bb.65:
	v_and_b32_e32 v2, 3, v1
	v_lshlrev_b32_e32 v4, 1, v2
	ds_read_u16 v4, v4
	v_cmp_ne_u32_e32 vcc, 3, v2
	v_addc_co_u32_e32 v1, vcc, 0, v1, vcc
	v_lshlrev_b32_e32 v1, 2, v1
	s_waitcnt lgkmcnt(0)
	v_and_b32_e32 v2, 0xffff, v4
	ds_bpermute_b32 v1, v1, v2
	v_or_b32_e32 v2, 8, v3
	s_waitcnt lgkmcnt(0)
	v_add_f16_e32 v1, v4, v1
	ds_bpermute_b32 v2, v2, v1
	s_waitcnt lgkmcnt(0)
	v_add_f16_e32 v2, v1, v2
.LBB90_66:
	s_or_b64 exec, exec, s[0:1]
.LBB90_67:
	v_cmp_eq_u32_e32 vcc, 0, v0
	s_and_saveexec_b64 s[0:1], vcc
	s_cbranch_execz .LBB90_69
; %bb.68:
	s_lshl_b64 s[0:1], s[6:7], 1
	s_add_u32 s0, s44, s0
	s_addc_u32 s1, s45, s1
	v_mov_b32_e32 v0, 0
	v_add_f16_e32 v1, s33, v2
	global_store_short v0, v1, s[0:1]
.LBB90_69:
	s_endpgm
	.section	.rodata,"a",@progbits
	.p2align	6, 0x0
	.amdhsa_kernel _ZN7rocprim17ROCPRIM_400000_NS6detail17trampoline_kernelINS0_14default_configENS1_32segmented_reduce_config_selectorIN3c104HalfEEEZNS1_21segmented_reduce_implIS3_PKS6_PS6_PKiS6_N6hipcub16HIPCUB_304000_NS6detail27convert_result_type_wrapperISA_SB_N2at6native12_GLOBAL__N_19CustomSumEEEEE10hipError_tPvRmT0_T1_jT2_SS_T4_T3_P12ihipStream_tbEUlT_E_NS1_11comp_targetILNS1_3genE2ELNS1_11target_archE906ELNS1_3gpuE6ELNS1_3repE0EEENS1_30default_config_static_selectorELNS0_4arch9wavefront6targetE1EEEvSR_
		.amdhsa_group_segment_fixed_size 8
		.amdhsa_private_segment_fixed_size 0
		.amdhsa_kernarg_size 48
		.amdhsa_user_sgpr_count 6
		.amdhsa_user_sgpr_private_segment_buffer 1
		.amdhsa_user_sgpr_dispatch_ptr 0
		.amdhsa_user_sgpr_queue_ptr 0
		.amdhsa_user_sgpr_kernarg_segment_ptr 1
		.amdhsa_user_sgpr_dispatch_id 0
		.amdhsa_user_sgpr_flat_scratch_init 0
		.amdhsa_user_sgpr_private_segment_size 0
		.amdhsa_uses_dynamic_stack 0
		.amdhsa_system_sgpr_private_segment_wavefront_offset 0
		.amdhsa_system_sgpr_workgroup_id_x 1
		.amdhsa_system_sgpr_workgroup_id_y 0
		.amdhsa_system_sgpr_workgroup_id_z 0
		.amdhsa_system_sgpr_workgroup_info 0
		.amdhsa_system_vgpr_workitem_id 0
		.amdhsa_next_free_vgpr 23
		.amdhsa_next_free_sgpr 46
		.amdhsa_reserve_vcc 1
		.amdhsa_reserve_flat_scratch 0
		.amdhsa_float_round_mode_32 0
		.amdhsa_float_round_mode_16_64 0
		.amdhsa_float_denorm_mode_32 3
		.amdhsa_float_denorm_mode_16_64 3
		.amdhsa_dx10_clamp 1
		.amdhsa_ieee_mode 1
		.amdhsa_fp16_overflow 0
		.amdhsa_exception_fp_ieee_invalid_op 0
		.amdhsa_exception_fp_denorm_src 0
		.amdhsa_exception_fp_ieee_div_zero 0
		.amdhsa_exception_fp_ieee_overflow 0
		.amdhsa_exception_fp_ieee_underflow 0
		.amdhsa_exception_fp_ieee_inexact 0
		.amdhsa_exception_int_div_zero 0
	.end_amdhsa_kernel
	.section	.text._ZN7rocprim17ROCPRIM_400000_NS6detail17trampoline_kernelINS0_14default_configENS1_32segmented_reduce_config_selectorIN3c104HalfEEEZNS1_21segmented_reduce_implIS3_PKS6_PS6_PKiS6_N6hipcub16HIPCUB_304000_NS6detail27convert_result_type_wrapperISA_SB_N2at6native12_GLOBAL__N_19CustomSumEEEEE10hipError_tPvRmT0_T1_jT2_SS_T4_T3_P12ihipStream_tbEUlT_E_NS1_11comp_targetILNS1_3genE2ELNS1_11target_archE906ELNS1_3gpuE6ELNS1_3repE0EEENS1_30default_config_static_selectorELNS0_4arch9wavefront6targetE1EEEvSR_,"axG",@progbits,_ZN7rocprim17ROCPRIM_400000_NS6detail17trampoline_kernelINS0_14default_configENS1_32segmented_reduce_config_selectorIN3c104HalfEEEZNS1_21segmented_reduce_implIS3_PKS6_PS6_PKiS6_N6hipcub16HIPCUB_304000_NS6detail27convert_result_type_wrapperISA_SB_N2at6native12_GLOBAL__N_19CustomSumEEEEE10hipError_tPvRmT0_T1_jT2_SS_T4_T3_P12ihipStream_tbEUlT_E_NS1_11comp_targetILNS1_3genE2ELNS1_11target_archE906ELNS1_3gpuE6ELNS1_3repE0EEENS1_30default_config_static_selectorELNS0_4arch9wavefront6targetE1EEEvSR_,comdat
.Lfunc_end90:
	.size	_ZN7rocprim17ROCPRIM_400000_NS6detail17trampoline_kernelINS0_14default_configENS1_32segmented_reduce_config_selectorIN3c104HalfEEEZNS1_21segmented_reduce_implIS3_PKS6_PS6_PKiS6_N6hipcub16HIPCUB_304000_NS6detail27convert_result_type_wrapperISA_SB_N2at6native12_GLOBAL__N_19CustomSumEEEEE10hipError_tPvRmT0_T1_jT2_SS_T4_T3_P12ihipStream_tbEUlT_E_NS1_11comp_targetILNS1_3genE2ELNS1_11target_archE906ELNS1_3gpuE6ELNS1_3repE0EEENS1_30default_config_static_selectorELNS0_4arch9wavefront6targetE1EEEvSR_, .Lfunc_end90-_ZN7rocprim17ROCPRIM_400000_NS6detail17trampoline_kernelINS0_14default_configENS1_32segmented_reduce_config_selectorIN3c104HalfEEEZNS1_21segmented_reduce_implIS3_PKS6_PS6_PKiS6_N6hipcub16HIPCUB_304000_NS6detail27convert_result_type_wrapperISA_SB_N2at6native12_GLOBAL__N_19CustomSumEEEEE10hipError_tPvRmT0_T1_jT2_SS_T4_T3_P12ihipStream_tbEUlT_E_NS1_11comp_targetILNS1_3genE2ELNS1_11target_archE906ELNS1_3gpuE6ELNS1_3repE0EEENS1_30default_config_static_selectorELNS0_4arch9wavefront6targetE1EEEvSR_
                                        ; -- End function
	.set _ZN7rocprim17ROCPRIM_400000_NS6detail17trampoline_kernelINS0_14default_configENS1_32segmented_reduce_config_selectorIN3c104HalfEEEZNS1_21segmented_reduce_implIS3_PKS6_PS6_PKiS6_N6hipcub16HIPCUB_304000_NS6detail27convert_result_type_wrapperISA_SB_N2at6native12_GLOBAL__N_19CustomSumEEEEE10hipError_tPvRmT0_T1_jT2_SS_T4_T3_P12ihipStream_tbEUlT_E_NS1_11comp_targetILNS1_3genE2ELNS1_11target_archE906ELNS1_3gpuE6ELNS1_3repE0EEENS1_30default_config_static_selectorELNS0_4arch9wavefront6targetE1EEEvSR_.num_vgpr, 23
	.set _ZN7rocprim17ROCPRIM_400000_NS6detail17trampoline_kernelINS0_14default_configENS1_32segmented_reduce_config_selectorIN3c104HalfEEEZNS1_21segmented_reduce_implIS3_PKS6_PS6_PKiS6_N6hipcub16HIPCUB_304000_NS6detail27convert_result_type_wrapperISA_SB_N2at6native12_GLOBAL__N_19CustomSumEEEEE10hipError_tPvRmT0_T1_jT2_SS_T4_T3_P12ihipStream_tbEUlT_E_NS1_11comp_targetILNS1_3genE2ELNS1_11target_archE906ELNS1_3gpuE6ELNS1_3repE0EEENS1_30default_config_static_selectorELNS0_4arch9wavefront6targetE1EEEvSR_.num_agpr, 0
	.set _ZN7rocprim17ROCPRIM_400000_NS6detail17trampoline_kernelINS0_14default_configENS1_32segmented_reduce_config_selectorIN3c104HalfEEEZNS1_21segmented_reduce_implIS3_PKS6_PS6_PKiS6_N6hipcub16HIPCUB_304000_NS6detail27convert_result_type_wrapperISA_SB_N2at6native12_GLOBAL__N_19CustomSumEEEEE10hipError_tPvRmT0_T1_jT2_SS_T4_T3_P12ihipStream_tbEUlT_E_NS1_11comp_targetILNS1_3genE2ELNS1_11target_archE906ELNS1_3gpuE6ELNS1_3repE0EEENS1_30default_config_static_selectorELNS0_4arch9wavefront6targetE1EEEvSR_.numbered_sgpr, 46
	.set _ZN7rocprim17ROCPRIM_400000_NS6detail17trampoline_kernelINS0_14default_configENS1_32segmented_reduce_config_selectorIN3c104HalfEEEZNS1_21segmented_reduce_implIS3_PKS6_PS6_PKiS6_N6hipcub16HIPCUB_304000_NS6detail27convert_result_type_wrapperISA_SB_N2at6native12_GLOBAL__N_19CustomSumEEEEE10hipError_tPvRmT0_T1_jT2_SS_T4_T3_P12ihipStream_tbEUlT_E_NS1_11comp_targetILNS1_3genE2ELNS1_11target_archE906ELNS1_3gpuE6ELNS1_3repE0EEENS1_30default_config_static_selectorELNS0_4arch9wavefront6targetE1EEEvSR_.num_named_barrier, 0
	.set _ZN7rocprim17ROCPRIM_400000_NS6detail17trampoline_kernelINS0_14default_configENS1_32segmented_reduce_config_selectorIN3c104HalfEEEZNS1_21segmented_reduce_implIS3_PKS6_PS6_PKiS6_N6hipcub16HIPCUB_304000_NS6detail27convert_result_type_wrapperISA_SB_N2at6native12_GLOBAL__N_19CustomSumEEEEE10hipError_tPvRmT0_T1_jT2_SS_T4_T3_P12ihipStream_tbEUlT_E_NS1_11comp_targetILNS1_3genE2ELNS1_11target_archE906ELNS1_3gpuE6ELNS1_3repE0EEENS1_30default_config_static_selectorELNS0_4arch9wavefront6targetE1EEEvSR_.private_seg_size, 0
	.set _ZN7rocprim17ROCPRIM_400000_NS6detail17trampoline_kernelINS0_14default_configENS1_32segmented_reduce_config_selectorIN3c104HalfEEEZNS1_21segmented_reduce_implIS3_PKS6_PS6_PKiS6_N6hipcub16HIPCUB_304000_NS6detail27convert_result_type_wrapperISA_SB_N2at6native12_GLOBAL__N_19CustomSumEEEEE10hipError_tPvRmT0_T1_jT2_SS_T4_T3_P12ihipStream_tbEUlT_E_NS1_11comp_targetILNS1_3genE2ELNS1_11target_archE906ELNS1_3gpuE6ELNS1_3repE0EEENS1_30default_config_static_selectorELNS0_4arch9wavefront6targetE1EEEvSR_.uses_vcc, 1
	.set _ZN7rocprim17ROCPRIM_400000_NS6detail17trampoline_kernelINS0_14default_configENS1_32segmented_reduce_config_selectorIN3c104HalfEEEZNS1_21segmented_reduce_implIS3_PKS6_PS6_PKiS6_N6hipcub16HIPCUB_304000_NS6detail27convert_result_type_wrapperISA_SB_N2at6native12_GLOBAL__N_19CustomSumEEEEE10hipError_tPvRmT0_T1_jT2_SS_T4_T3_P12ihipStream_tbEUlT_E_NS1_11comp_targetILNS1_3genE2ELNS1_11target_archE906ELNS1_3gpuE6ELNS1_3repE0EEENS1_30default_config_static_selectorELNS0_4arch9wavefront6targetE1EEEvSR_.uses_flat_scratch, 0
	.set _ZN7rocprim17ROCPRIM_400000_NS6detail17trampoline_kernelINS0_14default_configENS1_32segmented_reduce_config_selectorIN3c104HalfEEEZNS1_21segmented_reduce_implIS3_PKS6_PS6_PKiS6_N6hipcub16HIPCUB_304000_NS6detail27convert_result_type_wrapperISA_SB_N2at6native12_GLOBAL__N_19CustomSumEEEEE10hipError_tPvRmT0_T1_jT2_SS_T4_T3_P12ihipStream_tbEUlT_E_NS1_11comp_targetILNS1_3genE2ELNS1_11target_archE906ELNS1_3gpuE6ELNS1_3repE0EEENS1_30default_config_static_selectorELNS0_4arch9wavefront6targetE1EEEvSR_.has_dyn_sized_stack, 0
	.set _ZN7rocprim17ROCPRIM_400000_NS6detail17trampoline_kernelINS0_14default_configENS1_32segmented_reduce_config_selectorIN3c104HalfEEEZNS1_21segmented_reduce_implIS3_PKS6_PS6_PKiS6_N6hipcub16HIPCUB_304000_NS6detail27convert_result_type_wrapperISA_SB_N2at6native12_GLOBAL__N_19CustomSumEEEEE10hipError_tPvRmT0_T1_jT2_SS_T4_T3_P12ihipStream_tbEUlT_E_NS1_11comp_targetILNS1_3genE2ELNS1_11target_archE906ELNS1_3gpuE6ELNS1_3repE0EEENS1_30default_config_static_selectorELNS0_4arch9wavefront6targetE1EEEvSR_.has_recursion, 0
	.set _ZN7rocprim17ROCPRIM_400000_NS6detail17trampoline_kernelINS0_14default_configENS1_32segmented_reduce_config_selectorIN3c104HalfEEEZNS1_21segmented_reduce_implIS3_PKS6_PS6_PKiS6_N6hipcub16HIPCUB_304000_NS6detail27convert_result_type_wrapperISA_SB_N2at6native12_GLOBAL__N_19CustomSumEEEEE10hipError_tPvRmT0_T1_jT2_SS_T4_T3_P12ihipStream_tbEUlT_E_NS1_11comp_targetILNS1_3genE2ELNS1_11target_archE906ELNS1_3gpuE6ELNS1_3repE0EEENS1_30default_config_static_selectorELNS0_4arch9wavefront6targetE1EEEvSR_.has_indirect_call, 0
	.section	.AMDGPU.csdata,"",@progbits
; Kernel info:
; codeLenInByte = 2948
; TotalNumSgprs: 50
; NumVgprs: 23
; ScratchSize: 0
; MemoryBound: 0
; FloatMode: 240
; IeeeMode: 1
; LDSByteSize: 8 bytes/workgroup (compile time only)
; SGPRBlocks: 6
; VGPRBlocks: 5
; NumSGPRsForWavesPerEU: 50
; NumVGPRsForWavesPerEU: 23
; Occupancy: 10
; WaveLimiterHint : 1
; COMPUTE_PGM_RSRC2:SCRATCH_EN: 0
; COMPUTE_PGM_RSRC2:USER_SGPR: 6
; COMPUTE_PGM_RSRC2:TRAP_HANDLER: 0
; COMPUTE_PGM_RSRC2:TGID_X_EN: 1
; COMPUTE_PGM_RSRC2:TGID_Y_EN: 0
; COMPUTE_PGM_RSRC2:TGID_Z_EN: 0
; COMPUTE_PGM_RSRC2:TIDIG_COMP_CNT: 0
	.section	.text._ZN7rocprim17ROCPRIM_400000_NS6detail17trampoline_kernelINS0_14default_configENS1_32segmented_reduce_config_selectorIN3c104HalfEEEZNS1_21segmented_reduce_implIS3_PKS6_PS6_PKiS6_N6hipcub16HIPCUB_304000_NS6detail27convert_result_type_wrapperISA_SB_N2at6native12_GLOBAL__N_19CustomSumEEEEE10hipError_tPvRmT0_T1_jT2_SS_T4_T3_P12ihipStream_tbEUlT_E_NS1_11comp_targetILNS1_3genE9ELNS1_11target_archE1100ELNS1_3gpuE3ELNS1_3repE0EEENS1_30default_config_static_selectorELNS0_4arch9wavefront6targetE1EEEvSR_,"axG",@progbits,_ZN7rocprim17ROCPRIM_400000_NS6detail17trampoline_kernelINS0_14default_configENS1_32segmented_reduce_config_selectorIN3c104HalfEEEZNS1_21segmented_reduce_implIS3_PKS6_PS6_PKiS6_N6hipcub16HIPCUB_304000_NS6detail27convert_result_type_wrapperISA_SB_N2at6native12_GLOBAL__N_19CustomSumEEEEE10hipError_tPvRmT0_T1_jT2_SS_T4_T3_P12ihipStream_tbEUlT_E_NS1_11comp_targetILNS1_3genE9ELNS1_11target_archE1100ELNS1_3gpuE3ELNS1_3repE0EEENS1_30default_config_static_selectorELNS0_4arch9wavefront6targetE1EEEvSR_,comdat
	.globl	_ZN7rocprim17ROCPRIM_400000_NS6detail17trampoline_kernelINS0_14default_configENS1_32segmented_reduce_config_selectorIN3c104HalfEEEZNS1_21segmented_reduce_implIS3_PKS6_PS6_PKiS6_N6hipcub16HIPCUB_304000_NS6detail27convert_result_type_wrapperISA_SB_N2at6native12_GLOBAL__N_19CustomSumEEEEE10hipError_tPvRmT0_T1_jT2_SS_T4_T3_P12ihipStream_tbEUlT_E_NS1_11comp_targetILNS1_3genE9ELNS1_11target_archE1100ELNS1_3gpuE3ELNS1_3repE0EEENS1_30default_config_static_selectorELNS0_4arch9wavefront6targetE1EEEvSR_ ; -- Begin function _ZN7rocprim17ROCPRIM_400000_NS6detail17trampoline_kernelINS0_14default_configENS1_32segmented_reduce_config_selectorIN3c104HalfEEEZNS1_21segmented_reduce_implIS3_PKS6_PS6_PKiS6_N6hipcub16HIPCUB_304000_NS6detail27convert_result_type_wrapperISA_SB_N2at6native12_GLOBAL__N_19CustomSumEEEEE10hipError_tPvRmT0_T1_jT2_SS_T4_T3_P12ihipStream_tbEUlT_E_NS1_11comp_targetILNS1_3genE9ELNS1_11target_archE1100ELNS1_3gpuE3ELNS1_3repE0EEENS1_30default_config_static_selectorELNS0_4arch9wavefront6targetE1EEEvSR_
	.p2align	8
	.type	_ZN7rocprim17ROCPRIM_400000_NS6detail17trampoline_kernelINS0_14default_configENS1_32segmented_reduce_config_selectorIN3c104HalfEEEZNS1_21segmented_reduce_implIS3_PKS6_PS6_PKiS6_N6hipcub16HIPCUB_304000_NS6detail27convert_result_type_wrapperISA_SB_N2at6native12_GLOBAL__N_19CustomSumEEEEE10hipError_tPvRmT0_T1_jT2_SS_T4_T3_P12ihipStream_tbEUlT_E_NS1_11comp_targetILNS1_3genE9ELNS1_11target_archE1100ELNS1_3gpuE3ELNS1_3repE0EEENS1_30default_config_static_selectorELNS0_4arch9wavefront6targetE1EEEvSR_,@function
_ZN7rocprim17ROCPRIM_400000_NS6detail17trampoline_kernelINS0_14default_configENS1_32segmented_reduce_config_selectorIN3c104HalfEEEZNS1_21segmented_reduce_implIS3_PKS6_PS6_PKiS6_N6hipcub16HIPCUB_304000_NS6detail27convert_result_type_wrapperISA_SB_N2at6native12_GLOBAL__N_19CustomSumEEEEE10hipError_tPvRmT0_T1_jT2_SS_T4_T3_P12ihipStream_tbEUlT_E_NS1_11comp_targetILNS1_3genE9ELNS1_11target_archE1100ELNS1_3gpuE3ELNS1_3repE0EEENS1_30default_config_static_selectorELNS0_4arch9wavefront6targetE1EEEvSR_: ; @_ZN7rocprim17ROCPRIM_400000_NS6detail17trampoline_kernelINS0_14default_configENS1_32segmented_reduce_config_selectorIN3c104HalfEEEZNS1_21segmented_reduce_implIS3_PKS6_PS6_PKiS6_N6hipcub16HIPCUB_304000_NS6detail27convert_result_type_wrapperISA_SB_N2at6native12_GLOBAL__N_19CustomSumEEEEE10hipError_tPvRmT0_T1_jT2_SS_T4_T3_P12ihipStream_tbEUlT_E_NS1_11comp_targetILNS1_3genE9ELNS1_11target_archE1100ELNS1_3gpuE3ELNS1_3repE0EEENS1_30default_config_static_selectorELNS0_4arch9wavefront6targetE1EEEvSR_
; %bb.0:
	.section	.rodata,"a",@progbits
	.p2align	6, 0x0
	.amdhsa_kernel _ZN7rocprim17ROCPRIM_400000_NS6detail17trampoline_kernelINS0_14default_configENS1_32segmented_reduce_config_selectorIN3c104HalfEEEZNS1_21segmented_reduce_implIS3_PKS6_PS6_PKiS6_N6hipcub16HIPCUB_304000_NS6detail27convert_result_type_wrapperISA_SB_N2at6native12_GLOBAL__N_19CustomSumEEEEE10hipError_tPvRmT0_T1_jT2_SS_T4_T3_P12ihipStream_tbEUlT_E_NS1_11comp_targetILNS1_3genE9ELNS1_11target_archE1100ELNS1_3gpuE3ELNS1_3repE0EEENS1_30default_config_static_selectorELNS0_4arch9wavefront6targetE1EEEvSR_
		.amdhsa_group_segment_fixed_size 0
		.amdhsa_private_segment_fixed_size 0
		.amdhsa_kernarg_size 48
		.amdhsa_user_sgpr_count 6
		.amdhsa_user_sgpr_private_segment_buffer 1
		.amdhsa_user_sgpr_dispatch_ptr 0
		.amdhsa_user_sgpr_queue_ptr 0
		.amdhsa_user_sgpr_kernarg_segment_ptr 1
		.amdhsa_user_sgpr_dispatch_id 0
		.amdhsa_user_sgpr_flat_scratch_init 0
		.amdhsa_user_sgpr_private_segment_size 0
		.amdhsa_uses_dynamic_stack 0
		.amdhsa_system_sgpr_private_segment_wavefront_offset 0
		.amdhsa_system_sgpr_workgroup_id_x 1
		.amdhsa_system_sgpr_workgroup_id_y 0
		.amdhsa_system_sgpr_workgroup_id_z 0
		.amdhsa_system_sgpr_workgroup_info 0
		.amdhsa_system_vgpr_workitem_id 0
		.amdhsa_next_free_vgpr 1
		.amdhsa_next_free_sgpr 0
		.amdhsa_reserve_vcc 0
		.amdhsa_reserve_flat_scratch 0
		.amdhsa_float_round_mode_32 0
		.amdhsa_float_round_mode_16_64 0
		.amdhsa_float_denorm_mode_32 3
		.amdhsa_float_denorm_mode_16_64 3
		.amdhsa_dx10_clamp 1
		.amdhsa_ieee_mode 1
		.amdhsa_fp16_overflow 0
		.amdhsa_exception_fp_ieee_invalid_op 0
		.amdhsa_exception_fp_denorm_src 0
		.amdhsa_exception_fp_ieee_div_zero 0
		.amdhsa_exception_fp_ieee_overflow 0
		.amdhsa_exception_fp_ieee_underflow 0
		.amdhsa_exception_fp_ieee_inexact 0
		.amdhsa_exception_int_div_zero 0
	.end_amdhsa_kernel
	.section	.text._ZN7rocprim17ROCPRIM_400000_NS6detail17trampoline_kernelINS0_14default_configENS1_32segmented_reduce_config_selectorIN3c104HalfEEEZNS1_21segmented_reduce_implIS3_PKS6_PS6_PKiS6_N6hipcub16HIPCUB_304000_NS6detail27convert_result_type_wrapperISA_SB_N2at6native12_GLOBAL__N_19CustomSumEEEEE10hipError_tPvRmT0_T1_jT2_SS_T4_T3_P12ihipStream_tbEUlT_E_NS1_11comp_targetILNS1_3genE9ELNS1_11target_archE1100ELNS1_3gpuE3ELNS1_3repE0EEENS1_30default_config_static_selectorELNS0_4arch9wavefront6targetE1EEEvSR_,"axG",@progbits,_ZN7rocprim17ROCPRIM_400000_NS6detail17trampoline_kernelINS0_14default_configENS1_32segmented_reduce_config_selectorIN3c104HalfEEEZNS1_21segmented_reduce_implIS3_PKS6_PS6_PKiS6_N6hipcub16HIPCUB_304000_NS6detail27convert_result_type_wrapperISA_SB_N2at6native12_GLOBAL__N_19CustomSumEEEEE10hipError_tPvRmT0_T1_jT2_SS_T4_T3_P12ihipStream_tbEUlT_E_NS1_11comp_targetILNS1_3genE9ELNS1_11target_archE1100ELNS1_3gpuE3ELNS1_3repE0EEENS1_30default_config_static_selectorELNS0_4arch9wavefront6targetE1EEEvSR_,comdat
.Lfunc_end91:
	.size	_ZN7rocprim17ROCPRIM_400000_NS6detail17trampoline_kernelINS0_14default_configENS1_32segmented_reduce_config_selectorIN3c104HalfEEEZNS1_21segmented_reduce_implIS3_PKS6_PS6_PKiS6_N6hipcub16HIPCUB_304000_NS6detail27convert_result_type_wrapperISA_SB_N2at6native12_GLOBAL__N_19CustomSumEEEEE10hipError_tPvRmT0_T1_jT2_SS_T4_T3_P12ihipStream_tbEUlT_E_NS1_11comp_targetILNS1_3genE9ELNS1_11target_archE1100ELNS1_3gpuE3ELNS1_3repE0EEENS1_30default_config_static_selectorELNS0_4arch9wavefront6targetE1EEEvSR_, .Lfunc_end91-_ZN7rocprim17ROCPRIM_400000_NS6detail17trampoline_kernelINS0_14default_configENS1_32segmented_reduce_config_selectorIN3c104HalfEEEZNS1_21segmented_reduce_implIS3_PKS6_PS6_PKiS6_N6hipcub16HIPCUB_304000_NS6detail27convert_result_type_wrapperISA_SB_N2at6native12_GLOBAL__N_19CustomSumEEEEE10hipError_tPvRmT0_T1_jT2_SS_T4_T3_P12ihipStream_tbEUlT_E_NS1_11comp_targetILNS1_3genE9ELNS1_11target_archE1100ELNS1_3gpuE3ELNS1_3repE0EEENS1_30default_config_static_selectorELNS0_4arch9wavefront6targetE1EEEvSR_
                                        ; -- End function
	.set _ZN7rocprim17ROCPRIM_400000_NS6detail17trampoline_kernelINS0_14default_configENS1_32segmented_reduce_config_selectorIN3c104HalfEEEZNS1_21segmented_reduce_implIS3_PKS6_PS6_PKiS6_N6hipcub16HIPCUB_304000_NS6detail27convert_result_type_wrapperISA_SB_N2at6native12_GLOBAL__N_19CustomSumEEEEE10hipError_tPvRmT0_T1_jT2_SS_T4_T3_P12ihipStream_tbEUlT_E_NS1_11comp_targetILNS1_3genE9ELNS1_11target_archE1100ELNS1_3gpuE3ELNS1_3repE0EEENS1_30default_config_static_selectorELNS0_4arch9wavefront6targetE1EEEvSR_.num_vgpr, 0
	.set _ZN7rocprim17ROCPRIM_400000_NS6detail17trampoline_kernelINS0_14default_configENS1_32segmented_reduce_config_selectorIN3c104HalfEEEZNS1_21segmented_reduce_implIS3_PKS6_PS6_PKiS6_N6hipcub16HIPCUB_304000_NS6detail27convert_result_type_wrapperISA_SB_N2at6native12_GLOBAL__N_19CustomSumEEEEE10hipError_tPvRmT0_T1_jT2_SS_T4_T3_P12ihipStream_tbEUlT_E_NS1_11comp_targetILNS1_3genE9ELNS1_11target_archE1100ELNS1_3gpuE3ELNS1_3repE0EEENS1_30default_config_static_selectorELNS0_4arch9wavefront6targetE1EEEvSR_.num_agpr, 0
	.set _ZN7rocprim17ROCPRIM_400000_NS6detail17trampoline_kernelINS0_14default_configENS1_32segmented_reduce_config_selectorIN3c104HalfEEEZNS1_21segmented_reduce_implIS3_PKS6_PS6_PKiS6_N6hipcub16HIPCUB_304000_NS6detail27convert_result_type_wrapperISA_SB_N2at6native12_GLOBAL__N_19CustomSumEEEEE10hipError_tPvRmT0_T1_jT2_SS_T4_T3_P12ihipStream_tbEUlT_E_NS1_11comp_targetILNS1_3genE9ELNS1_11target_archE1100ELNS1_3gpuE3ELNS1_3repE0EEENS1_30default_config_static_selectorELNS0_4arch9wavefront6targetE1EEEvSR_.numbered_sgpr, 0
	.set _ZN7rocprim17ROCPRIM_400000_NS6detail17trampoline_kernelINS0_14default_configENS1_32segmented_reduce_config_selectorIN3c104HalfEEEZNS1_21segmented_reduce_implIS3_PKS6_PS6_PKiS6_N6hipcub16HIPCUB_304000_NS6detail27convert_result_type_wrapperISA_SB_N2at6native12_GLOBAL__N_19CustomSumEEEEE10hipError_tPvRmT0_T1_jT2_SS_T4_T3_P12ihipStream_tbEUlT_E_NS1_11comp_targetILNS1_3genE9ELNS1_11target_archE1100ELNS1_3gpuE3ELNS1_3repE0EEENS1_30default_config_static_selectorELNS0_4arch9wavefront6targetE1EEEvSR_.num_named_barrier, 0
	.set _ZN7rocprim17ROCPRIM_400000_NS6detail17trampoline_kernelINS0_14default_configENS1_32segmented_reduce_config_selectorIN3c104HalfEEEZNS1_21segmented_reduce_implIS3_PKS6_PS6_PKiS6_N6hipcub16HIPCUB_304000_NS6detail27convert_result_type_wrapperISA_SB_N2at6native12_GLOBAL__N_19CustomSumEEEEE10hipError_tPvRmT0_T1_jT2_SS_T4_T3_P12ihipStream_tbEUlT_E_NS1_11comp_targetILNS1_3genE9ELNS1_11target_archE1100ELNS1_3gpuE3ELNS1_3repE0EEENS1_30default_config_static_selectorELNS0_4arch9wavefront6targetE1EEEvSR_.private_seg_size, 0
	.set _ZN7rocprim17ROCPRIM_400000_NS6detail17trampoline_kernelINS0_14default_configENS1_32segmented_reduce_config_selectorIN3c104HalfEEEZNS1_21segmented_reduce_implIS3_PKS6_PS6_PKiS6_N6hipcub16HIPCUB_304000_NS6detail27convert_result_type_wrapperISA_SB_N2at6native12_GLOBAL__N_19CustomSumEEEEE10hipError_tPvRmT0_T1_jT2_SS_T4_T3_P12ihipStream_tbEUlT_E_NS1_11comp_targetILNS1_3genE9ELNS1_11target_archE1100ELNS1_3gpuE3ELNS1_3repE0EEENS1_30default_config_static_selectorELNS0_4arch9wavefront6targetE1EEEvSR_.uses_vcc, 0
	.set _ZN7rocprim17ROCPRIM_400000_NS6detail17trampoline_kernelINS0_14default_configENS1_32segmented_reduce_config_selectorIN3c104HalfEEEZNS1_21segmented_reduce_implIS3_PKS6_PS6_PKiS6_N6hipcub16HIPCUB_304000_NS6detail27convert_result_type_wrapperISA_SB_N2at6native12_GLOBAL__N_19CustomSumEEEEE10hipError_tPvRmT0_T1_jT2_SS_T4_T3_P12ihipStream_tbEUlT_E_NS1_11comp_targetILNS1_3genE9ELNS1_11target_archE1100ELNS1_3gpuE3ELNS1_3repE0EEENS1_30default_config_static_selectorELNS0_4arch9wavefront6targetE1EEEvSR_.uses_flat_scratch, 0
	.set _ZN7rocprim17ROCPRIM_400000_NS6detail17trampoline_kernelINS0_14default_configENS1_32segmented_reduce_config_selectorIN3c104HalfEEEZNS1_21segmented_reduce_implIS3_PKS6_PS6_PKiS6_N6hipcub16HIPCUB_304000_NS6detail27convert_result_type_wrapperISA_SB_N2at6native12_GLOBAL__N_19CustomSumEEEEE10hipError_tPvRmT0_T1_jT2_SS_T4_T3_P12ihipStream_tbEUlT_E_NS1_11comp_targetILNS1_3genE9ELNS1_11target_archE1100ELNS1_3gpuE3ELNS1_3repE0EEENS1_30default_config_static_selectorELNS0_4arch9wavefront6targetE1EEEvSR_.has_dyn_sized_stack, 0
	.set _ZN7rocprim17ROCPRIM_400000_NS6detail17trampoline_kernelINS0_14default_configENS1_32segmented_reduce_config_selectorIN3c104HalfEEEZNS1_21segmented_reduce_implIS3_PKS6_PS6_PKiS6_N6hipcub16HIPCUB_304000_NS6detail27convert_result_type_wrapperISA_SB_N2at6native12_GLOBAL__N_19CustomSumEEEEE10hipError_tPvRmT0_T1_jT2_SS_T4_T3_P12ihipStream_tbEUlT_E_NS1_11comp_targetILNS1_3genE9ELNS1_11target_archE1100ELNS1_3gpuE3ELNS1_3repE0EEENS1_30default_config_static_selectorELNS0_4arch9wavefront6targetE1EEEvSR_.has_recursion, 0
	.set _ZN7rocprim17ROCPRIM_400000_NS6detail17trampoline_kernelINS0_14default_configENS1_32segmented_reduce_config_selectorIN3c104HalfEEEZNS1_21segmented_reduce_implIS3_PKS6_PS6_PKiS6_N6hipcub16HIPCUB_304000_NS6detail27convert_result_type_wrapperISA_SB_N2at6native12_GLOBAL__N_19CustomSumEEEEE10hipError_tPvRmT0_T1_jT2_SS_T4_T3_P12ihipStream_tbEUlT_E_NS1_11comp_targetILNS1_3genE9ELNS1_11target_archE1100ELNS1_3gpuE3ELNS1_3repE0EEENS1_30default_config_static_selectorELNS0_4arch9wavefront6targetE1EEEvSR_.has_indirect_call, 0
	.section	.AMDGPU.csdata,"",@progbits
; Kernel info:
; codeLenInByte = 0
; TotalNumSgprs: 4
; NumVgprs: 0
; ScratchSize: 0
; MemoryBound: 0
; FloatMode: 240
; IeeeMode: 1
; LDSByteSize: 0 bytes/workgroup (compile time only)
; SGPRBlocks: 0
; VGPRBlocks: 0
; NumSGPRsForWavesPerEU: 4
; NumVGPRsForWavesPerEU: 1
; Occupancy: 10
; WaveLimiterHint : 0
; COMPUTE_PGM_RSRC2:SCRATCH_EN: 0
; COMPUTE_PGM_RSRC2:USER_SGPR: 6
; COMPUTE_PGM_RSRC2:TRAP_HANDLER: 0
; COMPUTE_PGM_RSRC2:TGID_X_EN: 1
; COMPUTE_PGM_RSRC2:TGID_Y_EN: 0
; COMPUTE_PGM_RSRC2:TGID_Z_EN: 0
; COMPUTE_PGM_RSRC2:TIDIG_COMP_CNT: 0
	.section	.text._ZN7rocprim17ROCPRIM_400000_NS6detail17trampoline_kernelINS0_14default_configENS1_32segmented_reduce_config_selectorIN3c104HalfEEEZNS1_21segmented_reduce_implIS3_PKS6_PS6_PKiS6_N6hipcub16HIPCUB_304000_NS6detail27convert_result_type_wrapperISA_SB_N2at6native12_GLOBAL__N_19CustomSumEEEEE10hipError_tPvRmT0_T1_jT2_SS_T4_T3_P12ihipStream_tbEUlT_E_NS1_11comp_targetILNS1_3genE8ELNS1_11target_archE1030ELNS1_3gpuE2ELNS1_3repE0EEENS1_30default_config_static_selectorELNS0_4arch9wavefront6targetE1EEEvSR_,"axG",@progbits,_ZN7rocprim17ROCPRIM_400000_NS6detail17trampoline_kernelINS0_14default_configENS1_32segmented_reduce_config_selectorIN3c104HalfEEEZNS1_21segmented_reduce_implIS3_PKS6_PS6_PKiS6_N6hipcub16HIPCUB_304000_NS6detail27convert_result_type_wrapperISA_SB_N2at6native12_GLOBAL__N_19CustomSumEEEEE10hipError_tPvRmT0_T1_jT2_SS_T4_T3_P12ihipStream_tbEUlT_E_NS1_11comp_targetILNS1_3genE8ELNS1_11target_archE1030ELNS1_3gpuE2ELNS1_3repE0EEENS1_30default_config_static_selectorELNS0_4arch9wavefront6targetE1EEEvSR_,comdat
	.globl	_ZN7rocprim17ROCPRIM_400000_NS6detail17trampoline_kernelINS0_14default_configENS1_32segmented_reduce_config_selectorIN3c104HalfEEEZNS1_21segmented_reduce_implIS3_PKS6_PS6_PKiS6_N6hipcub16HIPCUB_304000_NS6detail27convert_result_type_wrapperISA_SB_N2at6native12_GLOBAL__N_19CustomSumEEEEE10hipError_tPvRmT0_T1_jT2_SS_T4_T3_P12ihipStream_tbEUlT_E_NS1_11comp_targetILNS1_3genE8ELNS1_11target_archE1030ELNS1_3gpuE2ELNS1_3repE0EEENS1_30default_config_static_selectorELNS0_4arch9wavefront6targetE1EEEvSR_ ; -- Begin function _ZN7rocprim17ROCPRIM_400000_NS6detail17trampoline_kernelINS0_14default_configENS1_32segmented_reduce_config_selectorIN3c104HalfEEEZNS1_21segmented_reduce_implIS3_PKS6_PS6_PKiS6_N6hipcub16HIPCUB_304000_NS6detail27convert_result_type_wrapperISA_SB_N2at6native12_GLOBAL__N_19CustomSumEEEEE10hipError_tPvRmT0_T1_jT2_SS_T4_T3_P12ihipStream_tbEUlT_E_NS1_11comp_targetILNS1_3genE8ELNS1_11target_archE1030ELNS1_3gpuE2ELNS1_3repE0EEENS1_30default_config_static_selectorELNS0_4arch9wavefront6targetE1EEEvSR_
	.p2align	8
	.type	_ZN7rocprim17ROCPRIM_400000_NS6detail17trampoline_kernelINS0_14default_configENS1_32segmented_reduce_config_selectorIN3c104HalfEEEZNS1_21segmented_reduce_implIS3_PKS6_PS6_PKiS6_N6hipcub16HIPCUB_304000_NS6detail27convert_result_type_wrapperISA_SB_N2at6native12_GLOBAL__N_19CustomSumEEEEE10hipError_tPvRmT0_T1_jT2_SS_T4_T3_P12ihipStream_tbEUlT_E_NS1_11comp_targetILNS1_3genE8ELNS1_11target_archE1030ELNS1_3gpuE2ELNS1_3repE0EEENS1_30default_config_static_selectorELNS0_4arch9wavefront6targetE1EEEvSR_,@function
_ZN7rocprim17ROCPRIM_400000_NS6detail17trampoline_kernelINS0_14default_configENS1_32segmented_reduce_config_selectorIN3c104HalfEEEZNS1_21segmented_reduce_implIS3_PKS6_PS6_PKiS6_N6hipcub16HIPCUB_304000_NS6detail27convert_result_type_wrapperISA_SB_N2at6native12_GLOBAL__N_19CustomSumEEEEE10hipError_tPvRmT0_T1_jT2_SS_T4_T3_P12ihipStream_tbEUlT_E_NS1_11comp_targetILNS1_3genE8ELNS1_11target_archE1030ELNS1_3gpuE2ELNS1_3repE0EEENS1_30default_config_static_selectorELNS0_4arch9wavefront6targetE1EEEvSR_: ; @_ZN7rocprim17ROCPRIM_400000_NS6detail17trampoline_kernelINS0_14default_configENS1_32segmented_reduce_config_selectorIN3c104HalfEEEZNS1_21segmented_reduce_implIS3_PKS6_PS6_PKiS6_N6hipcub16HIPCUB_304000_NS6detail27convert_result_type_wrapperISA_SB_N2at6native12_GLOBAL__N_19CustomSumEEEEE10hipError_tPvRmT0_T1_jT2_SS_T4_T3_P12ihipStream_tbEUlT_E_NS1_11comp_targetILNS1_3genE8ELNS1_11target_archE1030ELNS1_3gpuE2ELNS1_3repE0EEENS1_30default_config_static_selectorELNS0_4arch9wavefront6targetE1EEEvSR_
; %bb.0:
	.section	.rodata,"a",@progbits
	.p2align	6, 0x0
	.amdhsa_kernel _ZN7rocprim17ROCPRIM_400000_NS6detail17trampoline_kernelINS0_14default_configENS1_32segmented_reduce_config_selectorIN3c104HalfEEEZNS1_21segmented_reduce_implIS3_PKS6_PS6_PKiS6_N6hipcub16HIPCUB_304000_NS6detail27convert_result_type_wrapperISA_SB_N2at6native12_GLOBAL__N_19CustomSumEEEEE10hipError_tPvRmT0_T1_jT2_SS_T4_T3_P12ihipStream_tbEUlT_E_NS1_11comp_targetILNS1_3genE8ELNS1_11target_archE1030ELNS1_3gpuE2ELNS1_3repE0EEENS1_30default_config_static_selectorELNS0_4arch9wavefront6targetE1EEEvSR_
		.amdhsa_group_segment_fixed_size 0
		.amdhsa_private_segment_fixed_size 0
		.amdhsa_kernarg_size 48
		.amdhsa_user_sgpr_count 6
		.amdhsa_user_sgpr_private_segment_buffer 1
		.amdhsa_user_sgpr_dispatch_ptr 0
		.amdhsa_user_sgpr_queue_ptr 0
		.amdhsa_user_sgpr_kernarg_segment_ptr 1
		.amdhsa_user_sgpr_dispatch_id 0
		.amdhsa_user_sgpr_flat_scratch_init 0
		.amdhsa_user_sgpr_private_segment_size 0
		.amdhsa_uses_dynamic_stack 0
		.amdhsa_system_sgpr_private_segment_wavefront_offset 0
		.amdhsa_system_sgpr_workgroup_id_x 1
		.amdhsa_system_sgpr_workgroup_id_y 0
		.amdhsa_system_sgpr_workgroup_id_z 0
		.amdhsa_system_sgpr_workgroup_info 0
		.amdhsa_system_vgpr_workitem_id 0
		.amdhsa_next_free_vgpr 1
		.amdhsa_next_free_sgpr 0
		.amdhsa_reserve_vcc 0
		.amdhsa_reserve_flat_scratch 0
		.amdhsa_float_round_mode_32 0
		.amdhsa_float_round_mode_16_64 0
		.amdhsa_float_denorm_mode_32 3
		.amdhsa_float_denorm_mode_16_64 3
		.amdhsa_dx10_clamp 1
		.amdhsa_ieee_mode 1
		.amdhsa_fp16_overflow 0
		.amdhsa_exception_fp_ieee_invalid_op 0
		.amdhsa_exception_fp_denorm_src 0
		.amdhsa_exception_fp_ieee_div_zero 0
		.amdhsa_exception_fp_ieee_overflow 0
		.amdhsa_exception_fp_ieee_underflow 0
		.amdhsa_exception_fp_ieee_inexact 0
		.amdhsa_exception_int_div_zero 0
	.end_amdhsa_kernel
	.section	.text._ZN7rocprim17ROCPRIM_400000_NS6detail17trampoline_kernelINS0_14default_configENS1_32segmented_reduce_config_selectorIN3c104HalfEEEZNS1_21segmented_reduce_implIS3_PKS6_PS6_PKiS6_N6hipcub16HIPCUB_304000_NS6detail27convert_result_type_wrapperISA_SB_N2at6native12_GLOBAL__N_19CustomSumEEEEE10hipError_tPvRmT0_T1_jT2_SS_T4_T3_P12ihipStream_tbEUlT_E_NS1_11comp_targetILNS1_3genE8ELNS1_11target_archE1030ELNS1_3gpuE2ELNS1_3repE0EEENS1_30default_config_static_selectorELNS0_4arch9wavefront6targetE1EEEvSR_,"axG",@progbits,_ZN7rocprim17ROCPRIM_400000_NS6detail17trampoline_kernelINS0_14default_configENS1_32segmented_reduce_config_selectorIN3c104HalfEEEZNS1_21segmented_reduce_implIS3_PKS6_PS6_PKiS6_N6hipcub16HIPCUB_304000_NS6detail27convert_result_type_wrapperISA_SB_N2at6native12_GLOBAL__N_19CustomSumEEEEE10hipError_tPvRmT0_T1_jT2_SS_T4_T3_P12ihipStream_tbEUlT_E_NS1_11comp_targetILNS1_3genE8ELNS1_11target_archE1030ELNS1_3gpuE2ELNS1_3repE0EEENS1_30default_config_static_selectorELNS0_4arch9wavefront6targetE1EEEvSR_,comdat
.Lfunc_end92:
	.size	_ZN7rocprim17ROCPRIM_400000_NS6detail17trampoline_kernelINS0_14default_configENS1_32segmented_reduce_config_selectorIN3c104HalfEEEZNS1_21segmented_reduce_implIS3_PKS6_PS6_PKiS6_N6hipcub16HIPCUB_304000_NS6detail27convert_result_type_wrapperISA_SB_N2at6native12_GLOBAL__N_19CustomSumEEEEE10hipError_tPvRmT0_T1_jT2_SS_T4_T3_P12ihipStream_tbEUlT_E_NS1_11comp_targetILNS1_3genE8ELNS1_11target_archE1030ELNS1_3gpuE2ELNS1_3repE0EEENS1_30default_config_static_selectorELNS0_4arch9wavefront6targetE1EEEvSR_, .Lfunc_end92-_ZN7rocprim17ROCPRIM_400000_NS6detail17trampoline_kernelINS0_14default_configENS1_32segmented_reduce_config_selectorIN3c104HalfEEEZNS1_21segmented_reduce_implIS3_PKS6_PS6_PKiS6_N6hipcub16HIPCUB_304000_NS6detail27convert_result_type_wrapperISA_SB_N2at6native12_GLOBAL__N_19CustomSumEEEEE10hipError_tPvRmT0_T1_jT2_SS_T4_T3_P12ihipStream_tbEUlT_E_NS1_11comp_targetILNS1_3genE8ELNS1_11target_archE1030ELNS1_3gpuE2ELNS1_3repE0EEENS1_30default_config_static_selectorELNS0_4arch9wavefront6targetE1EEEvSR_
                                        ; -- End function
	.set _ZN7rocprim17ROCPRIM_400000_NS6detail17trampoline_kernelINS0_14default_configENS1_32segmented_reduce_config_selectorIN3c104HalfEEEZNS1_21segmented_reduce_implIS3_PKS6_PS6_PKiS6_N6hipcub16HIPCUB_304000_NS6detail27convert_result_type_wrapperISA_SB_N2at6native12_GLOBAL__N_19CustomSumEEEEE10hipError_tPvRmT0_T1_jT2_SS_T4_T3_P12ihipStream_tbEUlT_E_NS1_11comp_targetILNS1_3genE8ELNS1_11target_archE1030ELNS1_3gpuE2ELNS1_3repE0EEENS1_30default_config_static_selectorELNS0_4arch9wavefront6targetE1EEEvSR_.num_vgpr, 0
	.set _ZN7rocprim17ROCPRIM_400000_NS6detail17trampoline_kernelINS0_14default_configENS1_32segmented_reduce_config_selectorIN3c104HalfEEEZNS1_21segmented_reduce_implIS3_PKS6_PS6_PKiS6_N6hipcub16HIPCUB_304000_NS6detail27convert_result_type_wrapperISA_SB_N2at6native12_GLOBAL__N_19CustomSumEEEEE10hipError_tPvRmT0_T1_jT2_SS_T4_T3_P12ihipStream_tbEUlT_E_NS1_11comp_targetILNS1_3genE8ELNS1_11target_archE1030ELNS1_3gpuE2ELNS1_3repE0EEENS1_30default_config_static_selectorELNS0_4arch9wavefront6targetE1EEEvSR_.num_agpr, 0
	.set _ZN7rocprim17ROCPRIM_400000_NS6detail17trampoline_kernelINS0_14default_configENS1_32segmented_reduce_config_selectorIN3c104HalfEEEZNS1_21segmented_reduce_implIS3_PKS6_PS6_PKiS6_N6hipcub16HIPCUB_304000_NS6detail27convert_result_type_wrapperISA_SB_N2at6native12_GLOBAL__N_19CustomSumEEEEE10hipError_tPvRmT0_T1_jT2_SS_T4_T3_P12ihipStream_tbEUlT_E_NS1_11comp_targetILNS1_3genE8ELNS1_11target_archE1030ELNS1_3gpuE2ELNS1_3repE0EEENS1_30default_config_static_selectorELNS0_4arch9wavefront6targetE1EEEvSR_.numbered_sgpr, 0
	.set _ZN7rocprim17ROCPRIM_400000_NS6detail17trampoline_kernelINS0_14default_configENS1_32segmented_reduce_config_selectorIN3c104HalfEEEZNS1_21segmented_reduce_implIS3_PKS6_PS6_PKiS6_N6hipcub16HIPCUB_304000_NS6detail27convert_result_type_wrapperISA_SB_N2at6native12_GLOBAL__N_19CustomSumEEEEE10hipError_tPvRmT0_T1_jT2_SS_T4_T3_P12ihipStream_tbEUlT_E_NS1_11comp_targetILNS1_3genE8ELNS1_11target_archE1030ELNS1_3gpuE2ELNS1_3repE0EEENS1_30default_config_static_selectorELNS0_4arch9wavefront6targetE1EEEvSR_.num_named_barrier, 0
	.set _ZN7rocprim17ROCPRIM_400000_NS6detail17trampoline_kernelINS0_14default_configENS1_32segmented_reduce_config_selectorIN3c104HalfEEEZNS1_21segmented_reduce_implIS3_PKS6_PS6_PKiS6_N6hipcub16HIPCUB_304000_NS6detail27convert_result_type_wrapperISA_SB_N2at6native12_GLOBAL__N_19CustomSumEEEEE10hipError_tPvRmT0_T1_jT2_SS_T4_T3_P12ihipStream_tbEUlT_E_NS1_11comp_targetILNS1_3genE8ELNS1_11target_archE1030ELNS1_3gpuE2ELNS1_3repE0EEENS1_30default_config_static_selectorELNS0_4arch9wavefront6targetE1EEEvSR_.private_seg_size, 0
	.set _ZN7rocprim17ROCPRIM_400000_NS6detail17trampoline_kernelINS0_14default_configENS1_32segmented_reduce_config_selectorIN3c104HalfEEEZNS1_21segmented_reduce_implIS3_PKS6_PS6_PKiS6_N6hipcub16HIPCUB_304000_NS6detail27convert_result_type_wrapperISA_SB_N2at6native12_GLOBAL__N_19CustomSumEEEEE10hipError_tPvRmT0_T1_jT2_SS_T4_T3_P12ihipStream_tbEUlT_E_NS1_11comp_targetILNS1_3genE8ELNS1_11target_archE1030ELNS1_3gpuE2ELNS1_3repE0EEENS1_30default_config_static_selectorELNS0_4arch9wavefront6targetE1EEEvSR_.uses_vcc, 0
	.set _ZN7rocprim17ROCPRIM_400000_NS6detail17trampoline_kernelINS0_14default_configENS1_32segmented_reduce_config_selectorIN3c104HalfEEEZNS1_21segmented_reduce_implIS3_PKS6_PS6_PKiS6_N6hipcub16HIPCUB_304000_NS6detail27convert_result_type_wrapperISA_SB_N2at6native12_GLOBAL__N_19CustomSumEEEEE10hipError_tPvRmT0_T1_jT2_SS_T4_T3_P12ihipStream_tbEUlT_E_NS1_11comp_targetILNS1_3genE8ELNS1_11target_archE1030ELNS1_3gpuE2ELNS1_3repE0EEENS1_30default_config_static_selectorELNS0_4arch9wavefront6targetE1EEEvSR_.uses_flat_scratch, 0
	.set _ZN7rocprim17ROCPRIM_400000_NS6detail17trampoline_kernelINS0_14default_configENS1_32segmented_reduce_config_selectorIN3c104HalfEEEZNS1_21segmented_reduce_implIS3_PKS6_PS6_PKiS6_N6hipcub16HIPCUB_304000_NS6detail27convert_result_type_wrapperISA_SB_N2at6native12_GLOBAL__N_19CustomSumEEEEE10hipError_tPvRmT0_T1_jT2_SS_T4_T3_P12ihipStream_tbEUlT_E_NS1_11comp_targetILNS1_3genE8ELNS1_11target_archE1030ELNS1_3gpuE2ELNS1_3repE0EEENS1_30default_config_static_selectorELNS0_4arch9wavefront6targetE1EEEvSR_.has_dyn_sized_stack, 0
	.set _ZN7rocprim17ROCPRIM_400000_NS6detail17trampoline_kernelINS0_14default_configENS1_32segmented_reduce_config_selectorIN3c104HalfEEEZNS1_21segmented_reduce_implIS3_PKS6_PS6_PKiS6_N6hipcub16HIPCUB_304000_NS6detail27convert_result_type_wrapperISA_SB_N2at6native12_GLOBAL__N_19CustomSumEEEEE10hipError_tPvRmT0_T1_jT2_SS_T4_T3_P12ihipStream_tbEUlT_E_NS1_11comp_targetILNS1_3genE8ELNS1_11target_archE1030ELNS1_3gpuE2ELNS1_3repE0EEENS1_30default_config_static_selectorELNS0_4arch9wavefront6targetE1EEEvSR_.has_recursion, 0
	.set _ZN7rocprim17ROCPRIM_400000_NS6detail17trampoline_kernelINS0_14default_configENS1_32segmented_reduce_config_selectorIN3c104HalfEEEZNS1_21segmented_reduce_implIS3_PKS6_PS6_PKiS6_N6hipcub16HIPCUB_304000_NS6detail27convert_result_type_wrapperISA_SB_N2at6native12_GLOBAL__N_19CustomSumEEEEE10hipError_tPvRmT0_T1_jT2_SS_T4_T3_P12ihipStream_tbEUlT_E_NS1_11comp_targetILNS1_3genE8ELNS1_11target_archE1030ELNS1_3gpuE2ELNS1_3repE0EEENS1_30default_config_static_selectorELNS0_4arch9wavefront6targetE1EEEvSR_.has_indirect_call, 0
	.section	.AMDGPU.csdata,"",@progbits
; Kernel info:
; codeLenInByte = 0
; TotalNumSgprs: 4
; NumVgprs: 0
; ScratchSize: 0
; MemoryBound: 0
; FloatMode: 240
; IeeeMode: 1
; LDSByteSize: 0 bytes/workgroup (compile time only)
; SGPRBlocks: 0
; VGPRBlocks: 0
; NumSGPRsForWavesPerEU: 4
; NumVGPRsForWavesPerEU: 1
; Occupancy: 10
; WaveLimiterHint : 0
; COMPUTE_PGM_RSRC2:SCRATCH_EN: 0
; COMPUTE_PGM_RSRC2:USER_SGPR: 6
; COMPUTE_PGM_RSRC2:TRAP_HANDLER: 0
; COMPUTE_PGM_RSRC2:TGID_X_EN: 1
; COMPUTE_PGM_RSRC2:TGID_Y_EN: 0
; COMPUTE_PGM_RSRC2:TGID_Z_EN: 0
; COMPUTE_PGM_RSRC2:TIDIG_COMP_CNT: 0
	.section	.text._ZN2at6native12_GLOBAL__N_119post_sum_div_kernelIN3c104HalfEiEEvPT_PKT0_lbS5_,"axG",@progbits,_ZN2at6native12_GLOBAL__N_119post_sum_div_kernelIN3c104HalfEiEEvPT_PKT0_lbS5_,comdat
	.globl	_ZN2at6native12_GLOBAL__N_119post_sum_div_kernelIN3c104HalfEiEEvPT_PKT0_lbS5_ ; -- Begin function _ZN2at6native12_GLOBAL__N_119post_sum_div_kernelIN3c104HalfEiEEvPT_PKT0_lbS5_
	.p2align	8
	.type	_ZN2at6native12_GLOBAL__N_119post_sum_div_kernelIN3c104HalfEiEEvPT_PKT0_lbS5_,@function
_ZN2at6native12_GLOBAL__N_119post_sum_div_kernelIN3c104HalfEiEEvPT_PKT0_lbS5_: ; @_ZN2at6native12_GLOBAL__N_119post_sum_div_kernelIN3c104HalfEiEEvPT_PKT0_lbS5_
; %bb.0:
	s_load_dword s7, s[4:5], 0x2c
	s_load_dwordx2 s[2:3], s[4:5], 0x10
	s_add_u32 s0, s4, 32
	s_addc_u32 s1, s5, 0
	v_mov_b32_e32 v1, 0
	s_waitcnt lgkmcnt(0)
	s_and_b32 s7, s7, 0xffff
	v_mov_b32_e32 v2, s6
	v_mad_u64_u32 v[2:3], s[8:9], s7, v2, v[0:1]
	v_cmp_gt_i64_e32 vcc, s[2:3], v[2:3]
	s_and_saveexec_b64 s[8:9], vcc
	s_cbranch_execz .LBB93_15
; %bb.1:
	s_load_dword s6, s[4:5], 0x18
	s_load_dword s12, s[0:1], 0x0
	s_load_dwordx4 s[8:11], s[4:5], 0x0
	v_mov_b32_e32 v0, v1
	v_mov_b32_e32 v1, v2
	s_waitcnt lgkmcnt(0)
	s_bitcmp1_b32 s6, 0
	s_mul_i32 s22, s12, s7
	s_cselect_b64 s[0:1], -1, 0
	s_lshr_b32 s23, s6, 16
	s_xor_b64 s[4:5], s[0:1], -1
	s_mov_b32 s24, s22
	s_mov_b64 s[6:7], 0
	v_mov_b32_e32 v6, s11
	v_mov_b32_e32 v7, 0x7e00
                                        ; implicit-def: $sgpr12_sgpr13
                                        ; implicit-def: $sgpr16_sgpr17
                                        ; implicit-def: $sgpr14_sgpr15
.LBB93_2:                               ; =>This Inner Loop Header: Depth=1
	v_ashrrev_i64 v[4:5], 30, v[0:1]
	s_or_b64 s[14:15], s[14:15], exec
	v_add_co_u32_e32 v4, vcc, s10, v4
	v_addc_co_u32_e32 v5, vcc, v6, v5, vcc
	global_load_dword v8, v[4:5], off
	s_or_b64 s[16:17], s[16:17], exec
	s_waitcnt vmcnt(0)
	v_cmp_lt_i32_e32 vcc, -1, v8
	s_and_saveexec_b64 s[18:19], vcc
	s_cbranch_execz .LBB93_13
; %bb.3:                                ;   in Loop: Header=BB93_2 Depth=1
	v_ashrrev_i32_e32 v5, 31, v1
	v_mov_b32_e32 v4, v1
	v_lshlrev_b64 v[4:5], 1, v[4:5]
	v_mov_b32_e32 v9, s9
	v_add_co_u32_e64 v4, s[0:1], s8, v4
	v_cmp_ne_u32_e32 vcc, 0, v8
	v_addc_co_u32_e64 v5, s[0:1], v9, v5, s[0:1]
	s_and_saveexec_b64 s[0:1], vcc
	s_xor_b64 s[0:1], exec, s[0:1]
	s_cbranch_execz .LBB93_7
; %bb.4:                                ;   in Loop: Header=BB93_2 Depth=1
	global_load_ushort v9, v[4:5], off
	s_waitcnt vmcnt(0)
	v_cmp_o_f16_e32 vcc, v9, v9
	s_and_saveexec_b64 s[20:21], vcc
	s_cbranch_execz .LBB93_6
; %bb.5:                                ;   in Loop: Header=BB93_2 Depth=1
	v_cvt_f32_u32_e32 v8, v8
	v_cvt_f32_f16_e32 v11, v9
	v_cvt_f16_f32_e32 v8, v8
	v_cvt_f32_f16_e32 v10, v8
	v_rcp_f32_e32 v12, v10
	v_mul_f32_e32 v13, v11, v12
	v_mad_f32 v14, -v10, v13, v11
	v_mac_f32_e32 v13, v14, v12
	v_mad_f32 v10, -v10, v13, v11
	v_mul_f32_e32 v10, v10, v12
	v_and_b32_e32 v10, 0xff800000, v10
	v_add_f32_e32 v10, v10, v13
	v_cvt_f16_f32_e32 v10, v10
	v_div_fixup_f16 v8, v10, v8, v9
	global_store_short v[4:5], v8, off
.LBB93_6:                               ;   in Loop: Header=BB93_2 Depth=1
	s_or_b64 exec, exec, s[20:21]
                                        ; implicit-def: $vgpr4_vgpr5
.LBB93_7:                               ;   in Loop: Header=BB93_2 Depth=1
	s_andn2_saveexec_b64 s[0:1], s[0:1]
	s_cbranch_execz .LBB93_12
; %bb.8:                                ;   in Loop: Header=BB93_2 Depth=1
	s_mov_b64 s[20:21], -1
	s_and_b64 vcc, exec, s[4:5]
	s_cbranch_vccz .LBB93_10
; %bb.9:                                ;   in Loop: Header=BB93_2 Depth=1
	global_store_short v[4:5], v7, off
	s_mov_b64 s[20:21], 0
.LBB93_10:                              ;   in Loop: Header=BB93_2 Depth=1
	s_andn2_b64 vcc, exec, s[20:21]
	s_cbranch_vccnz .LBB93_12
; %bb.11:                               ;   in Loop: Header=BB93_2 Depth=1
	v_mov_b32_e32 v8, s23
	global_store_short v[4:5], v8, off
.LBB93_12:                              ;   in Loop: Header=BB93_2 Depth=1
	s_or_b64 exec, exec, s[0:1]
	v_add_co_u32_e32 v2, vcc, s22, v2
	v_addc_co_u32_e32 v3, vcc, 0, v3, vcc
	v_mov_b32_e32 v4, s24
	v_add_co_u32_e32 v0, vcc, 0, v0
	v_addc_co_u32_e32 v1, vcc, v1, v4, vcc
	v_cmp_le_i64_e32 vcc, s[2:3], v[2:3]
	s_andn2_b64 s[0:1], s[16:17], exec
	s_and_b64 s[16:17], vcc, exec
	s_andn2_b64 s[14:15], s[14:15], exec
	s_or_b64 s[16:17], s[0:1], s[16:17]
.LBB93_13:                              ;   in Loop: Header=BB93_2 Depth=1
	s_or_b64 exec, exec, s[18:19]
	s_and_b64 s[0:1], exec, s[16:17]
	s_or_b64 s[6:7], s[0:1], s[6:7]
	s_andn2_b64 s[0:1], s[12:13], exec
	s_and_b64 s[12:13], s[14:15], exec
	s_or_b64 s[12:13], s[0:1], s[12:13]
	s_andn2_b64 exec, exec, s[6:7]
	s_cbranch_execnz .LBB93_2
; %bb.14:
	s_or_b64 exec, exec, s[6:7]
	s_and_saveexec_b64 s[0:1], s[12:13]
	s_xor_b64 s[0:1], exec, s[0:1]
	s_cbranch_execnz .LBB93_16
.LBB93_15:
	s_endpgm
.LBB93_16:
	s_trap 2
	; divergent unreachable
	s_endpgm
	.section	.rodata,"a",@progbits
	.p2align	6, 0x0
	.amdhsa_kernel _ZN2at6native12_GLOBAL__N_119post_sum_div_kernelIN3c104HalfEiEEvPT_PKT0_lbS5_
		.amdhsa_group_segment_fixed_size 0
		.amdhsa_private_segment_fixed_size 0
		.amdhsa_kernarg_size 288
		.amdhsa_user_sgpr_count 6
		.amdhsa_user_sgpr_private_segment_buffer 1
		.amdhsa_user_sgpr_dispatch_ptr 0
		.amdhsa_user_sgpr_queue_ptr 0
		.amdhsa_user_sgpr_kernarg_segment_ptr 1
		.amdhsa_user_sgpr_dispatch_id 0
		.amdhsa_user_sgpr_flat_scratch_init 0
		.amdhsa_user_sgpr_private_segment_size 0
		.amdhsa_uses_dynamic_stack 0
		.amdhsa_system_sgpr_private_segment_wavefront_offset 0
		.amdhsa_system_sgpr_workgroup_id_x 1
		.amdhsa_system_sgpr_workgroup_id_y 0
		.amdhsa_system_sgpr_workgroup_id_z 0
		.amdhsa_system_sgpr_workgroup_info 0
		.amdhsa_system_vgpr_workitem_id 0
		.amdhsa_next_free_vgpr 15
		.amdhsa_next_free_sgpr 25
		.amdhsa_reserve_vcc 1
		.amdhsa_reserve_flat_scratch 0
		.amdhsa_float_round_mode_32 0
		.amdhsa_float_round_mode_16_64 0
		.amdhsa_float_denorm_mode_32 3
		.amdhsa_float_denorm_mode_16_64 3
		.amdhsa_dx10_clamp 1
		.amdhsa_ieee_mode 1
		.amdhsa_fp16_overflow 0
		.amdhsa_exception_fp_ieee_invalid_op 0
		.amdhsa_exception_fp_denorm_src 0
		.amdhsa_exception_fp_ieee_div_zero 0
		.amdhsa_exception_fp_ieee_overflow 0
		.amdhsa_exception_fp_ieee_underflow 0
		.amdhsa_exception_fp_ieee_inexact 0
		.amdhsa_exception_int_div_zero 0
	.end_amdhsa_kernel
	.section	.text._ZN2at6native12_GLOBAL__N_119post_sum_div_kernelIN3c104HalfEiEEvPT_PKT0_lbS5_,"axG",@progbits,_ZN2at6native12_GLOBAL__N_119post_sum_div_kernelIN3c104HalfEiEEvPT_PKT0_lbS5_,comdat
.Lfunc_end93:
	.size	_ZN2at6native12_GLOBAL__N_119post_sum_div_kernelIN3c104HalfEiEEvPT_PKT0_lbS5_, .Lfunc_end93-_ZN2at6native12_GLOBAL__N_119post_sum_div_kernelIN3c104HalfEiEEvPT_PKT0_lbS5_
                                        ; -- End function
	.set _ZN2at6native12_GLOBAL__N_119post_sum_div_kernelIN3c104HalfEiEEvPT_PKT0_lbS5_.num_vgpr, 15
	.set _ZN2at6native12_GLOBAL__N_119post_sum_div_kernelIN3c104HalfEiEEvPT_PKT0_lbS5_.num_agpr, 0
	.set _ZN2at6native12_GLOBAL__N_119post_sum_div_kernelIN3c104HalfEiEEvPT_PKT0_lbS5_.numbered_sgpr, 25
	.set _ZN2at6native12_GLOBAL__N_119post_sum_div_kernelIN3c104HalfEiEEvPT_PKT0_lbS5_.num_named_barrier, 0
	.set _ZN2at6native12_GLOBAL__N_119post_sum_div_kernelIN3c104HalfEiEEvPT_PKT0_lbS5_.private_seg_size, 0
	.set _ZN2at6native12_GLOBAL__N_119post_sum_div_kernelIN3c104HalfEiEEvPT_PKT0_lbS5_.uses_vcc, 1
	.set _ZN2at6native12_GLOBAL__N_119post_sum_div_kernelIN3c104HalfEiEEvPT_PKT0_lbS5_.uses_flat_scratch, 0
	.set _ZN2at6native12_GLOBAL__N_119post_sum_div_kernelIN3c104HalfEiEEvPT_PKT0_lbS5_.has_dyn_sized_stack, 0
	.set _ZN2at6native12_GLOBAL__N_119post_sum_div_kernelIN3c104HalfEiEEvPT_PKT0_lbS5_.has_recursion, 0
	.set _ZN2at6native12_GLOBAL__N_119post_sum_div_kernelIN3c104HalfEiEEvPT_PKT0_lbS5_.has_indirect_call, 0
	.section	.AMDGPU.csdata,"",@progbits
; Kernel info:
; codeLenInByte = 504
; TotalNumSgprs: 29
; NumVgprs: 15
; ScratchSize: 0
; MemoryBound: 0
; FloatMode: 240
; IeeeMode: 1
; LDSByteSize: 0 bytes/workgroup (compile time only)
; SGPRBlocks: 3
; VGPRBlocks: 3
; NumSGPRsForWavesPerEU: 29
; NumVGPRsForWavesPerEU: 15
; Occupancy: 10
; WaveLimiterHint : 0
; COMPUTE_PGM_RSRC2:SCRATCH_EN: 0
; COMPUTE_PGM_RSRC2:USER_SGPR: 6
; COMPUTE_PGM_RSRC2:TRAP_HANDLER: 0
; COMPUTE_PGM_RSRC2:TGID_X_EN: 1
; COMPUTE_PGM_RSRC2:TGID_Y_EN: 0
; COMPUTE_PGM_RSRC2:TGID_Z_EN: 0
; COMPUTE_PGM_RSRC2:TIDIG_COMP_CNT: 0
	.section	.text._ZN7rocprim17ROCPRIM_400000_NS6detail17trampoline_kernelINS0_14default_configENS1_32segmented_reduce_config_selectorIN3c104HalfEEEZNS1_21segmented_reduce_implIS3_PKS6_PS6_PKiS6_N6hipcub16HIPCUB_304000_NS6detail27convert_result_type_wrapperISA_SB_N2at6native12_GLOBAL__N_19CustomMinEEEEE10hipError_tPvRmT0_T1_jT2_SS_T4_T3_P12ihipStream_tbEUlT_E_NS1_11comp_targetILNS1_3genE0ELNS1_11target_archE4294967295ELNS1_3gpuE0ELNS1_3repE0EEENS1_30default_config_static_selectorELNS0_4arch9wavefront6targetE1EEEvSR_,"axG",@progbits,_ZN7rocprim17ROCPRIM_400000_NS6detail17trampoline_kernelINS0_14default_configENS1_32segmented_reduce_config_selectorIN3c104HalfEEEZNS1_21segmented_reduce_implIS3_PKS6_PS6_PKiS6_N6hipcub16HIPCUB_304000_NS6detail27convert_result_type_wrapperISA_SB_N2at6native12_GLOBAL__N_19CustomMinEEEEE10hipError_tPvRmT0_T1_jT2_SS_T4_T3_P12ihipStream_tbEUlT_E_NS1_11comp_targetILNS1_3genE0ELNS1_11target_archE4294967295ELNS1_3gpuE0ELNS1_3repE0EEENS1_30default_config_static_selectorELNS0_4arch9wavefront6targetE1EEEvSR_,comdat
	.globl	_ZN7rocprim17ROCPRIM_400000_NS6detail17trampoline_kernelINS0_14default_configENS1_32segmented_reduce_config_selectorIN3c104HalfEEEZNS1_21segmented_reduce_implIS3_PKS6_PS6_PKiS6_N6hipcub16HIPCUB_304000_NS6detail27convert_result_type_wrapperISA_SB_N2at6native12_GLOBAL__N_19CustomMinEEEEE10hipError_tPvRmT0_T1_jT2_SS_T4_T3_P12ihipStream_tbEUlT_E_NS1_11comp_targetILNS1_3genE0ELNS1_11target_archE4294967295ELNS1_3gpuE0ELNS1_3repE0EEENS1_30default_config_static_selectorELNS0_4arch9wavefront6targetE1EEEvSR_ ; -- Begin function _ZN7rocprim17ROCPRIM_400000_NS6detail17trampoline_kernelINS0_14default_configENS1_32segmented_reduce_config_selectorIN3c104HalfEEEZNS1_21segmented_reduce_implIS3_PKS6_PS6_PKiS6_N6hipcub16HIPCUB_304000_NS6detail27convert_result_type_wrapperISA_SB_N2at6native12_GLOBAL__N_19CustomMinEEEEE10hipError_tPvRmT0_T1_jT2_SS_T4_T3_P12ihipStream_tbEUlT_E_NS1_11comp_targetILNS1_3genE0ELNS1_11target_archE4294967295ELNS1_3gpuE0ELNS1_3repE0EEENS1_30default_config_static_selectorELNS0_4arch9wavefront6targetE1EEEvSR_
	.p2align	8
	.type	_ZN7rocprim17ROCPRIM_400000_NS6detail17trampoline_kernelINS0_14default_configENS1_32segmented_reduce_config_selectorIN3c104HalfEEEZNS1_21segmented_reduce_implIS3_PKS6_PS6_PKiS6_N6hipcub16HIPCUB_304000_NS6detail27convert_result_type_wrapperISA_SB_N2at6native12_GLOBAL__N_19CustomMinEEEEE10hipError_tPvRmT0_T1_jT2_SS_T4_T3_P12ihipStream_tbEUlT_E_NS1_11comp_targetILNS1_3genE0ELNS1_11target_archE4294967295ELNS1_3gpuE0ELNS1_3repE0EEENS1_30default_config_static_selectorELNS0_4arch9wavefront6targetE1EEEvSR_,@function
_ZN7rocprim17ROCPRIM_400000_NS6detail17trampoline_kernelINS0_14default_configENS1_32segmented_reduce_config_selectorIN3c104HalfEEEZNS1_21segmented_reduce_implIS3_PKS6_PS6_PKiS6_N6hipcub16HIPCUB_304000_NS6detail27convert_result_type_wrapperISA_SB_N2at6native12_GLOBAL__N_19CustomMinEEEEE10hipError_tPvRmT0_T1_jT2_SS_T4_T3_P12ihipStream_tbEUlT_E_NS1_11comp_targetILNS1_3genE0ELNS1_11target_archE4294967295ELNS1_3gpuE0ELNS1_3repE0EEENS1_30default_config_static_selectorELNS0_4arch9wavefront6targetE1EEEvSR_: ; @_ZN7rocprim17ROCPRIM_400000_NS6detail17trampoline_kernelINS0_14default_configENS1_32segmented_reduce_config_selectorIN3c104HalfEEEZNS1_21segmented_reduce_implIS3_PKS6_PS6_PKiS6_N6hipcub16HIPCUB_304000_NS6detail27convert_result_type_wrapperISA_SB_N2at6native12_GLOBAL__N_19CustomMinEEEEE10hipError_tPvRmT0_T1_jT2_SS_T4_T3_P12ihipStream_tbEUlT_E_NS1_11comp_targetILNS1_3genE0ELNS1_11target_archE4294967295ELNS1_3gpuE0ELNS1_3repE0EEENS1_30default_config_static_selectorELNS0_4arch9wavefront6targetE1EEEvSR_
; %bb.0:
	.section	.rodata,"a",@progbits
	.p2align	6, 0x0
	.amdhsa_kernel _ZN7rocprim17ROCPRIM_400000_NS6detail17trampoline_kernelINS0_14default_configENS1_32segmented_reduce_config_selectorIN3c104HalfEEEZNS1_21segmented_reduce_implIS3_PKS6_PS6_PKiS6_N6hipcub16HIPCUB_304000_NS6detail27convert_result_type_wrapperISA_SB_N2at6native12_GLOBAL__N_19CustomMinEEEEE10hipError_tPvRmT0_T1_jT2_SS_T4_T3_P12ihipStream_tbEUlT_E_NS1_11comp_targetILNS1_3genE0ELNS1_11target_archE4294967295ELNS1_3gpuE0ELNS1_3repE0EEENS1_30default_config_static_selectorELNS0_4arch9wavefront6targetE1EEEvSR_
		.amdhsa_group_segment_fixed_size 0
		.amdhsa_private_segment_fixed_size 0
		.amdhsa_kernarg_size 48
		.amdhsa_user_sgpr_count 6
		.amdhsa_user_sgpr_private_segment_buffer 1
		.amdhsa_user_sgpr_dispatch_ptr 0
		.amdhsa_user_sgpr_queue_ptr 0
		.amdhsa_user_sgpr_kernarg_segment_ptr 1
		.amdhsa_user_sgpr_dispatch_id 0
		.amdhsa_user_sgpr_flat_scratch_init 0
		.amdhsa_user_sgpr_private_segment_size 0
		.amdhsa_uses_dynamic_stack 0
		.amdhsa_system_sgpr_private_segment_wavefront_offset 0
		.amdhsa_system_sgpr_workgroup_id_x 1
		.amdhsa_system_sgpr_workgroup_id_y 0
		.amdhsa_system_sgpr_workgroup_id_z 0
		.amdhsa_system_sgpr_workgroup_info 0
		.amdhsa_system_vgpr_workitem_id 0
		.amdhsa_next_free_vgpr 1
		.amdhsa_next_free_sgpr 0
		.amdhsa_reserve_vcc 0
		.amdhsa_reserve_flat_scratch 0
		.amdhsa_float_round_mode_32 0
		.amdhsa_float_round_mode_16_64 0
		.amdhsa_float_denorm_mode_32 3
		.amdhsa_float_denorm_mode_16_64 3
		.amdhsa_dx10_clamp 1
		.amdhsa_ieee_mode 1
		.amdhsa_fp16_overflow 0
		.amdhsa_exception_fp_ieee_invalid_op 0
		.amdhsa_exception_fp_denorm_src 0
		.amdhsa_exception_fp_ieee_div_zero 0
		.amdhsa_exception_fp_ieee_overflow 0
		.amdhsa_exception_fp_ieee_underflow 0
		.amdhsa_exception_fp_ieee_inexact 0
		.amdhsa_exception_int_div_zero 0
	.end_amdhsa_kernel
	.section	.text._ZN7rocprim17ROCPRIM_400000_NS6detail17trampoline_kernelINS0_14default_configENS1_32segmented_reduce_config_selectorIN3c104HalfEEEZNS1_21segmented_reduce_implIS3_PKS6_PS6_PKiS6_N6hipcub16HIPCUB_304000_NS6detail27convert_result_type_wrapperISA_SB_N2at6native12_GLOBAL__N_19CustomMinEEEEE10hipError_tPvRmT0_T1_jT2_SS_T4_T3_P12ihipStream_tbEUlT_E_NS1_11comp_targetILNS1_3genE0ELNS1_11target_archE4294967295ELNS1_3gpuE0ELNS1_3repE0EEENS1_30default_config_static_selectorELNS0_4arch9wavefront6targetE1EEEvSR_,"axG",@progbits,_ZN7rocprim17ROCPRIM_400000_NS6detail17trampoline_kernelINS0_14default_configENS1_32segmented_reduce_config_selectorIN3c104HalfEEEZNS1_21segmented_reduce_implIS3_PKS6_PS6_PKiS6_N6hipcub16HIPCUB_304000_NS6detail27convert_result_type_wrapperISA_SB_N2at6native12_GLOBAL__N_19CustomMinEEEEE10hipError_tPvRmT0_T1_jT2_SS_T4_T3_P12ihipStream_tbEUlT_E_NS1_11comp_targetILNS1_3genE0ELNS1_11target_archE4294967295ELNS1_3gpuE0ELNS1_3repE0EEENS1_30default_config_static_selectorELNS0_4arch9wavefront6targetE1EEEvSR_,comdat
.Lfunc_end94:
	.size	_ZN7rocprim17ROCPRIM_400000_NS6detail17trampoline_kernelINS0_14default_configENS1_32segmented_reduce_config_selectorIN3c104HalfEEEZNS1_21segmented_reduce_implIS3_PKS6_PS6_PKiS6_N6hipcub16HIPCUB_304000_NS6detail27convert_result_type_wrapperISA_SB_N2at6native12_GLOBAL__N_19CustomMinEEEEE10hipError_tPvRmT0_T1_jT2_SS_T4_T3_P12ihipStream_tbEUlT_E_NS1_11comp_targetILNS1_3genE0ELNS1_11target_archE4294967295ELNS1_3gpuE0ELNS1_3repE0EEENS1_30default_config_static_selectorELNS0_4arch9wavefront6targetE1EEEvSR_, .Lfunc_end94-_ZN7rocprim17ROCPRIM_400000_NS6detail17trampoline_kernelINS0_14default_configENS1_32segmented_reduce_config_selectorIN3c104HalfEEEZNS1_21segmented_reduce_implIS3_PKS6_PS6_PKiS6_N6hipcub16HIPCUB_304000_NS6detail27convert_result_type_wrapperISA_SB_N2at6native12_GLOBAL__N_19CustomMinEEEEE10hipError_tPvRmT0_T1_jT2_SS_T4_T3_P12ihipStream_tbEUlT_E_NS1_11comp_targetILNS1_3genE0ELNS1_11target_archE4294967295ELNS1_3gpuE0ELNS1_3repE0EEENS1_30default_config_static_selectorELNS0_4arch9wavefront6targetE1EEEvSR_
                                        ; -- End function
	.set _ZN7rocprim17ROCPRIM_400000_NS6detail17trampoline_kernelINS0_14default_configENS1_32segmented_reduce_config_selectorIN3c104HalfEEEZNS1_21segmented_reduce_implIS3_PKS6_PS6_PKiS6_N6hipcub16HIPCUB_304000_NS6detail27convert_result_type_wrapperISA_SB_N2at6native12_GLOBAL__N_19CustomMinEEEEE10hipError_tPvRmT0_T1_jT2_SS_T4_T3_P12ihipStream_tbEUlT_E_NS1_11comp_targetILNS1_3genE0ELNS1_11target_archE4294967295ELNS1_3gpuE0ELNS1_3repE0EEENS1_30default_config_static_selectorELNS0_4arch9wavefront6targetE1EEEvSR_.num_vgpr, 0
	.set _ZN7rocprim17ROCPRIM_400000_NS6detail17trampoline_kernelINS0_14default_configENS1_32segmented_reduce_config_selectorIN3c104HalfEEEZNS1_21segmented_reduce_implIS3_PKS6_PS6_PKiS6_N6hipcub16HIPCUB_304000_NS6detail27convert_result_type_wrapperISA_SB_N2at6native12_GLOBAL__N_19CustomMinEEEEE10hipError_tPvRmT0_T1_jT2_SS_T4_T3_P12ihipStream_tbEUlT_E_NS1_11comp_targetILNS1_3genE0ELNS1_11target_archE4294967295ELNS1_3gpuE0ELNS1_3repE0EEENS1_30default_config_static_selectorELNS0_4arch9wavefront6targetE1EEEvSR_.num_agpr, 0
	.set _ZN7rocprim17ROCPRIM_400000_NS6detail17trampoline_kernelINS0_14default_configENS1_32segmented_reduce_config_selectorIN3c104HalfEEEZNS1_21segmented_reduce_implIS3_PKS6_PS6_PKiS6_N6hipcub16HIPCUB_304000_NS6detail27convert_result_type_wrapperISA_SB_N2at6native12_GLOBAL__N_19CustomMinEEEEE10hipError_tPvRmT0_T1_jT2_SS_T4_T3_P12ihipStream_tbEUlT_E_NS1_11comp_targetILNS1_3genE0ELNS1_11target_archE4294967295ELNS1_3gpuE0ELNS1_3repE0EEENS1_30default_config_static_selectorELNS0_4arch9wavefront6targetE1EEEvSR_.numbered_sgpr, 0
	.set _ZN7rocprim17ROCPRIM_400000_NS6detail17trampoline_kernelINS0_14default_configENS1_32segmented_reduce_config_selectorIN3c104HalfEEEZNS1_21segmented_reduce_implIS3_PKS6_PS6_PKiS6_N6hipcub16HIPCUB_304000_NS6detail27convert_result_type_wrapperISA_SB_N2at6native12_GLOBAL__N_19CustomMinEEEEE10hipError_tPvRmT0_T1_jT2_SS_T4_T3_P12ihipStream_tbEUlT_E_NS1_11comp_targetILNS1_3genE0ELNS1_11target_archE4294967295ELNS1_3gpuE0ELNS1_3repE0EEENS1_30default_config_static_selectorELNS0_4arch9wavefront6targetE1EEEvSR_.num_named_barrier, 0
	.set _ZN7rocprim17ROCPRIM_400000_NS6detail17trampoline_kernelINS0_14default_configENS1_32segmented_reduce_config_selectorIN3c104HalfEEEZNS1_21segmented_reduce_implIS3_PKS6_PS6_PKiS6_N6hipcub16HIPCUB_304000_NS6detail27convert_result_type_wrapperISA_SB_N2at6native12_GLOBAL__N_19CustomMinEEEEE10hipError_tPvRmT0_T1_jT2_SS_T4_T3_P12ihipStream_tbEUlT_E_NS1_11comp_targetILNS1_3genE0ELNS1_11target_archE4294967295ELNS1_3gpuE0ELNS1_3repE0EEENS1_30default_config_static_selectorELNS0_4arch9wavefront6targetE1EEEvSR_.private_seg_size, 0
	.set _ZN7rocprim17ROCPRIM_400000_NS6detail17trampoline_kernelINS0_14default_configENS1_32segmented_reduce_config_selectorIN3c104HalfEEEZNS1_21segmented_reduce_implIS3_PKS6_PS6_PKiS6_N6hipcub16HIPCUB_304000_NS6detail27convert_result_type_wrapperISA_SB_N2at6native12_GLOBAL__N_19CustomMinEEEEE10hipError_tPvRmT0_T1_jT2_SS_T4_T3_P12ihipStream_tbEUlT_E_NS1_11comp_targetILNS1_3genE0ELNS1_11target_archE4294967295ELNS1_3gpuE0ELNS1_3repE0EEENS1_30default_config_static_selectorELNS0_4arch9wavefront6targetE1EEEvSR_.uses_vcc, 0
	.set _ZN7rocprim17ROCPRIM_400000_NS6detail17trampoline_kernelINS0_14default_configENS1_32segmented_reduce_config_selectorIN3c104HalfEEEZNS1_21segmented_reduce_implIS3_PKS6_PS6_PKiS6_N6hipcub16HIPCUB_304000_NS6detail27convert_result_type_wrapperISA_SB_N2at6native12_GLOBAL__N_19CustomMinEEEEE10hipError_tPvRmT0_T1_jT2_SS_T4_T3_P12ihipStream_tbEUlT_E_NS1_11comp_targetILNS1_3genE0ELNS1_11target_archE4294967295ELNS1_3gpuE0ELNS1_3repE0EEENS1_30default_config_static_selectorELNS0_4arch9wavefront6targetE1EEEvSR_.uses_flat_scratch, 0
	.set _ZN7rocprim17ROCPRIM_400000_NS6detail17trampoline_kernelINS0_14default_configENS1_32segmented_reduce_config_selectorIN3c104HalfEEEZNS1_21segmented_reduce_implIS3_PKS6_PS6_PKiS6_N6hipcub16HIPCUB_304000_NS6detail27convert_result_type_wrapperISA_SB_N2at6native12_GLOBAL__N_19CustomMinEEEEE10hipError_tPvRmT0_T1_jT2_SS_T4_T3_P12ihipStream_tbEUlT_E_NS1_11comp_targetILNS1_3genE0ELNS1_11target_archE4294967295ELNS1_3gpuE0ELNS1_3repE0EEENS1_30default_config_static_selectorELNS0_4arch9wavefront6targetE1EEEvSR_.has_dyn_sized_stack, 0
	.set _ZN7rocprim17ROCPRIM_400000_NS6detail17trampoline_kernelINS0_14default_configENS1_32segmented_reduce_config_selectorIN3c104HalfEEEZNS1_21segmented_reduce_implIS3_PKS6_PS6_PKiS6_N6hipcub16HIPCUB_304000_NS6detail27convert_result_type_wrapperISA_SB_N2at6native12_GLOBAL__N_19CustomMinEEEEE10hipError_tPvRmT0_T1_jT2_SS_T4_T3_P12ihipStream_tbEUlT_E_NS1_11comp_targetILNS1_3genE0ELNS1_11target_archE4294967295ELNS1_3gpuE0ELNS1_3repE0EEENS1_30default_config_static_selectorELNS0_4arch9wavefront6targetE1EEEvSR_.has_recursion, 0
	.set _ZN7rocprim17ROCPRIM_400000_NS6detail17trampoline_kernelINS0_14default_configENS1_32segmented_reduce_config_selectorIN3c104HalfEEEZNS1_21segmented_reduce_implIS3_PKS6_PS6_PKiS6_N6hipcub16HIPCUB_304000_NS6detail27convert_result_type_wrapperISA_SB_N2at6native12_GLOBAL__N_19CustomMinEEEEE10hipError_tPvRmT0_T1_jT2_SS_T4_T3_P12ihipStream_tbEUlT_E_NS1_11comp_targetILNS1_3genE0ELNS1_11target_archE4294967295ELNS1_3gpuE0ELNS1_3repE0EEENS1_30default_config_static_selectorELNS0_4arch9wavefront6targetE1EEEvSR_.has_indirect_call, 0
	.section	.AMDGPU.csdata,"",@progbits
; Kernel info:
; codeLenInByte = 0
; TotalNumSgprs: 4
; NumVgprs: 0
; ScratchSize: 0
; MemoryBound: 0
; FloatMode: 240
; IeeeMode: 1
; LDSByteSize: 0 bytes/workgroup (compile time only)
; SGPRBlocks: 0
; VGPRBlocks: 0
; NumSGPRsForWavesPerEU: 4
; NumVGPRsForWavesPerEU: 1
; Occupancy: 10
; WaveLimiterHint : 0
; COMPUTE_PGM_RSRC2:SCRATCH_EN: 0
; COMPUTE_PGM_RSRC2:USER_SGPR: 6
; COMPUTE_PGM_RSRC2:TRAP_HANDLER: 0
; COMPUTE_PGM_RSRC2:TGID_X_EN: 1
; COMPUTE_PGM_RSRC2:TGID_Y_EN: 0
; COMPUTE_PGM_RSRC2:TGID_Z_EN: 0
; COMPUTE_PGM_RSRC2:TIDIG_COMP_CNT: 0
	.section	.text._ZN7rocprim17ROCPRIM_400000_NS6detail17trampoline_kernelINS0_14default_configENS1_32segmented_reduce_config_selectorIN3c104HalfEEEZNS1_21segmented_reduce_implIS3_PKS6_PS6_PKiS6_N6hipcub16HIPCUB_304000_NS6detail27convert_result_type_wrapperISA_SB_N2at6native12_GLOBAL__N_19CustomMinEEEEE10hipError_tPvRmT0_T1_jT2_SS_T4_T3_P12ihipStream_tbEUlT_E_NS1_11comp_targetILNS1_3genE5ELNS1_11target_archE942ELNS1_3gpuE9ELNS1_3repE0EEENS1_30default_config_static_selectorELNS0_4arch9wavefront6targetE1EEEvSR_,"axG",@progbits,_ZN7rocprim17ROCPRIM_400000_NS6detail17trampoline_kernelINS0_14default_configENS1_32segmented_reduce_config_selectorIN3c104HalfEEEZNS1_21segmented_reduce_implIS3_PKS6_PS6_PKiS6_N6hipcub16HIPCUB_304000_NS6detail27convert_result_type_wrapperISA_SB_N2at6native12_GLOBAL__N_19CustomMinEEEEE10hipError_tPvRmT0_T1_jT2_SS_T4_T3_P12ihipStream_tbEUlT_E_NS1_11comp_targetILNS1_3genE5ELNS1_11target_archE942ELNS1_3gpuE9ELNS1_3repE0EEENS1_30default_config_static_selectorELNS0_4arch9wavefront6targetE1EEEvSR_,comdat
	.globl	_ZN7rocprim17ROCPRIM_400000_NS6detail17trampoline_kernelINS0_14default_configENS1_32segmented_reduce_config_selectorIN3c104HalfEEEZNS1_21segmented_reduce_implIS3_PKS6_PS6_PKiS6_N6hipcub16HIPCUB_304000_NS6detail27convert_result_type_wrapperISA_SB_N2at6native12_GLOBAL__N_19CustomMinEEEEE10hipError_tPvRmT0_T1_jT2_SS_T4_T3_P12ihipStream_tbEUlT_E_NS1_11comp_targetILNS1_3genE5ELNS1_11target_archE942ELNS1_3gpuE9ELNS1_3repE0EEENS1_30default_config_static_selectorELNS0_4arch9wavefront6targetE1EEEvSR_ ; -- Begin function _ZN7rocprim17ROCPRIM_400000_NS6detail17trampoline_kernelINS0_14default_configENS1_32segmented_reduce_config_selectorIN3c104HalfEEEZNS1_21segmented_reduce_implIS3_PKS6_PS6_PKiS6_N6hipcub16HIPCUB_304000_NS6detail27convert_result_type_wrapperISA_SB_N2at6native12_GLOBAL__N_19CustomMinEEEEE10hipError_tPvRmT0_T1_jT2_SS_T4_T3_P12ihipStream_tbEUlT_E_NS1_11comp_targetILNS1_3genE5ELNS1_11target_archE942ELNS1_3gpuE9ELNS1_3repE0EEENS1_30default_config_static_selectorELNS0_4arch9wavefront6targetE1EEEvSR_
	.p2align	8
	.type	_ZN7rocprim17ROCPRIM_400000_NS6detail17trampoline_kernelINS0_14default_configENS1_32segmented_reduce_config_selectorIN3c104HalfEEEZNS1_21segmented_reduce_implIS3_PKS6_PS6_PKiS6_N6hipcub16HIPCUB_304000_NS6detail27convert_result_type_wrapperISA_SB_N2at6native12_GLOBAL__N_19CustomMinEEEEE10hipError_tPvRmT0_T1_jT2_SS_T4_T3_P12ihipStream_tbEUlT_E_NS1_11comp_targetILNS1_3genE5ELNS1_11target_archE942ELNS1_3gpuE9ELNS1_3repE0EEENS1_30default_config_static_selectorELNS0_4arch9wavefront6targetE1EEEvSR_,@function
_ZN7rocprim17ROCPRIM_400000_NS6detail17trampoline_kernelINS0_14default_configENS1_32segmented_reduce_config_selectorIN3c104HalfEEEZNS1_21segmented_reduce_implIS3_PKS6_PS6_PKiS6_N6hipcub16HIPCUB_304000_NS6detail27convert_result_type_wrapperISA_SB_N2at6native12_GLOBAL__N_19CustomMinEEEEE10hipError_tPvRmT0_T1_jT2_SS_T4_T3_P12ihipStream_tbEUlT_E_NS1_11comp_targetILNS1_3genE5ELNS1_11target_archE942ELNS1_3gpuE9ELNS1_3repE0EEENS1_30default_config_static_selectorELNS0_4arch9wavefront6targetE1EEEvSR_: ; @_ZN7rocprim17ROCPRIM_400000_NS6detail17trampoline_kernelINS0_14default_configENS1_32segmented_reduce_config_selectorIN3c104HalfEEEZNS1_21segmented_reduce_implIS3_PKS6_PS6_PKiS6_N6hipcub16HIPCUB_304000_NS6detail27convert_result_type_wrapperISA_SB_N2at6native12_GLOBAL__N_19CustomMinEEEEE10hipError_tPvRmT0_T1_jT2_SS_T4_T3_P12ihipStream_tbEUlT_E_NS1_11comp_targetILNS1_3genE5ELNS1_11target_archE942ELNS1_3gpuE9ELNS1_3repE0EEENS1_30default_config_static_selectorELNS0_4arch9wavefront6targetE1EEEvSR_
; %bb.0:
	.section	.rodata,"a",@progbits
	.p2align	6, 0x0
	.amdhsa_kernel _ZN7rocprim17ROCPRIM_400000_NS6detail17trampoline_kernelINS0_14default_configENS1_32segmented_reduce_config_selectorIN3c104HalfEEEZNS1_21segmented_reduce_implIS3_PKS6_PS6_PKiS6_N6hipcub16HIPCUB_304000_NS6detail27convert_result_type_wrapperISA_SB_N2at6native12_GLOBAL__N_19CustomMinEEEEE10hipError_tPvRmT0_T1_jT2_SS_T4_T3_P12ihipStream_tbEUlT_E_NS1_11comp_targetILNS1_3genE5ELNS1_11target_archE942ELNS1_3gpuE9ELNS1_3repE0EEENS1_30default_config_static_selectorELNS0_4arch9wavefront6targetE1EEEvSR_
		.amdhsa_group_segment_fixed_size 0
		.amdhsa_private_segment_fixed_size 0
		.amdhsa_kernarg_size 48
		.amdhsa_user_sgpr_count 6
		.amdhsa_user_sgpr_private_segment_buffer 1
		.amdhsa_user_sgpr_dispatch_ptr 0
		.amdhsa_user_sgpr_queue_ptr 0
		.amdhsa_user_sgpr_kernarg_segment_ptr 1
		.amdhsa_user_sgpr_dispatch_id 0
		.amdhsa_user_sgpr_flat_scratch_init 0
		.amdhsa_user_sgpr_private_segment_size 0
		.amdhsa_uses_dynamic_stack 0
		.amdhsa_system_sgpr_private_segment_wavefront_offset 0
		.amdhsa_system_sgpr_workgroup_id_x 1
		.amdhsa_system_sgpr_workgroup_id_y 0
		.amdhsa_system_sgpr_workgroup_id_z 0
		.amdhsa_system_sgpr_workgroup_info 0
		.amdhsa_system_vgpr_workitem_id 0
		.amdhsa_next_free_vgpr 1
		.amdhsa_next_free_sgpr 0
		.amdhsa_reserve_vcc 0
		.amdhsa_reserve_flat_scratch 0
		.amdhsa_float_round_mode_32 0
		.amdhsa_float_round_mode_16_64 0
		.amdhsa_float_denorm_mode_32 3
		.amdhsa_float_denorm_mode_16_64 3
		.amdhsa_dx10_clamp 1
		.amdhsa_ieee_mode 1
		.amdhsa_fp16_overflow 0
		.amdhsa_exception_fp_ieee_invalid_op 0
		.amdhsa_exception_fp_denorm_src 0
		.amdhsa_exception_fp_ieee_div_zero 0
		.amdhsa_exception_fp_ieee_overflow 0
		.amdhsa_exception_fp_ieee_underflow 0
		.amdhsa_exception_fp_ieee_inexact 0
		.amdhsa_exception_int_div_zero 0
	.end_amdhsa_kernel
	.section	.text._ZN7rocprim17ROCPRIM_400000_NS6detail17trampoline_kernelINS0_14default_configENS1_32segmented_reduce_config_selectorIN3c104HalfEEEZNS1_21segmented_reduce_implIS3_PKS6_PS6_PKiS6_N6hipcub16HIPCUB_304000_NS6detail27convert_result_type_wrapperISA_SB_N2at6native12_GLOBAL__N_19CustomMinEEEEE10hipError_tPvRmT0_T1_jT2_SS_T4_T3_P12ihipStream_tbEUlT_E_NS1_11comp_targetILNS1_3genE5ELNS1_11target_archE942ELNS1_3gpuE9ELNS1_3repE0EEENS1_30default_config_static_selectorELNS0_4arch9wavefront6targetE1EEEvSR_,"axG",@progbits,_ZN7rocprim17ROCPRIM_400000_NS6detail17trampoline_kernelINS0_14default_configENS1_32segmented_reduce_config_selectorIN3c104HalfEEEZNS1_21segmented_reduce_implIS3_PKS6_PS6_PKiS6_N6hipcub16HIPCUB_304000_NS6detail27convert_result_type_wrapperISA_SB_N2at6native12_GLOBAL__N_19CustomMinEEEEE10hipError_tPvRmT0_T1_jT2_SS_T4_T3_P12ihipStream_tbEUlT_E_NS1_11comp_targetILNS1_3genE5ELNS1_11target_archE942ELNS1_3gpuE9ELNS1_3repE0EEENS1_30default_config_static_selectorELNS0_4arch9wavefront6targetE1EEEvSR_,comdat
.Lfunc_end95:
	.size	_ZN7rocprim17ROCPRIM_400000_NS6detail17trampoline_kernelINS0_14default_configENS1_32segmented_reduce_config_selectorIN3c104HalfEEEZNS1_21segmented_reduce_implIS3_PKS6_PS6_PKiS6_N6hipcub16HIPCUB_304000_NS6detail27convert_result_type_wrapperISA_SB_N2at6native12_GLOBAL__N_19CustomMinEEEEE10hipError_tPvRmT0_T1_jT2_SS_T4_T3_P12ihipStream_tbEUlT_E_NS1_11comp_targetILNS1_3genE5ELNS1_11target_archE942ELNS1_3gpuE9ELNS1_3repE0EEENS1_30default_config_static_selectorELNS0_4arch9wavefront6targetE1EEEvSR_, .Lfunc_end95-_ZN7rocprim17ROCPRIM_400000_NS6detail17trampoline_kernelINS0_14default_configENS1_32segmented_reduce_config_selectorIN3c104HalfEEEZNS1_21segmented_reduce_implIS3_PKS6_PS6_PKiS6_N6hipcub16HIPCUB_304000_NS6detail27convert_result_type_wrapperISA_SB_N2at6native12_GLOBAL__N_19CustomMinEEEEE10hipError_tPvRmT0_T1_jT2_SS_T4_T3_P12ihipStream_tbEUlT_E_NS1_11comp_targetILNS1_3genE5ELNS1_11target_archE942ELNS1_3gpuE9ELNS1_3repE0EEENS1_30default_config_static_selectorELNS0_4arch9wavefront6targetE1EEEvSR_
                                        ; -- End function
	.set _ZN7rocprim17ROCPRIM_400000_NS6detail17trampoline_kernelINS0_14default_configENS1_32segmented_reduce_config_selectorIN3c104HalfEEEZNS1_21segmented_reduce_implIS3_PKS6_PS6_PKiS6_N6hipcub16HIPCUB_304000_NS6detail27convert_result_type_wrapperISA_SB_N2at6native12_GLOBAL__N_19CustomMinEEEEE10hipError_tPvRmT0_T1_jT2_SS_T4_T3_P12ihipStream_tbEUlT_E_NS1_11comp_targetILNS1_3genE5ELNS1_11target_archE942ELNS1_3gpuE9ELNS1_3repE0EEENS1_30default_config_static_selectorELNS0_4arch9wavefront6targetE1EEEvSR_.num_vgpr, 0
	.set _ZN7rocprim17ROCPRIM_400000_NS6detail17trampoline_kernelINS0_14default_configENS1_32segmented_reduce_config_selectorIN3c104HalfEEEZNS1_21segmented_reduce_implIS3_PKS6_PS6_PKiS6_N6hipcub16HIPCUB_304000_NS6detail27convert_result_type_wrapperISA_SB_N2at6native12_GLOBAL__N_19CustomMinEEEEE10hipError_tPvRmT0_T1_jT2_SS_T4_T3_P12ihipStream_tbEUlT_E_NS1_11comp_targetILNS1_3genE5ELNS1_11target_archE942ELNS1_3gpuE9ELNS1_3repE0EEENS1_30default_config_static_selectorELNS0_4arch9wavefront6targetE1EEEvSR_.num_agpr, 0
	.set _ZN7rocprim17ROCPRIM_400000_NS6detail17trampoline_kernelINS0_14default_configENS1_32segmented_reduce_config_selectorIN3c104HalfEEEZNS1_21segmented_reduce_implIS3_PKS6_PS6_PKiS6_N6hipcub16HIPCUB_304000_NS6detail27convert_result_type_wrapperISA_SB_N2at6native12_GLOBAL__N_19CustomMinEEEEE10hipError_tPvRmT0_T1_jT2_SS_T4_T3_P12ihipStream_tbEUlT_E_NS1_11comp_targetILNS1_3genE5ELNS1_11target_archE942ELNS1_3gpuE9ELNS1_3repE0EEENS1_30default_config_static_selectorELNS0_4arch9wavefront6targetE1EEEvSR_.numbered_sgpr, 0
	.set _ZN7rocprim17ROCPRIM_400000_NS6detail17trampoline_kernelINS0_14default_configENS1_32segmented_reduce_config_selectorIN3c104HalfEEEZNS1_21segmented_reduce_implIS3_PKS6_PS6_PKiS6_N6hipcub16HIPCUB_304000_NS6detail27convert_result_type_wrapperISA_SB_N2at6native12_GLOBAL__N_19CustomMinEEEEE10hipError_tPvRmT0_T1_jT2_SS_T4_T3_P12ihipStream_tbEUlT_E_NS1_11comp_targetILNS1_3genE5ELNS1_11target_archE942ELNS1_3gpuE9ELNS1_3repE0EEENS1_30default_config_static_selectorELNS0_4arch9wavefront6targetE1EEEvSR_.num_named_barrier, 0
	.set _ZN7rocprim17ROCPRIM_400000_NS6detail17trampoline_kernelINS0_14default_configENS1_32segmented_reduce_config_selectorIN3c104HalfEEEZNS1_21segmented_reduce_implIS3_PKS6_PS6_PKiS6_N6hipcub16HIPCUB_304000_NS6detail27convert_result_type_wrapperISA_SB_N2at6native12_GLOBAL__N_19CustomMinEEEEE10hipError_tPvRmT0_T1_jT2_SS_T4_T3_P12ihipStream_tbEUlT_E_NS1_11comp_targetILNS1_3genE5ELNS1_11target_archE942ELNS1_3gpuE9ELNS1_3repE0EEENS1_30default_config_static_selectorELNS0_4arch9wavefront6targetE1EEEvSR_.private_seg_size, 0
	.set _ZN7rocprim17ROCPRIM_400000_NS6detail17trampoline_kernelINS0_14default_configENS1_32segmented_reduce_config_selectorIN3c104HalfEEEZNS1_21segmented_reduce_implIS3_PKS6_PS6_PKiS6_N6hipcub16HIPCUB_304000_NS6detail27convert_result_type_wrapperISA_SB_N2at6native12_GLOBAL__N_19CustomMinEEEEE10hipError_tPvRmT0_T1_jT2_SS_T4_T3_P12ihipStream_tbEUlT_E_NS1_11comp_targetILNS1_3genE5ELNS1_11target_archE942ELNS1_3gpuE9ELNS1_3repE0EEENS1_30default_config_static_selectorELNS0_4arch9wavefront6targetE1EEEvSR_.uses_vcc, 0
	.set _ZN7rocprim17ROCPRIM_400000_NS6detail17trampoline_kernelINS0_14default_configENS1_32segmented_reduce_config_selectorIN3c104HalfEEEZNS1_21segmented_reduce_implIS3_PKS6_PS6_PKiS6_N6hipcub16HIPCUB_304000_NS6detail27convert_result_type_wrapperISA_SB_N2at6native12_GLOBAL__N_19CustomMinEEEEE10hipError_tPvRmT0_T1_jT2_SS_T4_T3_P12ihipStream_tbEUlT_E_NS1_11comp_targetILNS1_3genE5ELNS1_11target_archE942ELNS1_3gpuE9ELNS1_3repE0EEENS1_30default_config_static_selectorELNS0_4arch9wavefront6targetE1EEEvSR_.uses_flat_scratch, 0
	.set _ZN7rocprim17ROCPRIM_400000_NS6detail17trampoline_kernelINS0_14default_configENS1_32segmented_reduce_config_selectorIN3c104HalfEEEZNS1_21segmented_reduce_implIS3_PKS6_PS6_PKiS6_N6hipcub16HIPCUB_304000_NS6detail27convert_result_type_wrapperISA_SB_N2at6native12_GLOBAL__N_19CustomMinEEEEE10hipError_tPvRmT0_T1_jT2_SS_T4_T3_P12ihipStream_tbEUlT_E_NS1_11comp_targetILNS1_3genE5ELNS1_11target_archE942ELNS1_3gpuE9ELNS1_3repE0EEENS1_30default_config_static_selectorELNS0_4arch9wavefront6targetE1EEEvSR_.has_dyn_sized_stack, 0
	.set _ZN7rocprim17ROCPRIM_400000_NS6detail17trampoline_kernelINS0_14default_configENS1_32segmented_reduce_config_selectorIN3c104HalfEEEZNS1_21segmented_reduce_implIS3_PKS6_PS6_PKiS6_N6hipcub16HIPCUB_304000_NS6detail27convert_result_type_wrapperISA_SB_N2at6native12_GLOBAL__N_19CustomMinEEEEE10hipError_tPvRmT0_T1_jT2_SS_T4_T3_P12ihipStream_tbEUlT_E_NS1_11comp_targetILNS1_3genE5ELNS1_11target_archE942ELNS1_3gpuE9ELNS1_3repE0EEENS1_30default_config_static_selectorELNS0_4arch9wavefront6targetE1EEEvSR_.has_recursion, 0
	.set _ZN7rocprim17ROCPRIM_400000_NS6detail17trampoline_kernelINS0_14default_configENS1_32segmented_reduce_config_selectorIN3c104HalfEEEZNS1_21segmented_reduce_implIS3_PKS6_PS6_PKiS6_N6hipcub16HIPCUB_304000_NS6detail27convert_result_type_wrapperISA_SB_N2at6native12_GLOBAL__N_19CustomMinEEEEE10hipError_tPvRmT0_T1_jT2_SS_T4_T3_P12ihipStream_tbEUlT_E_NS1_11comp_targetILNS1_3genE5ELNS1_11target_archE942ELNS1_3gpuE9ELNS1_3repE0EEENS1_30default_config_static_selectorELNS0_4arch9wavefront6targetE1EEEvSR_.has_indirect_call, 0
	.section	.AMDGPU.csdata,"",@progbits
; Kernel info:
; codeLenInByte = 0
; TotalNumSgprs: 4
; NumVgprs: 0
; ScratchSize: 0
; MemoryBound: 0
; FloatMode: 240
; IeeeMode: 1
; LDSByteSize: 0 bytes/workgroup (compile time only)
; SGPRBlocks: 0
; VGPRBlocks: 0
; NumSGPRsForWavesPerEU: 4
; NumVGPRsForWavesPerEU: 1
; Occupancy: 10
; WaveLimiterHint : 0
; COMPUTE_PGM_RSRC2:SCRATCH_EN: 0
; COMPUTE_PGM_RSRC2:USER_SGPR: 6
; COMPUTE_PGM_RSRC2:TRAP_HANDLER: 0
; COMPUTE_PGM_RSRC2:TGID_X_EN: 1
; COMPUTE_PGM_RSRC2:TGID_Y_EN: 0
; COMPUTE_PGM_RSRC2:TGID_Z_EN: 0
; COMPUTE_PGM_RSRC2:TIDIG_COMP_CNT: 0
	.section	.text._ZN7rocprim17ROCPRIM_400000_NS6detail17trampoline_kernelINS0_14default_configENS1_32segmented_reduce_config_selectorIN3c104HalfEEEZNS1_21segmented_reduce_implIS3_PKS6_PS6_PKiS6_N6hipcub16HIPCUB_304000_NS6detail27convert_result_type_wrapperISA_SB_N2at6native12_GLOBAL__N_19CustomMinEEEEE10hipError_tPvRmT0_T1_jT2_SS_T4_T3_P12ihipStream_tbEUlT_E_NS1_11comp_targetILNS1_3genE10ELNS1_11target_archE1201ELNS1_3gpuE5ELNS1_3repE0EEENS1_30default_config_static_selectorELNS0_4arch9wavefront6targetE1EEEvSR_,"axG",@progbits,_ZN7rocprim17ROCPRIM_400000_NS6detail17trampoline_kernelINS0_14default_configENS1_32segmented_reduce_config_selectorIN3c104HalfEEEZNS1_21segmented_reduce_implIS3_PKS6_PS6_PKiS6_N6hipcub16HIPCUB_304000_NS6detail27convert_result_type_wrapperISA_SB_N2at6native12_GLOBAL__N_19CustomMinEEEEE10hipError_tPvRmT0_T1_jT2_SS_T4_T3_P12ihipStream_tbEUlT_E_NS1_11comp_targetILNS1_3genE10ELNS1_11target_archE1201ELNS1_3gpuE5ELNS1_3repE0EEENS1_30default_config_static_selectorELNS0_4arch9wavefront6targetE1EEEvSR_,comdat
	.globl	_ZN7rocprim17ROCPRIM_400000_NS6detail17trampoline_kernelINS0_14default_configENS1_32segmented_reduce_config_selectorIN3c104HalfEEEZNS1_21segmented_reduce_implIS3_PKS6_PS6_PKiS6_N6hipcub16HIPCUB_304000_NS6detail27convert_result_type_wrapperISA_SB_N2at6native12_GLOBAL__N_19CustomMinEEEEE10hipError_tPvRmT0_T1_jT2_SS_T4_T3_P12ihipStream_tbEUlT_E_NS1_11comp_targetILNS1_3genE10ELNS1_11target_archE1201ELNS1_3gpuE5ELNS1_3repE0EEENS1_30default_config_static_selectorELNS0_4arch9wavefront6targetE1EEEvSR_ ; -- Begin function _ZN7rocprim17ROCPRIM_400000_NS6detail17trampoline_kernelINS0_14default_configENS1_32segmented_reduce_config_selectorIN3c104HalfEEEZNS1_21segmented_reduce_implIS3_PKS6_PS6_PKiS6_N6hipcub16HIPCUB_304000_NS6detail27convert_result_type_wrapperISA_SB_N2at6native12_GLOBAL__N_19CustomMinEEEEE10hipError_tPvRmT0_T1_jT2_SS_T4_T3_P12ihipStream_tbEUlT_E_NS1_11comp_targetILNS1_3genE10ELNS1_11target_archE1201ELNS1_3gpuE5ELNS1_3repE0EEENS1_30default_config_static_selectorELNS0_4arch9wavefront6targetE1EEEvSR_
	.p2align	8
	.type	_ZN7rocprim17ROCPRIM_400000_NS6detail17trampoline_kernelINS0_14default_configENS1_32segmented_reduce_config_selectorIN3c104HalfEEEZNS1_21segmented_reduce_implIS3_PKS6_PS6_PKiS6_N6hipcub16HIPCUB_304000_NS6detail27convert_result_type_wrapperISA_SB_N2at6native12_GLOBAL__N_19CustomMinEEEEE10hipError_tPvRmT0_T1_jT2_SS_T4_T3_P12ihipStream_tbEUlT_E_NS1_11comp_targetILNS1_3genE10ELNS1_11target_archE1201ELNS1_3gpuE5ELNS1_3repE0EEENS1_30default_config_static_selectorELNS0_4arch9wavefront6targetE1EEEvSR_,@function
_ZN7rocprim17ROCPRIM_400000_NS6detail17trampoline_kernelINS0_14default_configENS1_32segmented_reduce_config_selectorIN3c104HalfEEEZNS1_21segmented_reduce_implIS3_PKS6_PS6_PKiS6_N6hipcub16HIPCUB_304000_NS6detail27convert_result_type_wrapperISA_SB_N2at6native12_GLOBAL__N_19CustomMinEEEEE10hipError_tPvRmT0_T1_jT2_SS_T4_T3_P12ihipStream_tbEUlT_E_NS1_11comp_targetILNS1_3genE10ELNS1_11target_archE1201ELNS1_3gpuE5ELNS1_3repE0EEENS1_30default_config_static_selectorELNS0_4arch9wavefront6targetE1EEEvSR_: ; @_ZN7rocprim17ROCPRIM_400000_NS6detail17trampoline_kernelINS0_14default_configENS1_32segmented_reduce_config_selectorIN3c104HalfEEEZNS1_21segmented_reduce_implIS3_PKS6_PS6_PKiS6_N6hipcub16HIPCUB_304000_NS6detail27convert_result_type_wrapperISA_SB_N2at6native12_GLOBAL__N_19CustomMinEEEEE10hipError_tPvRmT0_T1_jT2_SS_T4_T3_P12ihipStream_tbEUlT_E_NS1_11comp_targetILNS1_3genE10ELNS1_11target_archE1201ELNS1_3gpuE5ELNS1_3repE0EEENS1_30default_config_static_selectorELNS0_4arch9wavefront6targetE1EEEvSR_
; %bb.0:
	.section	.rodata,"a",@progbits
	.p2align	6, 0x0
	.amdhsa_kernel _ZN7rocprim17ROCPRIM_400000_NS6detail17trampoline_kernelINS0_14default_configENS1_32segmented_reduce_config_selectorIN3c104HalfEEEZNS1_21segmented_reduce_implIS3_PKS6_PS6_PKiS6_N6hipcub16HIPCUB_304000_NS6detail27convert_result_type_wrapperISA_SB_N2at6native12_GLOBAL__N_19CustomMinEEEEE10hipError_tPvRmT0_T1_jT2_SS_T4_T3_P12ihipStream_tbEUlT_E_NS1_11comp_targetILNS1_3genE10ELNS1_11target_archE1201ELNS1_3gpuE5ELNS1_3repE0EEENS1_30default_config_static_selectorELNS0_4arch9wavefront6targetE1EEEvSR_
		.amdhsa_group_segment_fixed_size 0
		.amdhsa_private_segment_fixed_size 0
		.amdhsa_kernarg_size 48
		.amdhsa_user_sgpr_count 6
		.amdhsa_user_sgpr_private_segment_buffer 1
		.amdhsa_user_sgpr_dispatch_ptr 0
		.amdhsa_user_sgpr_queue_ptr 0
		.amdhsa_user_sgpr_kernarg_segment_ptr 1
		.amdhsa_user_sgpr_dispatch_id 0
		.amdhsa_user_sgpr_flat_scratch_init 0
		.amdhsa_user_sgpr_private_segment_size 0
		.amdhsa_uses_dynamic_stack 0
		.amdhsa_system_sgpr_private_segment_wavefront_offset 0
		.amdhsa_system_sgpr_workgroup_id_x 1
		.amdhsa_system_sgpr_workgroup_id_y 0
		.amdhsa_system_sgpr_workgroup_id_z 0
		.amdhsa_system_sgpr_workgroup_info 0
		.amdhsa_system_vgpr_workitem_id 0
		.amdhsa_next_free_vgpr 1
		.amdhsa_next_free_sgpr 0
		.amdhsa_reserve_vcc 0
		.amdhsa_reserve_flat_scratch 0
		.amdhsa_float_round_mode_32 0
		.amdhsa_float_round_mode_16_64 0
		.amdhsa_float_denorm_mode_32 3
		.amdhsa_float_denorm_mode_16_64 3
		.amdhsa_dx10_clamp 1
		.amdhsa_ieee_mode 1
		.amdhsa_fp16_overflow 0
		.amdhsa_exception_fp_ieee_invalid_op 0
		.amdhsa_exception_fp_denorm_src 0
		.amdhsa_exception_fp_ieee_div_zero 0
		.amdhsa_exception_fp_ieee_overflow 0
		.amdhsa_exception_fp_ieee_underflow 0
		.amdhsa_exception_fp_ieee_inexact 0
		.amdhsa_exception_int_div_zero 0
	.end_amdhsa_kernel
	.section	.text._ZN7rocprim17ROCPRIM_400000_NS6detail17trampoline_kernelINS0_14default_configENS1_32segmented_reduce_config_selectorIN3c104HalfEEEZNS1_21segmented_reduce_implIS3_PKS6_PS6_PKiS6_N6hipcub16HIPCUB_304000_NS6detail27convert_result_type_wrapperISA_SB_N2at6native12_GLOBAL__N_19CustomMinEEEEE10hipError_tPvRmT0_T1_jT2_SS_T4_T3_P12ihipStream_tbEUlT_E_NS1_11comp_targetILNS1_3genE10ELNS1_11target_archE1201ELNS1_3gpuE5ELNS1_3repE0EEENS1_30default_config_static_selectorELNS0_4arch9wavefront6targetE1EEEvSR_,"axG",@progbits,_ZN7rocprim17ROCPRIM_400000_NS6detail17trampoline_kernelINS0_14default_configENS1_32segmented_reduce_config_selectorIN3c104HalfEEEZNS1_21segmented_reduce_implIS3_PKS6_PS6_PKiS6_N6hipcub16HIPCUB_304000_NS6detail27convert_result_type_wrapperISA_SB_N2at6native12_GLOBAL__N_19CustomMinEEEEE10hipError_tPvRmT0_T1_jT2_SS_T4_T3_P12ihipStream_tbEUlT_E_NS1_11comp_targetILNS1_3genE10ELNS1_11target_archE1201ELNS1_3gpuE5ELNS1_3repE0EEENS1_30default_config_static_selectorELNS0_4arch9wavefront6targetE1EEEvSR_,comdat
.Lfunc_end96:
	.size	_ZN7rocprim17ROCPRIM_400000_NS6detail17trampoline_kernelINS0_14default_configENS1_32segmented_reduce_config_selectorIN3c104HalfEEEZNS1_21segmented_reduce_implIS3_PKS6_PS6_PKiS6_N6hipcub16HIPCUB_304000_NS6detail27convert_result_type_wrapperISA_SB_N2at6native12_GLOBAL__N_19CustomMinEEEEE10hipError_tPvRmT0_T1_jT2_SS_T4_T3_P12ihipStream_tbEUlT_E_NS1_11comp_targetILNS1_3genE10ELNS1_11target_archE1201ELNS1_3gpuE5ELNS1_3repE0EEENS1_30default_config_static_selectorELNS0_4arch9wavefront6targetE1EEEvSR_, .Lfunc_end96-_ZN7rocprim17ROCPRIM_400000_NS6detail17trampoline_kernelINS0_14default_configENS1_32segmented_reduce_config_selectorIN3c104HalfEEEZNS1_21segmented_reduce_implIS3_PKS6_PS6_PKiS6_N6hipcub16HIPCUB_304000_NS6detail27convert_result_type_wrapperISA_SB_N2at6native12_GLOBAL__N_19CustomMinEEEEE10hipError_tPvRmT0_T1_jT2_SS_T4_T3_P12ihipStream_tbEUlT_E_NS1_11comp_targetILNS1_3genE10ELNS1_11target_archE1201ELNS1_3gpuE5ELNS1_3repE0EEENS1_30default_config_static_selectorELNS0_4arch9wavefront6targetE1EEEvSR_
                                        ; -- End function
	.set _ZN7rocprim17ROCPRIM_400000_NS6detail17trampoline_kernelINS0_14default_configENS1_32segmented_reduce_config_selectorIN3c104HalfEEEZNS1_21segmented_reduce_implIS3_PKS6_PS6_PKiS6_N6hipcub16HIPCUB_304000_NS6detail27convert_result_type_wrapperISA_SB_N2at6native12_GLOBAL__N_19CustomMinEEEEE10hipError_tPvRmT0_T1_jT2_SS_T4_T3_P12ihipStream_tbEUlT_E_NS1_11comp_targetILNS1_3genE10ELNS1_11target_archE1201ELNS1_3gpuE5ELNS1_3repE0EEENS1_30default_config_static_selectorELNS0_4arch9wavefront6targetE1EEEvSR_.num_vgpr, 0
	.set _ZN7rocprim17ROCPRIM_400000_NS6detail17trampoline_kernelINS0_14default_configENS1_32segmented_reduce_config_selectorIN3c104HalfEEEZNS1_21segmented_reduce_implIS3_PKS6_PS6_PKiS6_N6hipcub16HIPCUB_304000_NS6detail27convert_result_type_wrapperISA_SB_N2at6native12_GLOBAL__N_19CustomMinEEEEE10hipError_tPvRmT0_T1_jT2_SS_T4_T3_P12ihipStream_tbEUlT_E_NS1_11comp_targetILNS1_3genE10ELNS1_11target_archE1201ELNS1_3gpuE5ELNS1_3repE0EEENS1_30default_config_static_selectorELNS0_4arch9wavefront6targetE1EEEvSR_.num_agpr, 0
	.set _ZN7rocprim17ROCPRIM_400000_NS6detail17trampoline_kernelINS0_14default_configENS1_32segmented_reduce_config_selectorIN3c104HalfEEEZNS1_21segmented_reduce_implIS3_PKS6_PS6_PKiS6_N6hipcub16HIPCUB_304000_NS6detail27convert_result_type_wrapperISA_SB_N2at6native12_GLOBAL__N_19CustomMinEEEEE10hipError_tPvRmT0_T1_jT2_SS_T4_T3_P12ihipStream_tbEUlT_E_NS1_11comp_targetILNS1_3genE10ELNS1_11target_archE1201ELNS1_3gpuE5ELNS1_3repE0EEENS1_30default_config_static_selectorELNS0_4arch9wavefront6targetE1EEEvSR_.numbered_sgpr, 0
	.set _ZN7rocprim17ROCPRIM_400000_NS6detail17trampoline_kernelINS0_14default_configENS1_32segmented_reduce_config_selectorIN3c104HalfEEEZNS1_21segmented_reduce_implIS3_PKS6_PS6_PKiS6_N6hipcub16HIPCUB_304000_NS6detail27convert_result_type_wrapperISA_SB_N2at6native12_GLOBAL__N_19CustomMinEEEEE10hipError_tPvRmT0_T1_jT2_SS_T4_T3_P12ihipStream_tbEUlT_E_NS1_11comp_targetILNS1_3genE10ELNS1_11target_archE1201ELNS1_3gpuE5ELNS1_3repE0EEENS1_30default_config_static_selectorELNS0_4arch9wavefront6targetE1EEEvSR_.num_named_barrier, 0
	.set _ZN7rocprim17ROCPRIM_400000_NS6detail17trampoline_kernelINS0_14default_configENS1_32segmented_reduce_config_selectorIN3c104HalfEEEZNS1_21segmented_reduce_implIS3_PKS6_PS6_PKiS6_N6hipcub16HIPCUB_304000_NS6detail27convert_result_type_wrapperISA_SB_N2at6native12_GLOBAL__N_19CustomMinEEEEE10hipError_tPvRmT0_T1_jT2_SS_T4_T3_P12ihipStream_tbEUlT_E_NS1_11comp_targetILNS1_3genE10ELNS1_11target_archE1201ELNS1_3gpuE5ELNS1_3repE0EEENS1_30default_config_static_selectorELNS0_4arch9wavefront6targetE1EEEvSR_.private_seg_size, 0
	.set _ZN7rocprim17ROCPRIM_400000_NS6detail17trampoline_kernelINS0_14default_configENS1_32segmented_reduce_config_selectorIN3c104HalfEEEZNS1_21segmented_reduce_implIS3_PKS6_PS6_PKiS6_N6hipcub16HIPCUB_304000_NS6detail27convert_result_type_wrapperISA_SB_N2at6native12_GLOBAL__N_19CustomMinEEEEE10hipError_tPvRmT0_T1_jT2_SS_T4_T3_P12ihipStream_tbEUlT_E_NS1_11comp_targetILNS1_3genE10ELNS1_11target_archE1201ELNS1_3gpuE5ELNS1_3repE0EEENS1_30default_config_static_selectorELNS0_4arch9wavefront6targetE1EEEvSR_.uses_vcc, 0
	.set _ZN7rocprim17ROCPRIM_400000_NS6detail17trampoline_kernelINS0_14default_configENS1_32segmented_reduce_config_selectorIN3c104HalfEEEZNS1_21segmented_reduce_implIS3_PKS6_PS6_PKiS6_N6hipcub16HIPCUB_304000_NS6detail27convert_result_type_wrapperISA_SB_N2at6native12_GLOBAL__N_19CustomMinEEEEE10hipError_tPvRmT0_T1_jT2_SS_T4_T3_P12ihipStream_tbEUlT_E_NS1_11comp_targetILNS1_3genE10ELNS1_11target_archE1201ELNS1_3gpuE5ELNS1_3repE0EEENS1_30default_config_static_selectorELNS0_4arch9wavefront6targetE1EEEvSR_.uses_flat_scratch, 0
	.set _ZN7rocprim17ROCPRIM_400000_NS6detail17trampoline_kernelINS0_14default_configENS1_32segmented_reduce_config_selectorIN3c104HalfEEEZNS1_21segmented_reduce_implIS3_PKS6_PS6_PKiS6_N6hipcub16HIPCUB_304000_NS6detail27convert_result_type_wrapperISA_SB_N2at6native12_GLOBAL__N_19CustomMinEEEEE10hipError_tPvRmT0_T1_jT2_SS_T4_T3_P12ihipStream_tbEUlT_E_NS1_11comp_targetILNS1_3genE10ELNS1_11target_archE1201ELNS1_3gpuE5ELNS1_3repE0EEENS1_30default_config_static_selectorELNS0_4arch9wavefront6targetE1EEEvSR_.has_dyn_sized_stack, 0
	.set _ZN7rocprim17ROCPRIM_400000_NS6detail17trampoline_kernelINS0_14default_configENS1_32segmented_reduce_config_selectorIN3c104HalfEEEZNS1_21segmented_reduce_implIS3_PKS6_PS6_PKiS6_N6hipcub16HIPCUB_304000_NS6detail27convert_result_type_wrapperISA_SB_N2at6native12_GLOBAL__N_19CustomMinEEEEE10hipError_tPvRmT0_T1_jT2_SS_T4_T3_P12ihipStream_tbEUlT_E_NS1_11comp_targetILNS1_3genE10ELNS1_11target_archE1201ELNS1_3gpuE5ELNS1_3repE0EEENS1_30default_config_static_selectorELNS0_4arch9wavefront6targetE1EEEvSR_.has_recursion, 0
	.set _ZN7rocprim17ROCPRIM_400000_NS6detail17trampoline_kernelINS0_14default_configENS1_32segmented_reduce_config_selectorIN3c104HalfEEEZNS1_21segmented_reduce_implIS3_PKS6_PS6_PKiS6_N6hipcub16HIPCUB_304000_NS6detail27convert_result_type_wrapperISA_SB_N2at6native12_GLOBAL__N_19CustomMinEEEEE10hipError_tPvRmT0_T1_jT2_SS_T4_T3_P12ihipStream_tbEUlT_E_NS1_11comp_targetILNS1_3genE10ELNS1_11target_archE1201ELNS1_3gpuE5ELNS1_3repE0EEENS1_30default_config_static_selectorELNS0_4arch9wavefront6targetE1EEEvSR_.has_indirect_call, 0
	.section	.AMDGPU.csdata,"",@progbits
; Kernel info:
; codeLenInByte = 0
; TotalNumSgprs: 4
; NumVgprs: 0
; ScratchSize: 0
; MemoryBound: 0
; FloatMode: 240
; IeeeMode: 1
; LDSByteSize: 0 bytes/workgroup (compile time only)
; SGPRBlocks: 0
; VGPRBlocks: 0
; NumSGPRsForWavesPerEU: 4
; NumVGPRsForWavesPerEU: 1
; Occupancy: 10
; WaveLimiterHint : 0
; COMPUTE_PGM_RSRC2:SCRATCH_EN: 0
; COMPUTE_PGM_RSRC2:USER_SGPR: 6
; COMPUTE_PGM_RSRC2:TRAP_HANDLER: 0
; COMPUTE_PGM_RSRC2:TGID_X_EN: 1
; COMPUTE_PGM_RSRC2:TGID_Y_EN: 0
; COMPUTE_PGM_RSRC2:TGID_Z_EN: 0
; COMPUTE_PGM_RSRC2:TIDIG_COMP_CNT: 0
	.section	.text._ZN7rocprim17ROCPRIM_400000_NS6detail17trampoline_kernelINS0_14default_configENS1_32segmented_reduce_config_selectorIN3c104HalfEEEZNS1_21segmented_reduce_implIS3_PKS6_PS6_PKiS6_N6hipcub16HIPCUB_304000_NS6detail27convert_result_type_wrapperISA_SB_N2at6native12_GLOBAL__N_19CustomMinEEEEE10hipError_tPvRmT0_T1_jT2_SS_T4_T3_P12ihipStream_tbEUlT_E_NS1_11comp_targetILNS1_3genE4ELNS1_11target_archE910ELNS1_3gpuE8ELNS1_3repE0EEENS1_30default_config_static_selectorELNS0_4arch9wavefront6targetE1EEEvSR_,"axG",@progbits,_ZN7rocprim17ROCPRIM_400000_NS6detail17trampoline_kernelINS0_14default_configENS1_32segmented_reduce_config_selectorIN3c104HalfEEEZNS1_21segmented_reduce_implIS3_PKS6_PS6_PKiS6_N6hipcub16HIPCUB_304000_NS6detail27convert_result_type_wrapperISA_SB_N2at6native12_GLOBAL__N_19CustomMinEEEEE10hipError_tPvRmT0_T1_jT2_SS_T4_T3_P12ihipStream_tbEUlT_E_NS1_11comp_targetILNS1_3genE4ELNS1_11target_archE910ELNS1_3gpuE8ELNS1_3repE0EEENS1_30default_config_static_selectorELNS0_4arch9wavefront6targetE1EEEvSR_,comdat
	.globl	_ZN7rocprim17ROCPRIM_400000_NS6detail17trampoline_kernelINS0_14default_configENS1_32segmented_reduce_config_selectorIN3c104HalfEEEZNS1_21segmented_reduce_implIS3_PKS6_PS6_PKiS6_N6hipcub16HIPCUB_304000_NS6detail27convert_result_type_wrapperISA_SB_N2at6native12_GLOBAL__N_19CustomMinEEEEE10hipError_tPvRmT0_T1_jT2_SS_T4_T3_P12ihipStream_tbEUlT_E_NS1_11comp_targetILNS1_3genE4ELNS1_11target_archE910ELNS1_3gpuE8ELNS1_3repE0EEENS1_30default_config_static_selectorELNS0_4arch9wavefront6targetE1EEEvSR_ ; -- Begin function _ZN7rocprim17ROCPRIM_400000_NS6detail17trampoline_kernelINS0_14default_configENS1_32segmented_reduce_config_selectorIN3c104HalfEEEZNS1_21segmented_reduce_implIS3_PKS6_PS6_PKiS6_N6hipcub16HIPCUB_304000_NS6detail27convert_result_type_wrapperISA_SB_N2at6native12_GLOBAL__N_19CustomMinEEEEE10hipError_tPvRmT0_T1_jT2_SS_T4_T3_P12ihipStream_tbEUlT_E_NS1_11comp_targetILNS1_3genE4ELNS1_11target_archE910ELNS1_3gpuE8ELNS1_3repE0EEENS1_30default_config_static_selectorELNS0_4arch9wavefront6targetE1EEEvSR_
	.p2align	8
	.type	_ZN7rocprim17ROCPRIM_400000_NS6detail17trampoline_kernelINS0_14default_configENS1_32segmented_reduce_config_selectorIN3c104HalfEEEZNS1_21segmented_reduce_implIS3_PKS6_PS6_PKiS6_N6hipcub16HIPCUB_304000_NS6detail27convert_result_type_wrapperISA_SB_N2at6native12_GLOBAL__N_19CustomMinEEEEE10hipError_tPvRmT0_T1_jT2_SS_T4_T3_P12ihipStream_tbEUlT_E_NS1_11comp_targetILNS1_3genE4ELNS1_11target_archE910ELNS1_3gpuE8ELNS1_3repE0EEENS1_30default_config_static_selectorELNS0_4arch9wavefront6targetE1EEEvSR_,@function
_ZN7rocprim17ROCPRIM_400000_NS6detail17trampoline_kernelINS0_14default_configENS1_32segmented_reduce_config_selectorIN3c104HalfEEEZNS1_21segmented_reduce_implIS3_PKS6_PS6_PKiS6_N6hipcub16HIPCUB_304000_NS6detail27convert_result_type_wrapperISA_SB_N2at6native12_GLOBAL__N_19CustomMinEEEEE10hipError_tPvRmT0_T1_jT2_SS_T4_T3_P12ihipStream_tbEUlT_E_NS1_11comp_targetILNS1_3genE4ELNS1_11target_archE910ELNS1_3gpuE8ELNS1_3repE0EEENS1_30default_config_static_selectorELNS0_4arch9wavefront6targetE1EEEvSR_: ; @_ZN7rocprim17ROCPRIM_400000_NS6detail17trampoline_kernelINS0_14default_configENS1_32segmented_reduce_config_selectorIN3c104HalfEEEZNS1_21segmented_reduce_implIS3_PKS6_PS6_PKiS6_N6hipcub16HIPCUB_304000_NS6detail27convert_result_type_wrapperISA_SB_N2at6native12_GLOBAL__N_19CustomMinEEEEE10hipError_tPvRmT0_T1_jT2_SS_T4_T3_P12ihipStream_tbEUlT_E_NS1_11comp_targetILNS1_3genE4ELNS1_11target_archE910ELNS1_3gpuE8ELNS1_3repE0EEENS1_30default_config_static_selectorELNS0_4arch9wavefront6targetE1EEEvSR_
; %bb.0:
	.section	.rodata,"a",@progbits
	.p2align	6, 0x0
	.amdhsa_kernel _ZN7rocprim17ROCPRIM_400000_NS6detail17trampoline_kernelINS0_14default_configENS1_32segmented_reduce_config_selectorIN3c104HalfEEEZNS1_21segmented_reduce_implIS3_PKS6_PS6_PKiS6_N6hipcub16HIPCUB_304000_NS6detail27convert_result_type_wrapperISA_SB_N2at6native12_GLOBAL__N_19CustomMinEEEEE10hipError_tPvRmT0_T1_jT2_SS_T4_T3_P12ihipStream_tbEUlT_E_NS1_11comp_targetILNS1_3genE4ELNS1_11target_archE910ELNS1_3gpuE8ELNS1_3repE0EEENS1_30default_config_static_selectorELNS0_4arch9wavefront6targetE1EEEvSR_
		.amdhsa_group_segment_fixed_size 0
		.amdhsa_private_segment_fixed_size 0
		.amdhsa_kernarg_size 48
		.amdhsa_user_sgpr_count 6
		.amdhsa_user_sgpr_private_segment_buffer 1
		.amdhsa_user_sgpr_dispatch_ptr 0
		.amdhsa_user_sgpr_queue_ptr 0
		.amdhsa_user_sgpr_kernarg_segment_ptr 1
		.amdhsa_user_sgpr_dispatch_id 0
		.amdhsa_user_sgpr_flat_scratch_init 0
		.amdhsa_user_sgpr_private_segment_size 0
		.amdhsa_uses_dynamic_stack 0
		.amdhsa_system_sgpr_private_segment_wavefront_offset 0
		.amdhsa_system_sgpr_workgroup_id_x 1
		.amdhsa_system_sgpr_workgroup_id_y 0
		.amdhsa_system_sgpr_workgroup_id_z 0
		.amdhsa_system_sgpr_workgroup_info 0
		.amdhsa_system_vgpr_workitem_id 0
		.amdhsa_next_free_vgpr 1
		.amdhsa_next_free_sgpr 0
		.amdhsa_reserve_vcc 0
		.amdhsa_reserve_flat_scratch 0
		.amdhsa_float_round_mode_32 0
		.amdhsa_float_round_mode_16_64 0
		.amdhsa_float_denorm_mode_32 3
		.amdhsa_float_denorm_mode_16_64 3
		.amdhsa_dx10_clamp 1
		.amdhsa_ieee_mode 1
		.amdhsa_fp16_overflow 0
		.amdhsa_exception_fp_ieee_invalid_op 0
		.amdhsa_exception_fp_denorm_src 0
		.amdhsa_exception_fp_ieee_div_zero 0
		.amdhsa_exception_fp_ieee_overflow 0
		.amdhsa_exception_fp_ieee_underflow 0
		.amdhsa_exception_fp_ieee_inexact 0
		.amdhsa_exception_int_div_zero 0
	.end_amdhsa_kernel
	.section	.text._ZN7rocprim17ROCPRIM_400000_NS6detail17trampoline_kernelINS0_14default_configENS1_32segmented_reduce_config_selectorIN3c104HalfEEEZNS1_21segmented_reduce_implIS3_PKS6_PS6_PKiS6_N6hipcub16HIPCUB_304000_NS6detail27convert_result_type_wrapperISA_SB_N2at6native12_GLOBAL__N_19CustomMinEEEEE10hipError_tPvRmT0_T1_jT2_SS_T4_T3_P12ihipStream_tbEUlT_E_NS1_11comp_targetILNS1_3genE4ELNS1_11target_archE910ELNS1_3gpuE8ELNS1_3repE0EEENS1_30default_config_static_selectorELNS0_4arch9wavefront6targetE1EEEvSR_,"axG",@progbits,_ZN7rocprim17ROCPRIM_400000_NS6detail17trampoline_kernelINS0_14default_configENS1_32segmented_reduce_config_selectorIN3c104HalfEEEZNS1_21segmented_reduce_implIS3_PKS6_PS6_PKiS6_N6hipcub16HIPCUB_304000_NS6detail27convert_result_type_wrapperISA_SB_N2at6native12_GLOBAL__N_19CustomMinEEEEE10hipError_tPvRmT0_T1_jT2_SS_T4_T3_P12ihipStream_tbEUlT_E_NS1_11comp_targetILNS1_3genE4ELNS1_11target_archE910ELNS1_3gpuE8ELNS1_3repE0EEENS1_30default_config_static_selectorELNS0_4arch9wavefront6targetE1EEEvSR_,comdat
.Lfunc_end97:
	.size	_ZN7rocprim17ROCPRIM_400000_NS6detail17trampoline_kernelINS0_14default_configENS1_32segmented_reduce_config_selectorIN3c104HalfEEEZNS1_21segmented_reduce_implIS3_PKS6_PS6_PKiS6_N6hipcub16HIPCUB_304000_NS6detail27convert_result_type_wrapperISA_SB_N2at6native12_GLOBAL__N_19CustomMinEEEEE10hipError_tPvRmT0_T1_jT2_SS_T4_T3_P12ihipStream_tbEUlT_E_NS1_11comp_targetILNS1_3genE4ELNS1_11target_archE910ELNS1_3gpuE8ELNS1_3repE0EEENS1_30default_config_static_selectorELNS0_4arch9wavefront6targetE1EEEvSR_, .Lfunc_end97-_ZN7rocprim17ROCPRIM_400000_NS6detail17trampoline_kernelINS0_14default_configENS1_32segmented_reduce_config_selectorIN3c104HalfEEEZNS1_21segmented_reduce_implIS3_PKS6_PS6_PKiS6_N6hipcub16HIPCUB_304000_NS6detail27convert_result_type_wrapperISA_SB_N2at6native12_GLOBAL__N_19CustomMinEEEEE10hipError_tPvRmT0_T1_jT2_SS_T4_T3_P12ihipStream_tbEUlT_E_NS1_11comp_targetILNS1_3genE4ELNS1_11target_archE910ELNS1_3gpuE8ELNS1_3repE0EEENS1_30default_config_static_selectorELNS0_4arch9wavefront6targetE1EEEvSR_
                                        ; -- End function
	.set _ZN7rocprim17ROCPRIM_400000_NS6detail17trampoline_kernelINS0_14default_configENS1_32segmented_reduce_config_selectorIN3c104HalfEEEZNS1_21segmented_reduce_implIS3_PKS6_PS6_PKiS6_N6hipcub16HIPCUB_304000_NS6detail27convert_result_type_wrapperISA_SB_N2at6native12_GLOBAL__N_19CustomMinEEEEE10hipError_tPvRmT0_T1_jT2_SS_T4_T3_P12ihipStream_tbEUlT_E_NS1_11comp_targetILNS1_3genE4ELNS1_11target_archE910ELNS1_3gpuE8ELNS1_3repE0EEENS1_30default_config_static_selectorELNS0_4arch9wavefront6targetE1EEEvSR_.num_vgpr, 0
	.set _ZN7rocprim17ROCPRIM_400000_NS6detail17trampoline_kernelINS0_14default_configENS1_32segmented_reduce_config_selectorIN3c104HalfEEEZNS1_21segmented_reduce_implIS3_PKS6_PS6_PKiS6_N6hipcub16HIPCUB_304000_NS6detail27convert_result_type_wrapperISA_SB_N2at6native12_GLOBAL__N_19CustomMinEEEEE10hipError_tPvRmT0_T1_jT2_SS_T4_T3_P12ihipStream_tbEUlT_E_NS1_11comp_targetILNS1_3genE4ELNS1_11target_archE910ELNS1_3gpuE8ELNS1_3repE0EEENS1_30default_config_static_selectorELNS0_4arch9wavefront6targetE1EEEvSR_.num_agpr, 0
	.set _ZN7rocprim17ROCPRIM_400000_NS6detail17trampoline_kernelINS0_14default_configENS1_32segmented_reduce_config_selectorIN3c104HalfEEEZNS1_21segmented_reduce_implIS3_PKS6_PS6_PKiS6_N6hipcub16HIPCUB_304000_NS6detail27convert_result_type_wrapperISA_SB_N2at6native12_GLOBAL__N_19CustomMinEEEEE10hipError_tPvRmT0_T1_jT2_SS_T4_T3_P12ihipStream_tbEUlT_E_NS1_11comp_targetILNS1_3genE4ELNS1_11target_archE910ELNS1_3gpuE8ELNS1_3repE0EEENS1_30default_config_static_selectorELNS0_4arch9wavefront6targetE1EEEvSR_.numbered_sgpr, 0
	.set _ZN7rocprim17ROCPRIM_400000_NS6detail17trampoline_kernelINS0_14default_configENS1_32segmented_reduce_config_selectorIN3c104HalfEEEZNS1_21segmented_reduce_implIS3_PKS6_PS6_PKiS6_N6hipcub16HIPCUB_304000_NS6detail27convert_result_type_wrapperISA_SB_N2at6native12_GLOBAL__N_19CustomMinEEEEE10hipError_tPvRmT0_T1_jT2_SS_T4_T3_P12ihipStream_tbEUlT_E_NS1_11comp_targetILNS1_3genE4ELNS1_11target_archE910ELNS1_3gpuE8ELNS1_3repE0EEENS1_30default_config_static_selectorELNS0_4arch9wavefront6targetE1EEEvSR_.num_named_barrier, 0
	.set _ZN7rocprim17ROCPRIM_400000_NS6detail17trampoline_kernelINS0_14default_configENS1_32segmented_reduce_config_selectorIN3c104HalfEEEZNS1_21segmented_reduce_implIS3_PKS6_PS6_PKiS6_N6hipcub16HIPCUB_304000_NS6detail27convert_result_type_wrapperISA_SB_N2at6native12_GLOBAL__N_19CustomMinEEEEE10hipError_tPvRmT0_T1_jT2_SS_T4_T3_P12ihipStream_tbEUlT_E_NS1_11comp_targetILNS1_3genE4ELNS1_11target_archE910ELNS1_3gpuE8ELNS1_3repE0EEENS1_30default_config_static_selectorELNS0_4arch9wavefront6targetE1EEEvSR_.private_seg_size, 0
	.set _ZN7rocprim17ROCPRIM_400000_NS6detail17trampoline_kernelINS0_14default_configENS1_32segmented_reduce_config_selectorIN3c104HalfEEEZNS1_21segmented_reduce_implIS3_PKS6_PS6_PKiS6_N6hipcub16HIPCUB_304000_NS6detail27convert_result_type_wrapperISA_SB_N2at6native12_GLOBAL__N_19CustomMinEEEEE10hipError_tPvRmT0_T1_jT2_SS_T4_T3_P12ihipStream_tbEUlT_E_NS1_11comp_targetILNS1_3genE4ELNS1_11target_archE910ELNS1_3gpuE8ELNS1_3repE0EEENS1_30default_config_static_selectorELNS0_4arch9wavefront6targetE1EEEvSR_.uses_vcc, 0
	.set _ZN7rocprim17ROCPRIM_400000_NS6detail17trampoline_kernelINS0_14default_configENS1_32segmented_reduce_config_selectorIN3c104HalfEEEZNS1_21segmented_reduce_implIS3_PKS6_PS6_PKiS6_N6hipcub16HIPCUB_304000_NS6detail27convert_result_type_wrapperISA_SB_N2at6native12_GLOBAL__N_19CustomMinEEEEE10hipError_tPvRmT0_T1_jT2_SS_T4_T3_P12ihipStream_tbEUlT_E_NS1_11comp_targetILNS1_3genE4ELNS1_11target_archE910ELNS1_3gpuE8ELNS1_3repE0EEENS1_30default_config_static_selectorELNS0_4arch9wavefront6targetE1EEEvSR_.uses_flat_scratch, 0
	.set _ZN7rocprim17ROCPRIM_400000_NS6detail17trampoline_kernelINS0_14default_configENS1_32segmented_reduce_config_selectorIN3c104HalfEEEZNS1_21segmented_reduce_implIS3_PKS6_PS6_PKiS6_N6hipcub16HIPCUB_304000_NS6detail27convert_result_type_wrapperISA_SB_N2at6native12_GLOBAL__N_19CustomMinEEEEE10hipError_tPvRmT0_T1_jT2_SS_T4_T3_P12ihipStream_tbEUlT_E_NS1_11comp_targetILNS1_3genE4ELNS1_11target_archE910ELNS1_3gpuE8ELNS1_3repE0EEENS1_30default_config_static_selectorELNS0_4arch9wavefront6targetE1EEEvSR_.has_dyn_sized_stack, 0
	.set _ZN7rocprim17ROCPRIM_400000_NS6detail17trampoline_kernelINS0_14default_configENS1_32segmented_reduce_config_selectorIN3c104HalfEEEZNS1_21segmented_reduce_implIS3_PKS6_PS6_PKiS6_N6hipcub16HIPCUB_304000_NS6detail27convert_result_type_wrapperISA_SB_N2at6native12_GLOBAL__N_19CustomMinEEEEE10hipError_tPvRmT0_T1_jT2_SS_T4_T3_P12ihipStream_tbEUlT_E_NS1_11comp_targetILNS1_3genE4ELNS1_11target_archE910ELNS1_3gpuE8ELNS1_3repE0EEENS1_30default_config_static_selectorELNS0_4arch9wavefront6targetE1EEEvSR_.has_recursion, 0
	.set _ZN7rocprim17ROCPRIM_400000_NS6detail17trampoline_kernelINS0_14default_configENS1_32segmented_reduce_config_selectorIN3c104HalfEEEZNS1_21segmented_reduce_implIS3_PKS6_PS6_PKiS6_N6hipcub16HIPCUB_304000_NS6detail27convert_result_type_wrapperISA_SB_N2at6native12_GLOBAL__N_19CustomMinEEEEE10hipError_tPvRmT0_T1_jT2_SS_T4_T3_P12ihipStream_tbEUlT_E_NS1_11comp_targetILNS1_3genE4ELNS1_11target_archE910ELNS1_3gpuE8ELNS1_3repE0EEENS1_30default_config_static_selectorELNS0_4arch9wavefront6targetE1EEEvSR_.has_indirect_call, 0
	.section	.AMDGPU.csdata,"",@progbits
; Kernel info:
; codeLenInByte = 0
; TotalNumSgprs: 4
; NumVgprs: 0
; ScratchSize: 0
; MemoryBound: 0
; FloatMode: 240
; IeeeMode: 1
; LDSByteSize: 0 bytes/workgroup (compile time only)
; SGPRBlocks: 0
; VGPRBlocks: 0
; NumSGPRsForWavesPerEU: 4
; NumVGPRsForWavesPerEU: 1
; Occupancy: 10
; WaveLimiterHint : 0
; COMPUTE_PGM_RSRC2:SCRATCH_EN: 0
; COMPUTE_PGM_RSRC2:USER_SGPR: 6
; COMPUTE_PGM_RSRC2:TRAP_HANDLER: 0
; COMPUTE_PGM_RSRC2:TGID_X_EN: 1
; COMPUTE_PGM_RSRC2:TGID_Y_EN: 0
; COMPUTE_PGM_RSRC2:TGID_Z_EN: 0
; COMPUTE_PGM_RSRC2:TIDIG_COMP_CNT: 0
	.section	.text._ZN7rocprim17ROCPRIM_400000_NS6detail17trampoline_kernelINS0_14default_configENS1_32segmented_reduce_config_selectorIN3c104HalfEEEZNS1_21segmented_reduce_implIS3_PKS6_PS6_PKiS6_N6hipcub16HIPCUB_304000_NS6detail27convert_result_type_wrapperISA_SB_N2at6native12_GLOBAL__N_19CustomMinEEEEE10hipError_tPvRmT0_T1_jT2_SS_T4_T3_P12ihipStream_tbEUlT_E_NS1_11comp_targetILNS1_3genE3ELNS1_11target_archE908ELNS1_3gpuE7ELNS1_3repE0EEENS1_30default_config_static_selectorELNS0_4arch9wavefront6targetE1EEEvSR_,"axG",@progbits,_ZN7rocprim17ROCPRIM_400000_NS6detail17trampoline_kernelINS0_14default_configENS1_32segmented_reduce_config_selectorIN3c104HalfEEEZNS1_21segmented_reduce_implIS3_PKS6_PS6_PKiS6_N6hipcub16HIPCUB_304000_NS6detail27convert_result_type_wrapperISA_SB_N2at6native12_GLOBAL__N_19CustomMinEEEEE10hipError_tPvRmT0_T1_jT2_SS_T4_T3_P12ihipStream_tbEUlT_E_NS1_11comp_targetILNS1_3genE3ELNS1_11target_archE908ELNS1_3gpuE7ELNS1_3repE0EEENS1_30default_config_static_selectorELNS0_4arch9wavefront6targetE1EEEvSR_,comdat
	.globl	_ZN7rocprim17ROCPRIM_400000_NS6detail17trampoline_kernelINS0_14default_configENS1_32segmented_reduce_config_selectorIN3c104HalfEEEZNS1_21segmented_reduce_implIS3_PKS6_PS6_PKiS6_N6hipcub16HIPCUB_304000_NS6detail27convert_result_type_wrapperISA_SB_N2at6native12_GLOBAL__N_19CustomMinEEEEE10hipError_tPvRmT0_T1_jT2_SS_T4_T3_P12ihipStream_tbEUlT_E_NS1_11comp_targetILNS1_3genE3ELNS1_11target_archE908ELNS1_3gpuE7ELNS1_3repE0EEENS1_30default_config_static_selectorELNS0_4arch9wavefront6targetE1EEEvSR_ ; -- Begin function _ZN7rocprim17ROCPRIM_400000_NS6detail17trampoline_kernelINS0_14default_configENS1_32segmented_reduce_config_selectorIN3c104HalfEEEZNS1_21segmented_reduce_implIS3_PKS6_PS6_PKiS6_N6hipcub16HIPCUB_304000_NS6detail27convert_result_type_wrapperISA_SB_N2at6native12_GLOBAL__N_19CustomMinEEEEE10hipError_tPvRmT0_T1_jT2_SS_T4_T3_P12ihipStream_tbEUlT_E_NS1_11comp_targetILNS1_3genE3ELNS1_11target_archE908ELNS1_3gpuE7ELNS1_3repE0EEENS1_30default_config_static_selectorELNS0_4arch9wavefront6targetE1EEEvSR_
	.p2align	8
	.type	_ZN7rocprim17ROCPRIM_400000_NS6detail17trampoline_kernelINS0_14default_configENS1_32segmented_reduce_config_selectorIN3c104HalfEEEZNS1_21segmented_reduce_implIS3_PKS6_PS6_PKiS6_N6hipcub16HIPCUB_304000_NS6detail27convert_result_type_wrapperISA_SB_N2at6native12_GLOBAL__N_19CustomMinEEEEE10hipError_tPvRmT0_T1_jT2_SS_T4_T3_P12ihipStream_tbEUlT_E_NS1_11comp_targetILNS1_3genE3ELNS1_11target_archE908ELNS1_3gpuE7ELNS1_3repE0EEENS1_30default_config_static_selectorELNS0_4arch9wavefront6targetE1EEEvSR_,@function
_ZN7rocprim17ROCPRIM_400000_NS6detail17trampoline_kernelINS0_14default_configENS1_32segmented_reduce_config_selectorIN3c104HalfEEEZNS1_21segmented_reduce_implIS3_PKS6_PS6_PKiS6_N6hipcub16HIPCUB_304000_NS6detail27convert_result_type_wrapperISA_SB_N2at6native12_GLOBAL__N_19CustomMinEEEEE10hipError_tPvRmT0_T1_jT2_SS_T4_T3_P12ihipStream_tbEUlT_E_NS1_11comp_targetILNS1_3genE3ELNS1_11target_archE908ELNS1_3gpuE7ELNS1_3repE0EEENS1_30default_config_static_selectorELNS0_4arch9wavefront6targetE1EEEvSR_: ; @_ZN7rocprim17ROCPRIM_400000_NS6detail17trampoline_kernelINS0_14default_configENS1_32segmented_reduce_config_selectorIN3c104HalfEEEZNS1_21segmented_reduce_implIS3_PKS6_PS6_PKiS6_N6hipcub16HIPCUB_304000_NS6detail27convert_result_type_wrapperISA_SB_N2at6native12_GLOBAL__N_19CustomMinEEEEE10hipError_tPvRmT0_T1_jT2_SS_T4_T3_P12ihipStream_tbEUlT_E_NS1_11comp_targetILNS1_3genE3ELNS1_11target_archE908ELNS1_3gpuE7ELNS1_3repE0EEENS1_30default_config_static_selectorELNS0_4arch9wavefront6targetE1EEEvSR_
; %bb.0:
	.section	.rodata,"a",@progbits
	.p2align	6, 0x0
	.amdhsa_kernel _ZN7rocprim17ROCPRIM_400000_NS6detail17trampoline_kernelINS0_14default_configENS1_32segmented_reduce_config_selectorIN3c104HalfEEEZNS1_21segmented_reduce_implIS3_PKS6_PS6_PKiS6_N6hipcub16HIPCUB_304000_NS6detail27convert_result_type_wrapperISA_SB_N2at6native12_GLOBAL__N_19CustomMinEEEEE10hipError_tPvRmT0_T1_jT2_SS_T4_T3_P12ihipStream_tbEUlT_E_NS1_11comp_targetILNS1_3genE3ELNS1_11target_archE908ELNS1_3gpuE7ELNS1_3repE0EEENS1_30default_config_static_selectorELNS0_4arch9wavefront6targetE1EEEvSR_
		.amdhsa_group_segment_fixed_size 0
		.amdhsa_private_segment_fixed_size 0
		.amdhsa_kernarg_size 48
		.amdhsa_user_sgpr_count 6
		.amdhsa_user_sgpr_private_segment_buffer 1
		.amdhsa_user_sgpr_dispatch_ptr 0
		.amdhsa_user_sgpr_queue_ptr 0
		.amdhsa_user_sgpr_kernarg_segment_ptr 1
		.amdhsa_user_sgpr_dispatch_id 0
		.amdhsa_user_sgpr_flat_scratch_init 0
		.amdhsa_user_sgpr_private_segment_size 0
		.amdhsa_uses_dynamic_stack 0
		.amdhsa_system_sgpr_private_segment_wavefront_offset 0
		.amdhsa_system_sgpr_workgroup_id_x 1
		.amdhsa_system_sgpr_workgroup_id_y 0
		.amdhsa_system_sgpr_workgroup_id_z 0
		.amdhsa_system_sgpr_workgroup_info 0
		.amdhsa_system_vgpr_workitem_id 0
		.amdhsa_next_free_vgpr 1
		.amdhsa_next_free_sgpr 0
		.amdhsa_reserve_vcc 0
		.amdhsa_reserve_flat_scratch 0
		.amdhsa_float_round_mode_32 0
		.amdhsa_float_round_mode_16_64 0
		.amdhsa_float_denorm_mode_32 3
		.amdhsa_float_denorm_mode_16_64 3
		.amdhsa_dx10_clamp 1
		.amdhsa_ieee_mode 1
		.amdhsa_fp16_overflow 0
		.amdhsa_exception_fp_ieee_invalid_op 0
		.amdhsa_exception_fp_denorm_src 0
		.amdhsa_exception_fp_ieee_div_zero 0
		.amdhsa_exception_fp_ieee_overflow 0
		.amdhsa_exception_fp_ieee_underflow 0
		.amdhsa_exception_fp_ieee_inexact 0
		.amdhsa_exception_int_div_zero 0
	.end_amdhsa_kernel
	.section	.text._ZN7rocprim17ROCPRIM_400000_NS6detail17trampoline_kernelINS0_14default_configENS1_32segmented_reduce_config_selectorIN3c104HalfEEEZNS1_21segmented_reduce_implIS3_PKS6_PS6_PKiS6_N6hipcub16HIPCUB_304000_NS6detail27convert_result_type_wrapperISA_SB_N2at6native12_GLOBAL__N_19CustomMinEEEEE10hipError_tPvRmT0_T1_jT2_SS_T4_T3_P12ihipStream_tbEUlT_E_NS1_11comp_targetILNS1_3genE3ELNS1_11target_archE908ELNS1_3gpuE7ELNS1_3repE0EEENS1_30default_config_static_selectorELNS0_4arch9wavefront6targetE1EEEvSR_,"axG",@progbits,_ZN7rocprim17ROCPRIM_400000_NS6detail17trampoline_kernelINS0_14default_configENS1_32segmented_reduce_config_selectorIN3c104HalfEEEZNS1_21segmented_reduce_implIS3_PKS6_PS6_PKiS6_N6hipcub16HIPCUB_304000_NS6detail27convert_result_type_wrapperISA_SB_N2at6native12_GLOBAL__N_19CustomMinEEEEE10hipError_tPvRmT0_T1_jT2_SS_T4_T3_P12ihipStream_tbEUlT_E_NS1_11comp_targetILNS1_3genE3ELNS1_11target_archE908ELNS1_3gpuE7ELNS1_3repE0EEENS1_30default_config_static_selectorELNS0_4arch9wavefront6targetE1EEEvSR_,comdat
.Lfunc_end98:
	.size	_ZN7rocprim17ROCPRIM_400000_NS6detail17trampoline_kernelINS0_14default_configENS1_32segmented_reduce_config_selectorIN3c104HalfEEEZNS1_21segmented_reduce_implIS3_PKS6_PS6_PKiS6_N6hipcub16HIPCUB_304000_NS6detail27convert_result_type_wrapperISA_SB_N2at6native12_GLOBAL__N_19CustomMinEEEEE10hipError_tPvRmT0_T1_jT2_SS_T4_T3_P12ihipStream_tbEUlT_E_NS1_11comp_targetILNS1_3genE3ELNS1_11target_archE908ELNS1_3gpuE7ELNS1_3repE0EEENS1_30default_config_static_selectorELNS0_4arch9wavefront6targetE1EEEvSR_, .Lfunc_end98-_ZN7rocprim17ROCPRIM_400000_NS6detail17trampoline_kernelINS0_14default_configENS1_32segmented_reduce_config_selectorIN3c104HalfEEEZNS1_21segmented_reduce_implIS3_PKS6_PS6_PKiS6_N6hipcub16HIPCUB_304000_NS6detail27convert_result_type_wrapperISA_SB_N2at6native12_GLOBAL__N_19CustomMinEEEEE10hipError_tPvRmT0_T1_jT2_SS_T4_T3_P12ihipStream_tbEUlT_E_NS1_11comp_targetILNS1_3genE3ELNS1_11target_archE908ELNS1_3gpuE7ELNS1_3repE0EEENS1_30default_config_static_selectorELNS0_4arch9wavefront6targetE1EEEvSR_
                                        ; -- End function
	.set _ZN7rocprim17ROCPRIM_400000_NS6detail17trampoline_kernelINS0_14default_configENS1_32segmented_reduce_config_selectorIN3c104HalfEEEZNS1_21segmented_reduce_implIS3_PKS6_PS6_PKiS6_N6hipcub16HIPCUB_304000_NS6detail27convert_result_type_wrapperISA_SB_N2at6native12_GLOBAL__N_19CustomMinEEEEE10hipError_tPvRmT0_T1_jT2_SS_T4_T3_P12ihipStream_tbEUlT_E_NS1_11comp_targetILNS1_3genE3ELNS1_11target_archE908ELNS1_3gpuE7ELNS1_3repE0EEENS1_30default_config_static_selectorELNS0_4arch9wavefront6targetE1EEEvSR_.num_vgpr, 0
	.set _ZN7rocprim17ROCPRIM_400000_NS6detail17trampoline_kernelINS0_14default_configENS1_32segmented_reduce_config_selectorIN3c104HalfEEEZNS1_21segmented_reduce_implIS3_PKS6_PS6_PKiS6_N6hipcub16HIPCUB_304000_NS6detail27convert_result_type_wrapperISA_SB_N2at6native12_GLOBAL__N_19CustomMinEEEEE10hipError_tPvRmT0_T1_jT2_SS_T4_T3_P12ihipStream_tbEUlT_E_NS1_11comp_targetILNS1_3genE3ELNS1_11target_archE908ELNS1_3gpuE7ELNS1_3repE0EEENS1_30default_config_static_selectorELNS0_4arch9wavefront6targetE1EEEvSR_.num_agpr, 0
	.set _ZN7rocprim17ROCPRIM_400000_NS6detail17trampoline_kernelINS0_14default_configENS1_32segmented_reduce_config_selectorIN3c104HalfEEEZNS1_21segmented_reduce_implIS3_PKS6_PS6_PKiS6_N6hipcub16HIPCUB_304000_NS6detail27convert_result_type_wrapperISA_SB_N2at6native12_GLOBAL__N_19CustomMinEEEEE10hipError_tPvRmT0_T1_jT2_SS_T4_T3_P12ihipStream_tbEUlT_E_NS1_11comp_targetILNS1_3genE3ELNS1_11target_archE908ELNS1_3gpuE7ELNS1_3repE0EEENS1_30default_config_static_selectorELNS0_4arch9wavefront6targetE1EEEvSR_.numbered_sgpr, 0
	.set _ZN7rocprim17ROCPRIM_400000_NS6detail17trampoline_kernelINS0_14default_configENS1_32segmented_reduce_config_selectorIN3c104HalfEEEZNS1_21segmented_reduce_implIS3_PKS6_PS6_PKiS6_N6hipcub16HIPCUB_304000_NS6detail27convert_result_type_wrapperISA_SB_N2at6native12_GLOBAL__N_19CustomMinEEEEE10hipError_tPvRmT0_T1_jT2_SS_T4_T3_P12ihipStream_tbEUlT_E_NS1_11comp_targetILNS1_3genE3ELNS1_11target_archE908ELNS1_3gpuE7ELNS1_3repE0EEENS1_30default_config_static_selectorELNS0_4arch9wavefront6targetE1EEEvSR_.num_named_barrier, 0
	.set _ZN7rocprim17ROCPRIM_400000_NS6detail17trampoline_kernelINS0_14default_configENS1_32segmented_reduce_config_selectorIN3c104HalfEEEZNS1_21segmented_reduce_implIS3_PKS6_PS6_PKiS6_N6hipcub16HIPCUB_304000_NS6detail27convert_result_type_wrapperISA_SB_N2at6native12_GLOBAL__N_19CustomMinEEEEE10hipError_tPvRmT0_T1_jT2_SS_T4_T3_P12ihipStream_tbEUlT_E_NS1_11comp_targetILNS1_3genE3ELNS1_11target_archE908ELNS1_3gpuE7ELNS1_3repE0EEENS1_30default_config_static_selectorELNS0_4arch9wavefront6targetE1EEEvSR_.private_seg_size, 0
	.set _ZN7rocprim17ROCPRIM_400000_NS6detail17trampoline_kernelINS0_14default_configENS1_32segmented_reduce_config_selectorIN3c104HalfEEEZNS1_21segmented_reduce_implIS3_PKS6_PS6_PKiS6_N6hipcub16HIPCUB_304000_NS6detail27convert_result_type_wrapperISA_SB_N2at6native12_GLOBAL__N_19CustomMinEEEEE10hipError_tPvRmT0_T1_jT2_SS_T4_T3_P12ihipStream_tbEUlT_E_NS1_11comp_targetILNS1_3genE3ELNS1_11target_archE908ELNS1_3gpuE7ELNS1_3repE0EEENS1_30default_config_static_selectorELNS0_4arch9wavefront6targetE1EEEvSR_.uses_vcc, 0
	.set _ZN7rocprim17ROCPRIM_400000_NS6detail17trampoline_kernelINS0_14default_configENS1_32segmented_reduce_config_selectorIN3c104HalfEEEZNS1_21segmented_reduce_implIS3_PKS6_PS6_PKiS6_N6hipcub16HIPCUB_304000_NS6detail27convert_result_type_wrapperISA_SB_N2at6native12_GLOBAL__N_19CustomMinEEEEE10hipError_tPvRmT0_T1_jT2_SS_T4_T3_P12ihipStream_tbEUlT_E_NS1_11comp_targetILNS1_3genE3ELNS1_11target_archE908ELNS1_3gpuE7ELNS1_3repE0EEENS1_30default_config_static_selectorELNS0_4arch9wavefront6targetE1EEEvSR_.uses_flat_scratch, 0
	.set _ZN7rocprim17ROCPRIM_400000_NS6detail17trampoline_kernelINS0_14default_configENS1_32segmented_reduce_config_selectorIN3c104HalfEEEZNS1_21segmented_reduce_implIS3_PKS6_PS6_PKiS6_N6hipcub16HIPCUB_304000_NS6detail27convert_result_type_wrapperISA_SB_N2at6native12_GLOBAL__N_19CustomMinEEEEE10hipError_tPvRmT0_T1_jT2_SS_T4_T3_P12ihipStream_tbEUlT_E_NS1_11comp_targetILNS1_3genE3ELNS1_11target_archE908ELNS1_3gpuE7ELNS1_3repE0EEENS1_30default_config_static_selectorELNS0_4arch9wavefront6targetE1EEEvSR_.has_dyn_sized_stack, 0
	.set _ZN7rocprim17ROCPRIM_400000_NS6detail17trampoline_kernelINS0_14default_configENS1_32segmented_reduce_config_selectorIN3c104HalfEEEZNS1_21segmented_reduce_implIS3_PKS6_PS6_PKiS6_N6hipcub16HIPCUB_304000_NS6detail27convert_result_type_wrapperISA_SB_N2at6native12_GLOBAL__N_19CustomMinEEEEE10hipError_tPvRmT0_T1_jT2_SS_T4_T3_P12ihipStream_tbEUlT_E_NS1_11comp_targetILNS1_3genE3ELNS1_11target_archE908ELNS1_3gpuE7ELNS1_3repE0EEENS1_30default_config_static_selectorELNS0_4arch9wavefront6targetE1EEEvSR_.has_recursion, 0
	.set _ZN7rocprim17ROCPRIM_400000_NS6detail17trampoline_kernelINS0_14default_configENS1_32segmented_reduce_config_selectorIN3c104HalfEEEZNS1_21segmented_reduce_implIS3_PKS6_PS6_PKiS6_N6hipcub16HIPCUB_304000_NS6detail27convert_result_type_wrapperISA_SB_N2at6native12_GLOBAL__N_19CustomMinEEEEE10hipError_tPvRmT0_T1_jT2_SS_T4_T3_P12ihipStream_tbEUlT_E_NS1_11comp_targetILNS1_3genE3ELNS1_11target_archE908ELNS1_3gpuE7ELNS1_3repE0EEENS1_30default_config_static_selectorELNS0_4arch9wavefront6targetE1EEEvSR_.has_indirect_call, 0
	.section	.AMDGPU.csdata,"",@progbits
; Kernel info:
; codeLenInByte = 0
; TotalNumSgprs: 4
; NumVgprs: 0
; ScratchSize: 0
; MemoryBound: 0
; FloatMode: 240
; IeeeMode: 1
; LDSByteSize: 0 bytes/workgroup (compile time only)
; SGPRBlocks: 0
; VGPRBlocks: 0
; NumSGPRsForWavesPerEU: 4
; NumVGPRsForWavesPerEU: 1
; Occupancy: 10
; WaveLimiterHint : 0
; COMPUTE_PGM_RSRC2:SCRATCH_EN: 0
; COMPUTE_PGM_RSRC2:USER_SGPR: 6
; COMPUTE_PGM_RSRC2:TRAP_HANDLER: 0
; COMPUTE_PGM_RSRC2:TGID_X_EN: 1
; COMPUTE_PGM_RSRC2:TGID_Y_EN: 0
; COMPUTE_PGM_RSRC2:TGID_Z_EN: 0
; COMPUTE_PGM_RSRC2:TIDIG_COMP_CNT: 0
	.section	.text._ZN7rocprim17ROCPRIM_400000_NS6detail17trampoline_kernelINS0_14default_configENS1_32segmented_reduce_config_selectorIN3c104HalfEEEZNS1_21segmented_reduce_implIS3_PKS6_PS6_PKiS6_N6hipcub16HIPCUB_304000_NS6detail27convert_result_type_wrapperISA_SB_N2at6native12_GLOBAL__N_19CustomMinEEEEE10hipError_tPvRmT0_T1_jT2_SS_T4_T3_P12ihipStream_tbEUlT_E_NS1_11comp_targetILNS1_3genE2ELNS1_11target_archE906ELNS1_3gpuE6ELNS1_3repE0EEENS1_30default_config_static_selectorELNS0_4arch9wavefront6targetE1EEEvSR_,"axG",@progbits,_ZN7rocprim17ROCPRIM_400000_NS6detail17trampoline_kernelINS0_14default_configENS1_32segmented_reduce_config_selectorIN3c104HalfEEEZNS1_21segmented_reduce_implIS3_PKS6_PS6_PKiS6_N6hipcub16HIPCUB_304000_NS6detail27convert_result_type_wrapperISA_SB_N2at6native12_GLOBAL__N_19CustomMinEEEEE10hipError_tPvRmT0_T1_jT2_SS_T4_T3_P12ihipStream_tbEUlT_E_NS1_11comp_targetILNS1_3genE2ELNS1_11target_archE906ELNS1_3gpuE6ELNS1_3repE0EEENS1_30default_config_static_selectorELNS0_4arch9wavefront6targetE1EEEvSR_,comdat
	.globl	_ZN7rocprim17ROCPRIM_400000_NS6detail17trampoline_kernelINS0_14default_configENS1_32segmented_reduce_config_selectorIN3c104HalfEEEZNS1_21segmented_reduce_implIS3_PKS6_PS6_PKiS6_N6hipcub16HIPCUB_304000_NS6detail27convert_result_type_wrapperISA_SB_N2at6native12_GLOBAL__N_19CustomMinEEEEE10hipError_tPvRmT0_T1_jT2_SS_T4_T3_P12ihipStream_tbEUlT_E_NS1_11comp_targetILNS1_3genE2ELNS1_11target_archE906ELNS1_3gpuE6ELNS1_3repE0EEENS1_30default_config_static_selectorELNS0_4arch9wavefront6targetE1EEEvSR_ ; -- Begin function _ZN7rocprim17ROCPRIM_400000_NS6detail17trampoline_kernelINS0_14default_configENS1_32segmented_reduce_config_selectorIN3c104HalfEEEZNS1_21segmented_reduce_implIS3_PKS6_PS6_PKiS6_N6hipcub16HIPCUB_304000_NS6detail27convert_result_type_wrapperISA_SB_N2at6native12_GLOBAL__N_19CustomMinEEEEE10hipError_tPvRmT0_T1_jT2_SS_T4_T3_P12ihipStream_tbEUlT_E_NS1_11comp_targetILNS1_3genE2ELNS1_11target_archE906ELNS1_3gpuE6ELNS1_3repE0EEENS1_30default_config_static_selectorELNS0_4arch9wavefront6targetE1EEEvSR_
	.p2align	8
	.type	_ZN7rocprim17ROCPRIM_400000_NS6detail17trampoline_kernelINS0_14default_configENS1_32segmented_reduce_config_selectorIN3c104HalfEEEZNS1_21segmented_reduce_implIS3_PKS6_PS6_PKiS6_N6hipcub16HIPCUB_304000_NS6detail27convert_result_type_wrapperISA_SB_N2at6native12_GLOBAL__N_19CustomMinEEEEE10hipError_tPvRmT0_T1_jT2_SS_T4_T3_P12ihipStream_tbEUlT_E_NS1_11comp_targetILNS1_3genE2ELNS1_11target_archE906ELNS1_3gpuE6ELNS1_3repE0EEENS1_30default_config_static_selectorELNS0_4arch9wavefront6targetE1EEEvSR_,@function
_ZN7rocprim17ROCPRIM_400000_NS6detail17trampoline_kernelINS0_14default_configENS1_32segmented_reduce_config_selectorIN3c104HalfEEEZNS1_21segmented_reduce_implIS3_PKS6_PS6_PKiS6_N6hipcub16HIPCUB_304000_NS6detail27convert_result_type_wrapperISA_SB_N2at6native12_GLOBAL__N_19CustomMinEEEEE10hipError_tPvRmT0_T1_jT2_SS_T4_T3_P12ihipStream_tbEUlT_E_NS1_11comp_targetILNS1_3genE2ELNS1_11target_archE906ELNS1_3gpuE6ELNS1_3repE0EEENS1_30default_config_static_selectorELNS0_4arch9wavefront6targetE1EEEvSR_: ; @_ZN7rocprim17ROCPRIM_400000_NS6detail17trampoline_kernelINS0_14default_configENS1_32segmented_reduce_config_selectorIN3c104HalfEEEZNS1_21segmented_reduce_implIS3_PKS6_PS6_PKiS6_N6hipcub16HIPCUB_304000_NS6detail27convert_result_type_wrapperISA_SB_N2at6native12_GLOBAL__N_19CustomMinEEEEE10hipError_tPvRmT0_T1_jT2_SS_T4_T3_P12ihipStream_tbEUlT_E_NS1_11comp_targetILNS1_3genE2ELNS1_11target_archE906ELNS1_3gpuE6ELNS1_3repE0EEENS1_30default_config_static_selectorELNS0_4arch9wavefront6targetE1EEEvSR_
; %bb.0:
	s_load_dword s2, s[4:5], 0x28
	s_load_dwordx8 s[36:43], s[4:5], 0x0
	s_load_dwordx2 s[0:1], s[4:5], 0x20
	s_mov_b32 s7, 0
	v_cmp_eq_u32_e32 vcc, 0, v0
	s_waitcnt lgkmcnt(0)
	s_lshr_b32 s33, s2, 16
	s_lshl_b64 s[2:3], s[40:41], 2
	s_add_u32 s4, s42, s2
	s_addc_u32 s5, s43, s3
	s_add_u32 s8, s0, s2
	s_addc_u32 s9, s1, s3
	s_lshl_b64 s[0:1], s[6:7], 2
	s_add_u32 s2, s4, s0
	s_addc_u32 s3, s5, s1
	s_add_u32 s0, s8, s0
	s_addc_u32 s1, s9, s1
	s_load_dword s42, s[2:3], 0x0
	s_load_dword s50, s[0:1], 0x0
	s_waitcnt lgkmcnt(0)
	s_cmp_gt_i32 s50, s42
	s_cbranch_scc1 .LBB99_3
; %bb.1:
	s_and_b64 s[34:35], vcc, exec
	s_cbranch_execz .LBB99_4
; %bb.2:
	v_mov_b32_e32 v1, s33
	s_and_saveexec_b64 s[0:1], s[34:35]
	s_cbranch_execnz .LBB99_409
	s_branch .LBB99_410
.LBB99_3:
	s_mov_b64 s[34:35], 0
.LBB99_4:
	s_add_i32 s0, s42, 0x1000
	s_cmp_le_i32 s0, s50
	s_cbranch_scc0 .LBB99_88
; %bb.5:
	s_ashr_i32 s43, s42, 31
	s_lshl_b64 s[2:3], s[42:43], 1
	s_add_u32 s2, s36, s2
	s_addc_u32 s3, s37, s3
	v_lshlrev_b32_e32 v18, 1, v0
	v_mov_b32_e32 v1, s3
	v_add_co_u32_e32 v2, vcc, s2, v18
	v_addc_co_u32_e32 v1, vcc, 0, v1, vcc
	v_add_co_u32_e32 v19, vcc, 0x1000, v2
	v_addc_co_u32_e32 v20, vcc, 0, v1, vcc
	global_load_ushort v17, v18, s[2:3]
	global_load_ushort v16, v18, s[2:3] offset:512
	global_load_ushort v15, v18, s[2:3] offset:1024
	;; [unrolled: 1-line block ×7, first 2 shown]
	global_load_ushort v8, v[19:20], off
	global_load_ushort v7, v[19:20], off offset:512
	global_load_ushort v6, v[19:20], off offset:1024
	;; [unrolled: 1-line block ×7, first 2 shown]
	s_waitcnt vmcnt(15)
	v_cmp_o_f16_e32 vcc, v17, v17
	v_mov_b32_e32 v9, v17
	s_and_saveexec_b64 s[2:3], vcc
	s_cbranch_execnz .LBB99_89
; %bb.6:
	s_or_b64 exec, exec, s[2:3]
	v_cmp_o_f16_e32 vcc, v9, v9
	s_and_saveexec_b64 s[2:3], vcc
	s_cbranch_execnz .LBB99_92
.LBB99_7:
	s_or_b64 exec, exec, s[2:3]
	v_cmp_o_f16_e32 vcc, v9, v9
	s_and_saveexec_b64 s[2:3], vcc
	s_cbranch_execnz .LBB99_95
.LBB99_8:
	s_or_b64 exec, exec, s[2:3]
	v_cmp_o_f16_e32 vcc, v9, v9
	s_and_saveexec_b64 s[2:3], vcc
	s_cbranch_execnz .LBB99_98
.LBB99_9:
	s_or_b64 exec, exec, s[2:3]
	v_cmp_o_f16_e32 vcc, v9, v9
	s_and_saveexec_b64 s[2:3], vcc
	s_cbranch_execnz .LBB99_101
.LBB99_10:
	s_or_b64 exec, exec, s[2:3]
	v_cmp_o_f16_e32 vcc, v9, v9
	s_and_saveexec_b64 s[2:3], vcc
	s_cbranch_execnz .LBB99_104
.LBB99_11:
	s_or_b64 exec, exec, s[2:3]
	v_cmp_o_f16_e32 vcc, v9, v9
	s_and_saveexec_b64 s[2:3], vcc
	s_cbranch_execnz .LBB99_107
.LBB99_12:
	s_or_b64 exec, exec, s[2:3]
	v_cmp_o_f16_e32 vcc, v9, v9
	s_and_saveexec_b64 s[2:3], vcc
	s_cbranch_execnz .LBB99_110
.LBB99_13:
	s_or_b64 exec, exec, s[2:3]
	v_cmp_o_f16_e32 vcc, v9, v9
	s_and_saveexec_b64 s[2:3], vcc
	s_cbranch_execnz .LBB99_113
.LBB99_14:
	s_or_b64 exec, exec, s[2:3]
	v_cmp_o_f16_e32 vcc, v9, v9
	s_and_saveexec_b64 s[2:3], vcc
	s_cbranch_execnz .LBB99_116
.LBB99_15:
	s_or_b64 exec, exec, s[2:3]
	v_cmp_o_f16_e32 vcc, v9, v9
	s_and_saveexec_b64 s[2:3], vcc
	s_cbranch_execnz .LBB99_119
.LBB99_16:
	s_or_b64 exec, exec, s[2:3]
	v_cmp_o_f16_e32 vcc, v9, v9
	s_and_saveexec_b64 s[2:3], vcc
	s_cbranch_execnz .LBB99_122
.LBB99_17:
	s_or_b64 exec, exec, s[2:3]
	v_cmp_o_f16_e32 vcc, v9, v9
	s_and_saveexec_b64 s[2:3], vcc
	s_cbranch_execnz .LBB99_125
.LBB99_18:
	s_or_b64 exec, exec, s[2:3]
	v_cmp_o_f16_e32 vcc, v9, v9
	s_and_saveexec_b64 s[2:3], vcc
	s_cbranch_execnz .LBB99_128
.LBB99_19:
	s_or_b64 exec, exec, s[2:3]
	v_cmp_o_f16_e32 vcc, v9, v9
	s_and_saveexec_b64 s[2:3], vcc
	s_cbranch_execnz .LBB99_131
.LBB99_20:
	s_or_b64 exec, exec, s[2:3]
	s_add_i32 s1, s42, 0x2000
	s_cmp_ge_i32 s1, s50
	s_cbranch_scc1 .LBB99_134
.LBB99_21:
	s_waitcnt vmcnt(0)
	v_mov_b32_e32 v1, s37
	v_add_co_u32_e32 v19, vcc, s36, v18
	v_addc_co_u32_e32 v20, vcc, 0, v1, vcc
.LBB99_22:                              ; =>This Inner Loop Header: Depth=1
	s_ashr_i32 s1, s0, 31
	s_lshl_b64 s[2:3], s[0:1], 1
	s_waitcnt vmcnt(1)
	v_mov_b32_e32 v2, s3
	s_waitcnt vmcnt(0)
	v_add_co_u32_e32 v1, vcc, s2, v19
	v_addc_co_u32_e32 v2, vcc, v20, v2, vcc
	v_add_co_u32_e32 v21, vcc, 0x1000, v1
	v_addc_co_u32_e32 v22, vcc, 0, v2, vcc
	global_load_ushort v17, v[1:2], off
	global_load_ushort v16, v[1:2], off offset:512
	global_load_ushort v15, v[1:2], off offset:1024
	;; [unrolled: 1-line block ×7, first 2 shown]
	global_load_ushort v8, v[21:22], off
	global_load_ushort v7, v[21:22], off offset:512
	global_load_ushort v6, v[21:22], off offset:1024
	global_load_ushort v5, v[21:22], off offset:1536
	global_load_ushort v4, v[21:22], off offset:2048
	global_load_ushort v3, v[21:22], off offset:2560
	global_load_ushort v2, v[21:22], off offset:3072
	global_load_ushort v1, v[21:22], off offset:3584
	v_cmp_o_f16_e32 vcc, v9, v9
	v_mov_b32_e32 v21, v9
	s_and_saveexec_b64 s[2:3], vcc
	s_cbranch_execnz .LBB99_38
; %bb.23:                               ;   in Loop: Header=BB99_22 Depth=1
	s_or_b64 exec, exec, s[2:3]
	v_cmp_o_f16_e32 vcc, v21, v21
	s_and_saveexec_b64 s[2:3], vcc
	s_cbranch_execnz .LBB99_41
.LBB99_24:                              ;   in Loop: Header=BB99_22 Depth=1
	s_or_b64 exec, exec, s[2:3]
	v_cmp_o_f16_e32 vcc, v21, v21
	s_and_saveexec_b64 s[2:3], vcc
	s_cbranch_execnz .LBB99_44
.LBB99_25:                              ;   in Loop: Header=BB99_22 Depth=1
	s_or_b64 exec, exec, s[2:3]
	v_cmp_o_f16_e32 vcc, v21, v21
	s_and_saveexec_b64 s[2:3], vcc
	s_cbranch_execnz .LBB99_47
.LBB99_26:                              ;   in Loop: Header=BB99_22 Depth=1
	s_or_b64 exec, exec, s[2:3]
	v_cmp_o_f16_e32 vcc, v21, v21
	s_and_saveexec_b64 s[2:3], vcc
	s_cbranch_execnz .LBB99_50
.LBB99_27:                              ;   in Loop: Header=BB99_22 Depth=1
	s_or_b64 exec, exec, s[2:3]
	v_cmp_o_f16_e32 vcc, v21, v21
	s_and_saveexec_b64 s[2:3], vcc
	s_cbranch_execnz .LBB99_53
.LBB99_28:                              ;   in Loop: Header=BB99_22 Depth=1
	s_or_b64 exec, exec, s[2:3]
	v_cmp_o_f16_e32 vcc, v21, v21
	s_and_saveexec_b64 s[2:3], vcc
	s_cbranch_execnz .LBB99_56
.LBB99_29:                              ;   in Loop: Header=BB99_22 Depth=1
	s_or_b64 exec, exec, s[2:3]
	v_cmp_o_f16_e32 vcc, v21, v21
	s_and_saveexec_b64 s[2:3], vcc
	s_cbranch_execnz .LBB99_59
.LBB99_30:                              ;   in Loop: Header=BB99_22 Depth=1
	s_or_b64 exec, exec, s[2:3]
	v_cmp_o_f16_e32 vcc, v21, v21
	s_and_saveexec_b64 s[2:3], vcc
	s_cbranch_execnz .LBB99_62
.LBB99_31:                              ;   in Loop: Header=BB99_22 Depth=1
	s_or_b64 exec, exec, s[2:3]
	v_cmp_o_f16_e32 vcc, v21, v21
	s_and_saveexec_b64 s[2:3], vcc
	s_cbranch_execnz .LBB99_65
.LBB99_32:                              ;   in Loop: Header=BB99_22 Depth=1
	s_or_b64 exec, exec, s[2:3]
	v_cmp_o_f16_e32 vcc, v21, v21
	s_and_saveexec_b64 s[2:3], vcc
	s_cbranch_execnz .LBB99_68
.LBB99_33:                              ;   in Loop: Header=BB99_22 Depth=1
	s_or_b64 exec, exec, s[2:3]
	v_cmp_o_f16_e32 vcc, v21, v21
	s_and_saveexec_b64 s[2:3], vcc
	s_cbranch_execnz .LBB99_71
.LBB99_34:                              ;   in Loop: Header=BB99_22 Depth=1
	s_or_b64 exec, exec, s[2:3]
	v_cmp_o_f16_e32 vcc, v21, v21
	s_and_saveexec_b64 s[2:3], vcc
	s_cbranch_execnz .LBB99_74
.LBB99_35:                              ;   in Loop: Header=BB99_22 Depth=1
	s_or_b64 exec, exec, s[2:3]
	v_cmp_o_f16_e32 vcc, v21, v21
	s_and_saveexec_b64 s[2:3], vcc
	s_cbranch_execnz .LBB99_77
.LBB99_36:                              ;   in Loop: Header=BB99_22 Depth=1
	s_or_b64 exec, exec, s[2:3]
	v_cmp_o_f16_e32 vcc, v21, v21
	s_and_saveexec_b64 s[2:3], vcc
	s_cbranch_execnz .LBB99_80
.LBB99_37:                              ;   in Loop: Header=BB99_22 Depth=1
	s_or_b64 exec, exec, s[2:3]
	v_cmp_o_f16_e32 vcc, v21, v21
	s_and_saveexec_b64 s[2:3], vcc
	s_cbranch_execnz .LBB99_83
	s_branch .LBB99_86
.LBB99_38:                              ;   in Loop: Header=BB99_22 Depth=1
	s_waitcnt vmcnt(15)
	v_cmp_o_f16_e32 vcc, v17, v17
	v_mov_b32_e32 v21, v17
	s_and_saveexec_b64 s[4:5], vcc
; %bb.39:                               ;   in Loop: Header=BB99_22 Depth=1
	v_cmp_lt_f16_e32 vcc, v17, v9
	v_cndmask_b32_e32 v21, v9, v17, vcc
; %bb.40:                               ;   in Loop: Header=BB99_22 Depth=1
	s_or_b64 exec, exec, s[4:5]
	v_mov_b32_e32 v9, v21
	s_or_b64 exec, exec, s[2:3]
	v_cmp_o_f16_e32 vcc, v21, v21
	s_and_saveexec_b64 s[2:3], vcc
	s_cbranch_execz .LBB99_24
.LBB99_41:                              ;   in Loop: Header=BB99_22 Depth=1
	s_waitcnt vmcnt(14)
	v_cmp_o_f16_e32 vcc, v16, v16
	v_mov_b32_e32 v22, v16
	s_and_saveexec_b64 s[4:5], vcc
; %bb.42:                               ;   in Loop: Header=BB99_22 Depth=1
	v_cmp_gt_f16_e32 vcc, v21, v16
	v_cndmask_b32_e32 v22, v9, v16, vcc
; %bb.43:                               ;   in Loop: Header=BB99_22 Depth=1
	s_or_b64 exec, exec, s[4:5]
	v_mov_b32_e32 v21, v22
	v_mov_b32_e32 v9, v22
	s_or_b64 exec, exec, s[2:3]
	v_cmp_o_f16_e32 vcc, v21, v21
	s_and_saveexec_b64 s[2:3], vcc
	s_cbranch_execz .LBB99_25
.LBB99_44:                              ;   in Loop: Header=BB99_22 Depth=1
	s_waitcnt vmcnt(13)
	v_cmp_o_f16_e32 vcc, v15, v15
	v_mov_b32_e32 v22, v15
	s_and_saveexec_b64 s[4:5], vcc
; %bb.45:                               ;   in Loop: Header=BB99_22 Depth=1
	v_cmp_gt_f16_e32 vcc, v21, v15
	v_cndmask_b32_e32 v22, v9, v15, vcc
; %bb.46:                               ;   in Loop: Header=BB99_22 Depth=1
	s_or_b64 exec, exec, s[4:5]
	v_mov_b32_e32 v21, v22
	v_mov_b32_e32 v9, v22
	s_or_b64 exec, exec, s[2:3]
	v_cmp_o_f16_e32 vcc, v21, v21
	s_and_saveexec_b64 s[2:3], vcc
	s_cbranch_execz .LBB99_26
.LBB99_47:                              ;   in Loop: Header=BB99_22 Depth=1
	s_waitcnt vmcnt(12)
	v_cmp_o_f16_e32 vcc, v14, v14
	v_mov_b32_e32 v22, v14
	s_and_saveexec_b64 s[4:5], vcc
; %bb.48:                               ;   in Loop: Header=BB99_22 Depth=1
	v_cmp_gt_f16_e32 vcc, v21, v14
	v_cndmask_b32_e32 v22, v9, v14, vcc
; %bb.49:                               ;   in Loop: Header=BB99_22 Depth=1
	s_or_b64 exec, exec, s[4:5]
	v_mov_b32_e32 v21, v22
	v_mov_b32_e32 v9, v22
	s_or_b64 exec, exec, s[2:3]
	v_cmp_o_f16_e32 vcc, v21, v21
	s_and_saveexec_b64 s[2:3], vcc
	s_cbranch_execz .LBB99_27
.LBB99_50:                              ;   in Loop: Header=BB99_22 Depth=1
	s_waitcnt vmcnt(11)
	v_cmp_o_f16_e32 vcc, v13, v13
	v_mov_b32_e32 v22, v13
	s_and_saveexec_b64 s[4:5], vcc
; %bb.51:                               ;   in Loop: Header=BB99_22 Depth=1
	v_cmp_gt_f16_e32 vcc, v21, v13
	v_cndmask_b32_e32 v22, v9, v13, vcc
; %bb.52:                               ;   in Loop: Header=BB99_22 Depth=1
	s_or_b64 exec, exec, s[4:5]
	v_mov_b32_e32 v21, v22
	v_mov_b32_e32 v9, v22
	s_or_b64 exec, exec, s[2:3]
	v_cmp_o_f16_e32 vcc, v21, v21
	s_and_saveexec_b64 s[2:3], vcc
	s_cbranch_execz .LBB99_28
.LBB99_53:                              ;   in Loop: Header=BB99_22 Depth=1
	s_waitcnt vmcnt(10)
	v_cmp_o_f16_e32 vcc, v12, v12
	v_mov_b32_e32 v22, v12
	s_and_saveexec_b64 s[4:5], vcc
; %bb.54:                               ;   in Loop: Header=BB99_22 Depth=1
	v_cmp_gt_f16_e32 vcc, v21, v12
	v_cndmask_b32_e32 v22, v9, v12, vcc
; %bb.55:                               ;   in Loop: Header=BB99_22 Depth=1
	s_or_b64 exec, exec, s[4:5]
	v_mov_b32_e32 v21, v22
	v_mov_b32_e32 v9, v22
	s_or_b64 exec, exec, s[2:3]
	v_cmp_o_f16_e32 vcc, v21, v21
	s_and_saveexec_b64 s[2:3], vcc
	s_cbranch_execz .LBB99_29
.LBB99_56:                              ;   in Loop: Header=BB99_22 Depth=1
	s_waitcnt vmcnt(9)
	v_cmp_o_f16_e32 vcc, v11, v11
	v_mov_b32_e32 v22, v11
	s_and_saveexec_b64 s[4:5], vcc
; %bb.57:                               ;   in Loop: Header=BB99_22 Depth=1
	v_cmp_gt_f16_e32 vcc, v21, v11
	v_cndmask_b32_e32 v22, v9, v11, vcc
; %bb.58:                               ;   in Loop: Header=BB99_22 Depth=1
	s_or_b64 exec, exec, s[4:5]
	v_mov_b32_e32 v21, v22
	v_mov_b32_e32 v9, v22
	s_or_b64 exec, exec, s[2:3]
	v_cmp_o_f16_e32 vcc, v21, v21
	s_and_saveexec_b64 s[2:3], vcc
	s_cbranch_execz .LBB99_30
.LBB99_59:                              ;   in Loop: Header=BB99_22 Depth=1
	s_waitcnt vmcnt(8)
	v_cmp_o_f16_e32 vcc, v10, v10
	v_mov_b32_e32 v22, v10
	s_and_saveexec_b64 s[4:5], vcc
; %bb.60:                               ;   in Loop: Header=BB99_22 Depth=1
	v_cmp_gt_f16_e32 vcc, v21, v10
	v_cndmask_b32_e32 v22, v9, v10, vcc
; %bb.61:                               ;   in Loop: Header=BB99_22 Depth=1
	s_or_b64 exec, exec, s[4:5]
	v_mov_b32_e32 v21, v22
	v_mov_b32_e32 v9, v22
	s_or_b64 exec, exec, s[2:3]
	v_cmp_o_f16_e32 vcc, v21, v21
	s_and_saveexec_b64 s[2:3], vcc
	s_cbranch_execz .LBB99_31
.LBB99_62:                              ;   in Loop: Header=BB99_22 Depth=1
	s_waitcnt vmcnt(7)
	v_cmp_o_f16_e32 vcc, v8, v8
	v_mov_b32_e32 v22, v8
	s_and_saveexec_b64 s[4:5], vcc
; %bb.63:                               ;   in Loop: Header=BB99_22 Depth=1
	v_cmp_gt_f16_e32 vcc, v21, v8
	v_cndmask_b32_e32 v22, v9, v8, vcc
; %bb.64:                               ;   in Loop: Header=BB99_22 Depth=1
	s_or_b64 exec, exec, s[4:5]
	v_mov_b32_e32 v21, v22
	v_mov_b32_e32 v9, v22
	s_or_b64 exec, exec, s[2:3]
	v_cmp_o_f16_e32 vcc, v21, v21
	s_and_saveexec_b64 s[2:3], vcc
	s_cbranch_execz .LBB99_32
.LBB99_65:                              ;   in Loop: Header=BB99_22 Depth=1
	s_waitcnt vmcnt(6)
	v_cmp_o_f16_e32 vcc, v7, v7
	v_mov_b32_e32 v22, v7
	s_and_saveexec_b64 s[4:5], vcc
; %bb.66:                               ;   in Loop: Header=BB99_22 Depth=1
	v_cmp_gt_f16_e32 vcc, v21, v7
	v_cndmask_b32_e32 v22, v9, v7, vcc
; %bb.67:                               ;   in Loop: Header=BB99_22 Depth=1
	s_or_b64 exec, exec, s[4:5]
	v_mov_b32_e32 v21, v22
	v_mov_b32_e32 v9, v22
	s_or_b64 exec, exec, s[2:3]
	v_cmp_o_f16_e32 vcc, v21, v21
	s_and_saveexec_b64 s[2:3], vcc
	s_cbranch_execz .LBB99_33
.LBB99_68:                              ;   in Loop: Header=BB99_22 Depth=1
	s_waitcnt vmcnt(5)
	v_cmp_o_f16_e32 vcc, v6, v6
	v_mov_b32_e32 v22, v6
	s_and_saveexec_b64 s[4:5], vcc
; %bb.69:                               ;   in Loop: Header=BB99_22 Depth=1
	v_cmp_gt_f16_e32 vcc, v21, v6
	v_cndmask_b32_e32 v22, v9, v6, vcc
; %bb.70:                               ;   in Loop: Header=BB99_22 Depth=1
	s_or_b64 exec, exec, s[4:5]
	v_mov_b32_e32 v21, v22
	v_mov_b32_e32 v9, v22
	s_or_b64 exec, exec, s[2:3]
	v_cmp_o_f16_e32 vcc, v21, v21
	s_and_saveexec_b64 s[2:3], vcc
	s_cbranch_execz .LBB99_34
.LBB99_71:                              ;   in Loop: Header=BB99_22 Depth=1
	s_waitcnt vmcnt(4)
	v_cmp_o_f16_e32 vcc, v5, v5
	v_mov_b32_e32 v22, v5
	s_and_saveexec_b64 s[4:5], vcc
; %bb.72:                               ;   in Loop: Header=BB99_22 Depth=1
	v_cmp_gt_f16_e32 vcc, v21, v5
	v_cndmask_b32_e32 v22, v9, v5, vcc
; %bb.73:                               ;   in Loop: Header=BB99_22 Depth=1
	s_or_b64 exec, exec, s[4:5]
	v_mov_b32_e32 v21, v22
	v_mov_b32_e32 v9, v22
	s_or_b64 exec, exec, s[2:3]
	v_cmp_o_f16_e32 vcc, v21, v21
	s_and_saveexec_b64 s[2:3], vcc
	s_cbranch_execz .LBB99_35
.LBB99_74:                              ;   in Loop: Header=BB99_22 Depth=1
	s_waitcnt vmcnt(3)
	v_cmp_o_f16_e32 vcc, v4, v4
	v_mov_b32_e32 v22, v4
	s_and_saveexec_b64 s[4:5], vcc
; %bb.75:                               ;   in Loop: Header=BB99_22 Depth=1
	v_cmp_gt_f16_e32 vcc, v21, v4
	v_cndmask_b32_e32 v22, v9, v4, vcc
; %bb.76:                               ;   in Loop: Header=BB99_22 Depth=1
	s_or_b64 exec, exec, s[4:5]
	v_mov_b32_e32 v21, v22
	v_mov_b32_e32 v9, v22
	s_or_b64 exec, exec, s[2:3]
	v_cmp_o_f16_e32 vcc, v21, v21
	s_and_saveexec_b64 s[2:3], vcc
	s_cbranch_execz .LBB99_36
.LBB99_77:                              ;   in Loop: Header=BB99_22 Depth=1
	s_waitcnt vmcnt(2)
	v_cmp_o_f16_e32 vcc, v3, v3
	v_mov_b32_e32 v22, v3
	s_and_saveexec_b64 s[4:5], vcc
; %bb.78:                               ;   in Loop: Header=BB99_22 Depth=1
	v_cmp_gt_f16_e32 vcc, v21, v3
	v_cndmask_b32_e32 v22, v9, v3, vcc
; %bb.79:                               ;   in Loop: Header=BB99_22 Depth=1
	s_or_b64 exec, exec, s[4:5]
	v_mov_b32_e32 v21, v22
	v_mov_b32_e32 v9, v22
	s_or_b64 exec, exec, s[2:3]
	v_cmp_o_f16_e32 vcc, v21, v21
	s_and_saveexec_b64 s[2:3], vcc
	s_cbranch_execz .LBB99_37
.LBB99_80:                              ;   in Loop: Header=BB99_22 Depth=1
	s_waitcnt vmcnt(1)
	v_cmp_o_f16_e32 vcc, v2, v2
	v_mov_b32_e32 v22, v2
	s_and_saveexec_b64 s[4:5], vcc
; %bb.81:                               ;   in Loop: Header=BB99_22 Depth=1
	v_cmp_gt_f16_e32 vcc, v21, v2
	v_cndmask_b32_e32 v22, v9, v2, vcc
; %bb.82:                               ;   in Loop: Header=BB99_22 Depth=1
	s_or_b64 exec, exec, s[4:5]
	v_mov_b32_e32 v21, v22
	v_mov_b32_e32 v9, v22
	s_or_b64 exec, exec, s[2:3]
	v_cmp_o_f16_e32 vcc, v21, v21
	s_and_saveexec_b64 s[2:3], vcc
	s_cbranch_execz .LBB99_86
.LBB99_83:                              ;   in Loop: Header=BB99_22 Depth=1
	s_waitcnt vmcnt(0)
	v_cmp_o_f16_e32 vcc, v1, v1
	v_mov_b32_e32 v22, v1
	s_and_saveexec_b64 s[4:5], vcc
; %bb.84:                               ;   in Loop: Header=BB99_22 Depth=1
	v_cmp_gt_f16_e32 vcc, v21, v1
	v_cndmask_b32_e32 v22, v9, v1, vcc
; %bb.85:                               ;   in Loop: Header=BB99_22 Depth=1
	s_or_b64 exec, exec, s[4:5]
	v_mov_b32_e32 v9, v22
.LBB99_86:                              ;   in Loop: Header=BB99_22 Depth=1
	s_or_b64 exec, exec, s[2:3]
	s_add_i32 s2, s0, 0x1000
	s_addk_i32 s0, 0x2000
	s_cmp_lt_i32 s0, s50
	s_cbranch_scc0 .LBB99_135
; %bb.87:                               ;   in Loop: Header=BB99_22 Depth=1
	s_mov_b32 s0, s2
	s_branch .LBB99_22
.LBB99_88:
                                        ; implicit-def: $vgpr3
	s_cbranch_execnz .LBB99_300
	s_branch .LBB99_402
.LBB99_89:
	s_waitcnt vmcnt(14)
	v_cmp_o_f16_e32 vcc, v16, v16
	v_mov_b32_e32 v9, v16
	s_and_saveexec_b64 s[4:5], vcc
; %bb.90:
	v_cmp_lt_f16_e32 vcc, v16, v17
	v_cndmask_b32_e32 v9, v17, v16, vcc
; %bb.91:
	s_or_b64 exec, exec, s[4:5]
	s_or_b64 exec, exec, s[2:3]
	v_cmp_o_f16_e32 vcc, v9, v9
	s_and_saveexec_b64 s[2:3], vcc
	s_cbranch_execz .LBB99_7
.LBB99_92:
	s_waitcnt vmcnt(13)
	v_cmp_o_f16_e32 vcc, v15, v15
	v_mov_b32_e32 v19, v15
	s_and_saveexec_b64 s[4:5], vcc
; %bb.93:
	v_cmp_gt_f16_e32 vcc, v9, v15
	v_cndmask_b32_e32 v19, v9, v15, vcc
; %bb.94:
	s_or_b64 exec, exec, s[4:5]
	v_mov_b32_e32 v9, v19
	s_or_b64 exec, exec, s[2:3]
	v_cmp_o_f16_e32 vcc, v9, v9
	s_and_saveexec_b64 s[2:3], vcc
	s_cbranch_execz .LBB99_8
.LBB99_95:
	s_waitcnt vmcnt(12)
	v_cmp_o_f16_e32 vcc, v14, v14
	v_mov_b32_e32 v19, v14
	s_and_saveexec_b64 s[4:5], vcc
; %bb.96:
	v_cmp_gt_f16_e32 vcc, v9, v14
	v_cndmask_b32_e32 v19, v9, v14, vcc
; %bb.97:
	s_or_b64 exec, exec, s[4:5]
	v_mov_b32_e32 v9, v19
	s_or_b64 exec, exec, s[2:3]
	v_cmp_o_f16_e32 vcc, v9, v9
	s_and_saveexec_b64 s[2:3], vcc
	s_cbranch_execz .LBB99_9
.LBB99_98:
	s_waitcnt vmcnt(11)
	v_cmp_o_f16_e32 vcc, v13, v13
	v_mov_b32_e32 v19, v13
	s_and_saveexec_b64 s[4:5], vcc
; %bb.99:
	v_cmp_gt_f16_e32 vcc, v9, v13
	v_cndmask_b32_e32 v19, v9, v13, vcc
; %bb.100:
	s_or_b64 exec, exec, s[4:5]
	v_mov_b32_e32 v9, v19
	s_or_b64 exec, exec, s[2:3]
	v_cmp_o_f16_e32 vcc, v9, v9
	s_and_saveexec_b64 s[2:3], vcc
	s_cbranch_execz .LBB99_10
.LBB99_101:
	s_waitcnt vmcnt(10)
	v_cmp_o_f16_e32 vcc, v12, v12
	v_mov_b32_e32 v19, v12
	s_and_saveexec_b64 s[4:5], vcc
; %bb.102:
	v_cmp_gt_f16_e32 vcc, v9, v12
	v_cndmask_b32_e32 v19, v9, v12, vcc
; %bb.103:
	s_or_b64 exec, exec, s[4:5]
	v_mov_b32_e32 v9, v19
	s_or_b64 exec, exec, s[2:3]
	v_cmp_o_f16_e32 vcc, v9, v9
	s_and_saveexec_b64 s[2:3], vcc
	s_cbranch_execz .LBB99_11
.LBB99_104:
	s_waitcnt vmcnt(9)
	v_cmp_o_f16_e32 vcc, v11, v11
	v_mov_b32_e32 v19, v11
	s_and_saveexec_b64 s[4:5], vcc
; %bb.105:
	v_cmp_gt_f16_e32 vcc, v9, v11
	v_cndmask_b32_e32 v19, v9, v11, vcc
; %bb.106:
	s_or_b64 exec, exec, s[4:5]
	v_mov_b32_e32 v9, v19
	s_or_b64 exec, exec, s[2:3]
	v_cmp_o_f16_e32 vcc, v9, v9
	s_and_saveexec_b64 s[2:3], vcc
	s_cbranch_execz .LBB99_12
.LBB99_107:
	s_waitcnt vmcnt(8)
	v_cmp_o_f16_e32 vcc, v10, v10
	v_mov_b32_e32 v19, v10
	s_and_saveexec_b64 s[4:5], vcc
; %bb.108:
	v_cmp_gt_f16_e32 vcc, v9, v10
	v_cndmask_b32_e32 v19, v9, v10, vcc
; %bb.109:
	s_or_b64 exec, exec, s[4:5]
	v_mov_b32_e32 v9, v19
	s_or_b64 exec, exec, s[2:3]
	v_cmp_o_f16_e32 vcc, v9, v9
	s_and_saveexec_b64 s[2:3], vcc
	s_cbranch_execz .LBB99_13
.LBB99_110:
	s_waitcnt vmcnt(7)
	v_cmp_o_f16_e32 vcc, v8, v8
	v_mov_b32_e32 v19, v8
	s_and_saveexec_b64 s[4:5], vcc
; %bb.111:
	v_cmp_gt_f16_e32 vcc, v9, v8
	v_cndmask_b32_e32 v19, v9, v8, vcc
; %bb.112:
	s_or_b64 exec, exec, s[4:5]
	v_mov_b32_e32 v9, v19
	s_or_b64 exec, exec, s[2:3]
	v_cmp_o_f16_e32 vcc, v9, v9
	s_and_saveexec_b64 s[2:3], vcc
	s_cbranch_execz .LBB99_14
.LBB99_113:
	s_waitcnt vmcnt(6)
	v_cmp_o_f16_e32 vcc, v7, v7
	v_mov_b32_e32 v19, v7
	s_and_saveexec_b64 s[4:5], vcc
; %bb.114:
	v_cmp_gt_f16_e32 vcc, v9, v7
	v_cndmask_b32_e32 v19, v9, v7, vcc
; %bb.115:
	s_or_b64 exec, exec, s[4:5]
	v_mov_b32_e32 v9, v19
	s_or_b64 exec, exec, s[2:3]
	v_cmp_o_f16_e32 vcc, v9, v9
	s_and_saveexec_b64 s[2:3], vcc
	s_cbranch_execz .LBB99_15
.LBB99_116:
	s_waitcnt vmcnt(5)
	v_cmp_o_f16_e32 vcc, v6, v6
	v_mov_b32_e32 v19, v6
	s_and_saveexec_b64 s[4:5], vcc
; %bb.117:
	v_cmp_gt_f16_e32 vcc, v9, v6
	v_cndmask_b32_e32 v19, v9, v6, vcc
; %bb.118:
	s_or_b64 exec, exec, s[4:5]
	v_mov_b32_e32 v9, v19
	s_or_b64 exec, exec, s[2:3]
	v_cmp_o_f16_e32 vcc, v9, v9
	s_and_saveexec_b64 s[2:3], vcc
	s_cbranch_execz .LBB99_16
.LBB99_119:
	s_waitcnt vmcnt(4)
	v_cmp_o_f16_e32 vcc, v5, v5
	v_mov_b32_e32 v19, v5
	s_and_saveexec_b64 s[4:5], vcc
; %bb.120:
	v_cmp_gt_f16_e32 vcc, v9, v5
	v_cndmask_b32_e32 v19, v9, v5, vcc
; %bb.121:
	s_or_b64 exec, exec, s[4:5]
	v_mov_b32_e32 v9, v19
	s_or_b64 exec, exec, s[2:3]
	v_cmp_o_f16_e32 vcc, v9, v9
	s_and_saveexec_b64 s[2:3], vcc
	s_cbranch_execz .LBB99_17
.LBB99_122:
	s_waitcnt vmcnt(3)
	v_cmp_o_f16_e32 vcc, v4, v4
	v_mov_b32_e32 v19, v4
	s_and_saveexec_b64 s[4:5], vcc
; %bb.123:
	v_cmp_gt_f16_e32 vcc, v9, v4
	v_cndmask_b32_e32 v19, v9, v4, vcc
; %bb.124:
	s_or_b64 exec, exec, s[4:5]
	v_mov_b32_e32 v9, v19
	s_or_b64 exec, exec, s[2:3]
	v_cmp_o_f16_e32 vcc, v9, v9
	s_and_saveexec_b64 s[2:3], vcc
	s_cbranch_execz .LBB99_18
.LBB99_125:
	s_waitcnt vmcnt(2)
	v_cmp_o_f16_e32 vcc, v3, v3
	v_mov_b32_e32 v19, v3
	s_and_saveexec_b64 s[4:5], vcc
; %bb.126:
	v_cmp_gt_f16_e32 vcc, v9, v3
	v_cndmask_b32_e32 v19, v9, v3, vcc
; %bb.127:
	s_or_b64 exec, exec, s[4:5]
	v_mov_b32_e32 v9, v19
	s_or_b64 exec, exec, s[2:3]
	v_cmp_o_f16_e32 vcc, v9, v9
	s_and_saveexec_b64 s[2:3], vcc
	s_cbranch_execz .LBB99_19
.LBB99_128:
	s_waitcnt vmcnt(1)
	v_cmp_o_f16_e32 vcc, v2, v2
	v_mov_b32_e32 v19, v2
	s_and_saveexec_b64 s[4:5], vcc
; %bb.129:
	v_cmp_gt_f16_e32 vcc, v9, v2
	v_cndmask_b32_e32 v19, v9, v2, vcc
; %bb.130:
	s_or_b64 exec, exec, s[4:5]
	v_mov_b32_e32 v9, v19
	s_or_b64 exec, exec, s[2:3]
	v_cmp_o_f16_e32 vcc, v9, v9
	s_and_saveexec_b64 s[2:3], vcc
	s_cbranch_execz .LBB99_20
.LBB99_131:
	s_waitcnt vmcnt(0)
	v_cmp_o_f16_e32 vcc, v1, v1
	v_mov_b32_e32 v19, v1
	s_and_saveexec_b64 s[4:5], vcc
; %bb.132:
	v_cmp_gt_f16_e32 vcc, v9, v1
	v_cndmask_b32_e32 v19, v9, v1, vcc
; %bb.133:
	s_or_b64 exec, exec, s[4:5]
	v_mov_b32_e32 v9, v19
	s_or_b64 exec, exec, s[2:3]
	s_add_i32 s1, s42, 0x2000
	s_cmp_ge_i32 s1, s50
	s_cbranch_scc0 .LBB99_21
.LBB99_134:
	s_mov_b32 s2, s0
.LBB99_135:
	s_ashr_i32 s3, s2, 31
	s_sub_i32 s43, s50, s2
	s_lshl_b64 s[0:1], s[2:3], 1
	s_add_u32 s44, s36, s0
	s_addc_u32 s45, s37, s1
	v_cmp_gt_u32_e64 s[30:31], s43, v0
	s_and_saveexec_b64 s[0:1], s[30:31]
	s_cbranch_execz .LBB99_137
; %bb.136:
	global_load_ushort v17, v18, s[44:45]
.LBB99_137:
	s_or_b64 exec, exec, s[0:1]
	v_or_b32_e32 v19, 0x100, v0
	v_cmp_gt_u32_e64 s[28:29], s43, v19
	s_and_saveexec_b64 s[0:1], s[28:29]
	s_cbranch_execz .LBB99_139
; %bb.138:
	global_load_ushort v16, v18, s[44:45] offset:512
.LBB99_139:
	s_or_b64 exec, exec, s[0:1]
	v_or_b32_e32 v19, 0x200, v0
	v_cmp_gt_u32_e64 s[26:27], s43, v19
	s_and_saveexec_b64 s[0:1], s[26:27]
	s_cbranch_execz .LBB99_141
; %bb.140:
	global_load_ushort v15, v18, s[44:45] offset:1024
.LBB99_141:
	;; [unrolled: 8-line block ×7, first 2 shown]
	s_or_b64 exec, exec, s[0:1]
	v_or_b32_e32 v18, 0x800, v0
	v_cmp_gt_u32_e64 s[14:15], s43, v18
	s_and_saveexec_b64 s[0:1], s[14:15]
	s_cbranch_execz .LBB99_153
; %bb.152:
	s_waitcnt vmcnt(7)
	v_lshlrev_b32_e32 v8, 1, v18
	global_load_ushort v8, v8, s[44:45]
.LBB99_153:
	s_or_b64 exec, exec, s[0:1]
	v_or_b32_e32 v18, 0x900, v0
	v_cmp_gt_u32_e64 s[12:13], s43, v18
	s_and_saveexec_b64 s[0:1], s[12:13]
	s_cbranch_execz .LBB99_155
; %bb.154:
	s_waitcnt vmcnt(6)
	v_lshlrev_b32_e32 v7, 1, v18
	global_load_ushort v7, v7, s[44:45]
.LBB99_155:
	;; [unrolled: 10-line block ×7, first 2 shown]
	s_or_b64 exec, exec, s[46:47]
	v_or_b32_e32 v18, 0xf00, v0
	v_cmp_gt_u32_e32 vcc, s43, v18
	s_and_saveexec_b64 s[46:47], vcc
	s_cbranch_execnz .LBB99_182
; %bb.166:
	s_or_b64 exec, exec, s[46:47]
	s_and_saveexec_b64 s[44:45], s[30:31]
	s_cbranch_execnz .LBB99_183
.LBB99_167:
	s_or_b64 exec, exec, s[44:45]
	s_and_saveexec_b64 s[30:31], s[28:29]
	s_cbranch_execnz .LBB99_188
.LBB99_168:
	s_or_b64 exec, exec, s[30:31]
	s_and_saveexec_b64 s[28:29], s[26:27]
	s_cbranch_execnz .LBB99_193
.LBB99_169:
	s_or_b64 exec, exec, s[28:29]
	s_and_saveexec_b64 s[26:27], s[24:25]
	s_cbranch_execnz .LBB99_198
.LBB99_170:
	s_or_b64 exec, exec, s[26:27]
	s_and_saveexec_b64 s[24:25], s[22:23]
	s_cbranch_execnz .LBB99_203
.LBB99_171:
	s_or_b64 exec, exec, s[24:25]
	s_and_saveexec_b64 s[22:23], s[20:21]
	s_cbranch_execnz .LBB99_208
.LBB99_172:
	s_or_b64 exec, exec, s[22:23]
	s_and_saveexec_b64 s[20:21], s[18:19]
	s_cbranch_execnz .LBB99_213
.LBB99_173:
	s_or_b64 exec, exec, s[20:21]
	s_and_saveexec_b64 s[18:19], s[16:17]
	s_cbranch_execnz .LBB99_218
.LBB99_174:
	s_or_b64 exec, exec, s[18:19]
	s_and_saveexec_b64 s[16:17], s[14:15]
	s_cbranch_execnz .LBB99_223
.LBB99_175:
	s_or_b64 exec, exec, s[16:17]
	s_and_saveexec_b64 s[14:15], s[12:13]
	s_cbranch_execnz .LBB99_228
.LBB99_176:
	s_or_b64 exec, exec, s[14:15]
	s_and_saveexec_b64 s[12:13], s[10:11]
	s_cbranch_execnz .LBB99_233
.LBB99_177:
	s_or_b64 exec, exec, s[12:13]
	s_and_saveexec_b64 s[10:11], s[8:9]
	s_cbranch_execnz .LBB99_238
.LBB99_178:
	s_or_b64 exec, exec, s[10:11]
	s_and_saveexec_b64 s[8:9], s[4:5]
	s_cbranch_execnz .LBB99_243
.LBB99_179:
	s_or_b64 exec, exec, s[8:9]
	s_and_saveexec_b64 s[4:5], s[2:3]
	s_cbranch_execnz .LBB99_248
.LBB99_180:
	s_or_b64 exec, exec, s[4:5]
	s_and_saveexec_b64 s[2:3], s[0:1]
	s_cbranch_execnz .LBB99_253
.LBB99_181:
	s_or_b64 exec, exec, s[2:3]
	s_and_saveexec_b64 s[0:1], vcc
	s_cbranch_execnz .LBB99_258
	s_branch .LBB99_263
.LBB99_182:
	s_waitcnt vmcnt(0)
	v_lshlrev_b32_e32 v1, 1, v18
	global_load_ushort v1, v1, s[44:45]
	s_or_b64 exec, exec, s[46:47]
	s_and_saveexec_b64 s[44:45], s[30:31]
	s_cbranch_execz .LBB99_167
.LBB99_183:
	v_cmp_o_f16_e64 s[30:31], v9, v9
	s_and_saveexec_b64 s[46:47], s[30:31]
	s_cbranch_execz .LBB99_187
; %bb.184:
	s_waitcnt vmcnt(0)
	v_cmp_o_f16_e64 s[30:31], v17, v17
	s_and_saveexec_b64 s[48:49], s[30:31]
; %bb.185:
	v_cmp_lt_f16_e64 s[30:31], v17, v9
	v_cndmask_b32_e64 v17, v9, v17, s[30:31]
; %bb.186:
	s_or_b64 exec, exec, s[48:49]
	v_mov_b32_e32 v9, v17
.LBB99_187:
	s_or_b64 exec, exec, s[46:47]
	s_or_b64 exec, exec, s[44:45]
	s_and_saveexec_b64 s[30:31], s[28:29]
	s_cbranch_execz .LBB99_168
.LBB99_188:
	v_cmp_o_f16_e64 s[28:29], v9, v9
	s_and_saveexec_b64 s[44:45], s[28:29]
	s_cbranch_execz .LBB99_192
; %bb.189:
	s_waitcnt vmcnt(0)
	v_cmp_o_f16_e64 s[28:29], v16, v16
	s_and_saveexec_b64 s[46:47], s[28:29]
; %bb.190:
	v_cmp_lt_f16_e64 s[28:29], v16, v9
	v_cndmask_b32_e64 v16, v9, v16, s[28:29]
; %bb.191:
	s_or_b64 exec, exec, s[46:47]
	v_mov_b32_e32 v9, v16
.LBB99_192:
	s_or_b64 exec, exec, s[44:45]
	s_or_b64 exec, exec, s[30:31]
	s_and_saveexec_b64 s[28:29], s[26:27]
	s_cbranch_execz .LBB99_169
.LBB99_193:
	v_cmp_o_f16_e64 s[26:27], v9, v9
	s_and_saveexec_b64 s[30:31], s[26:27]
	s_cbranch_execz .LBB99_197
; %bb.194:
	s_waitcnt vmcnt(0)
	v_cmp_o_f16_e64 s[26:27], v15, v15
	s_and_saveexec_b64 s[44:45], s[26:27]
; %bb.195:
	v_cmp_lt_f16_e64 s[26:27], v15, v9
	v_cndmask_b32_e64 v15, v9, v15, s[26:27]
; %bb.196:
	s_or_b64 exec, exec, s[44:45]
	v_mov_b32_e32 v9, v15
.LBB99_197:
	s_or_b64 exec, exec, s[30:31]
	s_or_b64 exec, exec, s[28:29]
	s_and_saveexec_b64 s[26:27], s[24:25]
	s_cbranch_execz .LBB99_170
.LBB99_198:
	v_cmp_o_f16_e64 s[24:25], v9, v9
	s_and_saveexec_b64 s[28:29], s[24:25]
	s_cbranch_execz .LBB99_202
; %bb.199:
	s_waitcnt vmcnt(0)
	v_cmp_o_f16_e64 s[24:25], v14, v14
	s_and_saveexec_b64 s[30:31], s[24:25]
; %bb.200:
	v_cmp_lt_f16_e64 s[24:25], v14, v9
	v_cndmask_b32_e64 v14, v9, v14, s[24:25]
; %bb.201:
	s_or_b64 exec, exec, s[30:31]
	v_mov_b32_e32 v9, v14
.LBB99_202:
	s_or_b64 exec, exec, s[28:29]
	s_or_b64 exec, exec, s[26:27]
	s_and_saveexec_b64 s[24:25], s[22:23]
	s_cbranch_execz .LBB99_171
.LBB99_203:
	v_cmp_o_f16_e64 s[22:23], v9, v9
	s_and_saveexec_b64 s[26:27], s[22:23]
	s_cbranch_execz .LBB99_207
; %bb.204:
	s_waitcnt vmcnt(0)
	v_cmp_o_f16_e64 s[22:23], v13, v13
	s_and_saveexec_b64 s[28:29], s[22:23]
; %bb.205:
	v_cmp_lt_f16_e64 s[22:23], v13, v9
	v_cndmask_b32_e64 v13, v9, v13, s[22:23]
; %bb.206:
	s_or_b64 exec, exec, s[28:29]
	v_mov_b32_e32 v9, v13
.LBB99_207:
	s_or_b64 exec, exec, s[26:27]
	s_or_b64 exec, exec, s[24:25]
	s_and_saveexec_b64 s[22:23], s[20:21]
	s_cbranch_execz .LBB99_172
.LBB99_208:
	v_cmp_o_f16_e64 s[20:21], v9, v9
	s_and_saveexec_b64 s[24:25], s[20:21]
	s_cbranch_execz .LBB99_212
; %bb.209:
	s_waitcnt vmcnt(0)
	v_cmp_o_f16_e64 s[20:21], v12, v12
	s_and_saveexec_b64 s[26:27], s[20:21]
; %bb.210:
	v_cmp_lt_f16_e64 s[20:21], v12, v9
	v_cndmask_b32_e64 v12, v9, v12, s[20:21]
; %bb.211:
	s_or_b64 exec, exec, s[26:27]
	v_mov_b32_e32 v9, v12
.LBB99_212:
	s_or_b64 exec, exec, s[24:25]
	s_or_b64 exec, exec, s[22:23]
	s_and_saveexec_b64 s[20:21], s[18:19]
	s_cbranch_execz .LBB99_173
.LBB99_213:
	v_cmp_o_f16_e64 s[18:19], v9, v9
	s_and_saveexec_b64 s[22:23], s[18:19]
	s_cbranch_execz .LBB99_217
; %bb.214:
	s_waitcnt vmcnt(0)
	v_cmp_o_f16_e64 s[18:19], v11, v11
	s_and_saveexec_b64 s[24:25], s[18:19]
; %bb.215:
	v_cmp_lt_f16_e64 s[18:19], v11, v9
	v_cndmask_b32_e64 v11, v9, v11, s[18:19]
; %bb.216:
	s_or_b64 exec, exec, s[24:25]
	v_mov_b32_e32 v9, v11
.LBB99_217:
	s_or_b64 exec, exec, s[22:23]
	s_or_b64 exec, exec, s[20:21]
	s_and_saveexec_b64 s[18:19], s[16:17]
	s_cbranch_execz .LBB99_174
.LBB99_218:
	v_cmp_o_f16_e64 s[16:17], v9, v9
	s_and_saveexec_b64 s[20:21], s[16:17]
	s_cbranch_execz .LBB99_222
; %bb.219:
	s_waitcnt vmcnt(0)
	v_cmp_o_f16_e64 s[16:17], v10, v10
	s_and_saveexec_b64 s[22:23], s[16:17]
; %bb.220:
	v_cmp_lt_f16_e64 s[16:17], v10, v9
	v_cndmask_b32_e64 v10, v9, v10, s[16:17]
; %bb.221:
	s_or_b64 exec, exec, s[22:23]
	v_mov_b32_e32 v9, v10
.LBB99_222:
	s_or_b64 exec, exec, s[20:21]
	s_or_b64 exec, exec, s[18:19]
	s_and_saveexec_b64 s[16:17], s[14:15]
	s_cbranch_execz .LBB99_175
.LBB99_223:
	v_cmp_o_f16_e64 s[14:15], v9, v9
	s_and_saveexec_b64 s[18:19], s[14:15]
	s_cbranch_execz .LBB99_227
; %bb.224:
	s_waitcnt vmcnt(0)
	v_cmp_o_f16_e64 s[14:15], v8, v8
	s_and_saveexec_b64 s[20:21], s[14:15]
; %bb.225:
	v_cmp_lt_f16_e64 s[14:15], v8, v9
	v_cndmask_b32_e64 v8, v9, v8, s[14:15]
; %bb.226:
	s_or_b64 exec, exec, s[20:21]
	v_mov_b32_e32 v9, v8
.LBB99_227:
	s_or_b64 exec, exec, s[18:19]
	s_or_b64 exec, exec, s[16:17]
	s_and_saveexec_b64 s[14:15], s[12:13]
	s_cbranch_execz .LBB99_176
.LBB99_228:
	v_cmp_o_f16_e64 s[12:13], v9, v9
	s_and_saveexec_b64 s[16:17], s[12:13]
	s_cbranch_execz .LBB99_232
; %bb.229:
	s_waitcnt vmcnt(0)
	v_cmp_o_f16_e64 s[12:13], v7, v7
	s_and_saveexec_b64 s[18:19], s[12:13]
; %bb.230:
	v_cmp_lt_f16_e64 s[12:13], v7, v9
	v_cndmask_b32_e64 v7, v9, v7, s[12:13]
; %bb.231:
	s_or_b64 exec, exec, s[18:19]
	v_mov_b32_e32 v9, v7
.LBB99_232:
	s_or_b64 exec, exec, s[16:17]
	s_or_b64 exec, exec, s[14:15]
	s_and_saveexec_b64 s[12:13], s[10:11]
	s_cbranch_execz .LBB99_177
.LBB99_233:
	v_cmp_o_f16_e64 s[10:11], v9, v9
	s_and_saveexec_b64 s[14:15], s[10:11]
	s_cbranch_execz .LBB99_237
; %bb.234:
	s_waitcnt vmcnt(0)
	v_cmp_o_f16_e64 s[10:11], v6, v6
	s_and_saveexec_b64 s[16:17], s[10:11]
; %bb.235:
	v_cmp_lt_f16_e64 s[10:11], v6, v9
	v_cndmask_b32_e64 v6, v9, v6, s[10:11]
; %bb.236:
	s_or_b64 exec, exec, s[16:17]
	v_mov_b32_e32 v9, v6
.LBB99_237:
	s_or_b64 exec, exec, s[14:15]
	s_or_b64 exec, exec, s[12:13]
	s_and_saveexec_b64 s[10:11], s[8:9]
	s_cbranch_execz .LBB99_178
.LBB99_238:
	v_cmp_o_f16_e64 s[8:9], v9, v9
	s_and_saveexec_b64 s[12:13], s[8:9]
	s_cbranch_execz .LBB99_242
; %bb.239:
	s_waitcnt vmcnt(0)
	v_cmp_o_f16_e64 s[8:9], v5, v5
	s_and_saveexec_b64 s[14:15], s[8:9]
; %bb.240:
	v_cmp_lt_f16_e64 s[8:9], v5, v9
	v_cndmask_b32_e64 v5, v9, v5, s[8:9]
; %bb.241:
	s_or_b64 exec, exec, s[14:15]
	v_mov_b32_e32 v9, v5
.LBB99_242:
	s_or_b64 exec, exec, s[12:13]
	s_or_b64 exec, exec, s[10:11]
	s_and_saveexec_b64 s[8:9], s[4:5]
	s_cbranch_execz .LBB99_179
.LBB99_243:
	v_cmp_o_f16_e64 s[4:5], v9, v9
	s_and_saveexec_b64 s[10:11], s[4:5]
	s_cbranch_execz .LBB99_247
; %bb.244:
	s_waitcnt vmcnt(0)
	v_cmp_o_f16_e64 s[4:5], v4, v4
	s_and_saveexec_b64 s[12:13], s[4:5]
; %bb.245:
	v_cmp_lt_f16_e64 s[4:5], v4, v9
	v_cndmask_b32_e64 v4, v9, v4, s[4:5]
; %bb.246:
	s_or_b64 exec, exec, s[12:13]
	v_mov_b32_e32 v9, v4
.LBB99_247:
	s_or_b64 exec, exec, s[10:11]
	s_or_b64 exec, exec, s[8:9]
	s_and_saveexec_b64 s[4:5], s[2:3]
	s_cbranch_execz .LBB99_180
.LBB99_248:
	v_cmp_o_f16_e64 s[2:3], v9, v9
	s_and_saveexec_b64 s[8:9], s[2:3]
	s_cbranch_execz .LBB99_252
; %bb.249:
	s_waitcnt vmcnt(0)
	v_cmp_o_f16_e64 s[2:3], v3, v3
	s_and_saveexec_b64 s[10:11], s[2:3]
; %bb.250:
	v_cmp_lt_f16_e64 s[2:3], v3, v9
	v_cndmask_b32_e64 v3, v9, v3, s[2:3]
; %bb.251:
	s_or_b64 exec, exec, s[10:11]
	v_mov_b32_e32 v9, v3
.LBB99_252:
	s_or_b64 exec, exec, s[8:9]
	s_or_b64 exec, exec, s[4:5]
	s_and_saveexec_b64 s[2:3], s[0:1]
	s_cbranch_execz .LBB99_181
.LBB99_253:
	v_cmp_o_f16_e64 s[0:1], v9, v9
	s_and_saveexec_b64 s[4:5], s[0:1]
	s_cbranch_execz .LBB99_257
; %bb.254:
	s_waitcnt vmcnt(0)
	v_cmp_o_f16_e64 s[0:1], v2, v2
	s_and_saveexec_b64 s[8:9], s[0:1]
; %bb.255:
	v_cmp_lt_f16_e64 s[0:1], v2, v9
	v_cndmask_b32_e64 v2, v9, v2, s[0:1]
; %bb.256:
	s_or_b64 exec, exec, s[8:9]
	v_mov_b32_e32 v9, v2
.LBB99_257:
	s_or_b64 exec, exec, s[4:5]
	s_or_b64 exec, exec, s[2:3]
	s_and_saveexec_b64 s[0:1], vcc
	s_cbranch_execz .LBB99_263
.LBB99_258:
	v_cmp_o_f16_e32 vcc, v9, v9
	s_and_saveexec_b64 s[2:3], vcc
	s_cbranch_execz .LBB99_262
; %bb.259:
	s_waitcnt vmcnt(0)
	v_cmp_o_f16_e32 vcc, v1, v1
	s_and_saveexec_b64 s[4:5], vcc
; %bb.260:
	v_cmp_lt_f16_e32 vcc, v1, v9
	v_cndmask_b32_e32 v1, v9, v1, vcc
; %bb.261:
	s_or_b64 exec, exec, s[4:5]
	v_mov_b32_e32 v9, v1
.LBB99_262:
	s_or_b64 exec, exec, s[2:3]
.LBB99_263:
	s_or_b64 exec, exec, s[0:1]
	s_waitcnt vmcnt(0)
	v_and_b32_e32 v1, 0xffff, v9
	s_nop 1
	v_mov_b32_dpp v1, v1 quad_perm:[1,0,3,2] row_mask:0xf bank_mask:0xf bound_ctrl:1
	v_cmp_o_f16_e32 vcc, v1, v1
	s_and_saveexec_b64 s[0:1], vcc
	s_xor_b64 s[0:1], exec, s[0:1]
	s_cbranch_execz .LBB99_267
; %bb.264:
	v_cmp_o_f16_e32 vcc, v9, v9
	s_and_saveexec_b64 s[2:3], vcc
; %bb.265:
	v_cmp_lt_f16_e32 vcc, v9, v1
	v_cndmask_b32_e32 v9, v1, v9, vcc
; %bb.266:
	s_or_b64 exec, exec, s[2:3]
	v_mov_b32_e32 v1, v9
.LBB99_267:
	s_or_b64 exec, exec, s[0:1]
	v_and_b32_e32 v2, 0xffff, v1
	s_nop 1
	v_mov_b32_dpp v2, v2 quad_perm:[2,3,0,1] row_mask:0xf bank_mask:0xf bound_ctrl:1
	v_cmp_o_f16_e32 vcc, v2, v2
	s_and_saveexec_b64 s[0:1], vcc
	s_cbranch_execz .LBB99_271
; %bb.268:
	v_cmp_o_f16_e32 vcc, v1, v1
	s_and_saveexec_b64 s[2:3], vcc
; %bb.269:
	v_cmp_lt_f16_e32 vcc, v1, v2
	v_cndmask_b32_e32 v1, v2, v1, vcc
; %bb.270:
	s_or_b64 exec, exec, s[2:3]
	v_mov_b32_e32 v2, v1
.LBB99_271:
	s_or_b64 exec, exec, s[0:1]
	v_and_b32_e32 v1, 0xffff, v2
	s_nop 1
	v_mov_b32_dpp v1, v1 row_ror:4 row_mask:0xf bank_mask:0xf bound_ctrl:1
	v_cmp_o_f16_e32 vcc, v1, v1
	s_and_saveexec_b64 s[0:1], vcc
	s_cbranch_execz .LBB99_275
; %bb.272:
	v_cmp_o_f16_e32 vcc, v2, v2
	s_and_saveexec_b64 s[2:3], vcc
; %bb.273:
	v_cmp_lt_f16_e32 vcc, v2, v1
	v_cndmask_b32_e32 v2, v1, v2, vcc
; %bb.274:
	s_or_b64 exec, exec, s[2:3]
	v_mov_b32_e32 v1, v2
.LBB99_275:
	s_or_b64 exec, exec, s[0:1]
	v_and_b32_e32 v2, 0xffff, v1
	s_nop 1
	v_mov_b32_dpp v2, v2 row_ror:8 row_mask:0xf bank_mask:0xf bound_ctrl:1
	v_cmp_o_f16_e32 vcc, v2, v2
	s_and_saveexec_b64 s[0:1], vcc
	s_cbranch_execz .LBB99_279
; %bb.276:
	v_cmp_o_f16_e32 vcc, v1, v1
	s_and_saveexec_b64 s[2:3], vcc
; %bb.277:
	v_cmp_lt_f16_e32 vcc, v1, v2
	v_cndmask_b32_e32 v1, v2, v1, vcc
; %bb.278:
	s_or_b64 exec, exec, s[2:3]
	v_mov_b32_e32 v2, v1
.LBB99_279:
	s_or_b64 exec, exec, s[0:1]
	v_and_b32_e32 v1, 0xffff, v2
	s_nop 1
	v_mov_b32_dpp v1, v1 row_bcast:15 row_mask:0xf bank_mask:0xf bound_ctrl:1
	v_cmp_o_f16_e32 vcc, v1, v1
	s_and_saveexec_b64 s[0:1], vcc
	s_cbranch_execz .LBB99_283
; %bb.280:
	v_cmp_o_f16_e32 vcc, v2, v2
	s_and_saveexec_b64 s[2:3], vcc
; %bb.281:
	v_cmp_lt_f16_e32 vcc, v2, v1
	v_cndmask_b32_e32 v2, v1, v2, vcc
; %bb.282:
	s_or_b64 exec, exec, s[2:3]
	v_mov_b32_e32 v1, v2
.LBB99_283:
	s_or_b64 exec, exec, s[0:1]
	v_and_b32_e32 v2, 0xffff, v1
	s_nop 1
	v_mov_b32_dpp v3, v2 row_bcast:31 row_mask:0xf bank_mask:0xf bound_ctrl:1
	v_cmp_o_f16_e32 vcc, v3, v3
	s_and_saveexec_b64 s[0:1], vcc
	s_cbranch_execz .LBB99_287
; %bb.284:
	v_cmp_o_f16_e32 vcc, v1, v1
	s_and_saveexec_b64 s[2:3], vcc
; %bb.285:
	v_cmp_lt_f16_e32 vcc, v1, v3
	v_cndmask_b32_e32 v1, v3, v1, vcc
; %bb.286:
	s_or_b64 exec, exec, s[2:3]
	v_mov_b32_e32 v3, v1
.LBB99_287:
	s_or_b64 exec, exec, s[0:1]
	v_mbcnt_lo_u32_b32 v1, -1, 0
	v_mbcnt_hi_u32_b32 v2, -1, v1
	v_lshlrev_b32_e32 v1, 2, v2
	v_or_b32_e32 v4, 0xfc, v1
	v_and_b32_e32 v3, 0xffff, v3
	ds_bpermute_b32 v3, v4, v3
	v_cmp_eq_u32_e32 vcc, 0, v2
	s_and_saveexec_b64 s[0:1], vcc
	s_cbranch_execz .LBB99_289
; %bb.288:
	v_lshrrev_b32_e32 v4, 5, v0
	v_and_b32_e32 v4, 6, v4
	s_waitcnt lgkmcnt(0)
	ds_write_b16 v4, v3
.LBB99_289:
	s_or_b64 exec, exec, s[0:1]
	v_cmp_gt_u32_e32 vcc, 64, v0
	s_waitcnt lgkmcnt(0)
	s_barrier
	s_and_saveexec_b64 s[0:1], vcc
	s_cbranch_execz .LBB99_299
; %bb.290:
	v_and_b32_e32 v4, 3, v2
	v_lshlrev_b32_e32 v3, 1, v4
	ds_read_u16 v3, v3
	v_cmp_ne_u32_e32 vcc, 3, v4
	v_addc_co_u32_e32 v2, vcc, 0, v2, vcc
	v_lshlrev_b32_e32 v2, 2, v2
	s_waitcnt lgkmcnt(0)
	v_and_b32_e32 v4, 0xffff, v3
	ds_bpermute_b32 v2, v2, v4
	v_cmp_o_f16_e32 vcc, v3, v3
	s_and_saveexec_b64 s[2:3], vcc
	s_cbranch_execz .LBB99_294
; %bb.291:
	s_waitcnt lgkmcnt(0)
	v_cmp_o_f16_e32 vcc, v2, v2
	s_and_saveexec_b64 s[4:5], vcc
; %bb.292:
	v_cmp_gt_f16_e32 vcc, v3, v2
	v_cndmask_b32_e32 v2, v3, v2, vcc
; %bb.293:
	s_or_b64 exec, exec, s[4:5]
	v_mov_b32_e32 v3, v2
.LBB99_294:
	s_or_b64 exec, exec, s[2:3]
	v_or_b32_e32 v1, 8, v1
	s_waitcnt lgkmcnt(0)
	v_and_b32_e32 v2, 0xffff, v3
	ds_bpermute_b32 v1, v1, v2
	v_cmp_o_f16_e32 vcc, v3, v3
	s_and_saveexec_b64 s[2:3], vcc
	s_cbranch_execz .LBB99_298
; %bb.295:
	s_waitcnt lgkmcnt(0)
	v_cmp_o_f16_e32 vcc, v1, v1
	s_and_saveexec_b64 s[4:5], vcc
; %bb.296:
	v_cmp_gt_f16_e32 vcc, v3, v1
	v_cndmask_b32_e32 v1, v3, v1, vcc
; %bb.297:
	s_or_b64 exec, exec, s[4:5]
	v_mov_b32_e32 v3, v1
.LBB99_298:
	s_or_b64 exec, exec, s[2:3]
.LBB99_299:
	s_or_b64 exec, exec, s[0:1]
	s_branch .LBB99_402
.LBB99_300:
	s_sub_i32 s12, s50, s42
	v_cmp_gt_u32_e32 vcc, s12, v0
                                        ; implicit-def: $vgpr4
	s_and_saveexec_b64 s[0:1], vcc
	s_cbranch_execz .LBB99_310
; %bb.301:
	s_waitcnt lgkmcnt(0)
	v_add_u32_e32 v1, s42, v0
	v_ashrrev_i32_e32 v2, 31, v1
	v_lshlrev_b64 v[2:3], 1, v[1:2]
	v_mov_b32_e32 v4, s37
	v_add_co_u32_e32 v2, vcc, s36, v2
	v_addc_co_u32_e32 v3, vcc, v4, v3, vcc
	global_load_ushort v4, v[2:3], off
	v_add_u32_e32 v1, 0x100, v1
	v_cmp_gt_i32_e32 vcc, s50, v1
	s_and_saveexec_b64 s[2:3], vcc
	s_cbranch_execz .LBB99_309
; %bb.302:
	s_mov_b64 s[4:5], 0
	s_branch .LBB99_305
.LBB99_303:                             ;   in Loop: Header=BB99_305 Depth=1
	s_or_b64 exec, exec, s[10:11]
	v_mov_b32_e32 v4, v2
.LBB99_304:                             ;   in Loop: Header=BB99_305 Depth=1
	s_or_b64 exec, exec, s[8:9]
	v_add_u32_e32 v1, 0x100, v1
	v_cmp_le_i32_e32 vcc, s50, v1
	s_or_b64 s[4:5], vcc, s[4:5]
	s_andn2_b64 exec, exec, s[4:5]
	s_cbranch_execz .LBB99_308
.LBB99_305:                             ; =>This Inner Loop Header: Depth=1
	s_waitcnt vmcnt(0)
	v_cmp_o_f16_e32 vcc, v4, v4
	s_and_saveexec_b64 s[8:9], vcc
	s_cbranch_execz .LBB99_304
; %bb.306:                              ;   in Loop: Header=BB99_305 Depth=1
	v_ashrrev_i32_e32 v2, 31, v1
	v_lshlrev_b64 v[2:3], 1, v[1:2]
	v_mov_b32_e32 v5, s37
	v_add_co_u32_e32 v2, vcc, s36, v2
	v_addc_co_u32_e32 v3, vcc, v5, v3, vcc
	global_load_ushort v2, v[2:3], off
	s_waitcnt vmcnt(0)
	v_cmp_o_f16_e32 vcc, v2, v2
	s_and_saveexec_b64 s[10:11], vcc
	s_cbranch_execz .LBB99_303
; %bb.307:                              ;   in Loop: Header=BB99_305 Depth=1
	v_cmp_lt_f16_e32 vcc, v2, v4
	v_cndmask_b32_e32 v2, v4, v2, vcc
	s_branch .LBB99_303
.LBB99_308:
	s_or_b64 exec, exec, s[4:5]
.LBB99_309:
	s_or_b64 exec, exec, s[2:3]
.LBB99_310:
	s_or_b64 exec, exec, s[0:1]
	s_waitcnt lgkmcnt(0)
	v_mbcnt_lo_u32_b32 v1, -1, 0
	s_cmpk_lt_u32 s12, 0x100
	v_lshrrev_b32_e32 v2, 6, v0
	v_mbcnt_hi_u32_b32 v1, -1, v1
	s_cbranch_scc0 .LBB99_364
; %bb.311:
	v_and_b32_e32 v5, 63, v1
	v_cmp_ne_u32_e32 vcc, 63, v5
	v_addc_co_u32_e32 v6, vcc, 0, v1, vcc
	v_lshlrev_b32_e32 v6, 2, v6
	s_waitcnt vmcnt(0)
	v_and_b32_e32 v8, 0xffff, v4
	ds_bpermute_b32 v7, v6, v8
	v_and_b32_e32 v3, 0xc0, v0
	v_sub_u32_e64 v6, s12, v3 clamp
	v_add_u32_e32 v3, 1, v5
	v_cmp_lt_u32_e32 vcc, v3, v6
	v_mov_b32_e32 v3, v4
	s_and_saveexec_b64 s[0:1], vcc
	s_cbranch_execz .LBB99_317
; %bb.312:
	v_cmp_o_f16_e32 vcc, v4, v4
	v_mov_b32_e32 v3, v4
	s_and_saveexec_b64 s[2:3], vcc
	s_cbranch_execz .LBB99_316
; %bb.313:
	s_waitcnt lgkmcnt(0)
	v_cmp_o_f16_e32 vcc, v7, v7
	s_and_saveexec_b64 s[4:5], vcc
; %bb.314:
	v_cmp_gt_f16_e32 vcc, v4, v7
	v_cndmask_b32_e32 v7, v4, v7, vcc
; %bb.315:
	s_or_b64 exec, exec, s[4:5]
	v_mov_b32_e32 v3, v7
.LBB99_316:
	s_or_b64 exec, exec, s[2:3]
	v_and_b32_e32 v8, 0xffff, v3
.LBB99_317:
	s_or_b64 exec, exec, s[0:1]
	v_cmp_gt_u32_e32 vcc, 62, v5
	s_waitcnt lgkmcnt(0)
	v_cndmask_b32_e64 v7, 0, 2, vcc
	v_add_lshl_u32 v7, v7, v1, 2
	ds_bpermute_b32 v7, v7, v8
	v_add_u32_e32 v9, 2, v5
	v_cmp_lt_u32_e32 vcc, v9, v6
	s_and_saveexec_b64 s[0:1], vcc
	s_cbranch_execz .LBB99_323
; %bb.318:
	v_cmp_o_f16_e32 vcc, v3, v3
	s_and_saveexec_b64 s[2:3], vcc
	s_cbranch_execz .LBB99_322
; %bb.319:
	s_waitcnt lgkmcnt(0)
	v_cmp_o_f16_e32 vcc, v7, v7
	s_and_saveexec_b64 s[4:5], vcc
; %bb.320:
	v_cmp_gt_f16_e32 vcc, v3, v7
	v_cndmask_b32_e32 v7, v3, v7, vcc
; %bb.321:
	s_or_b64 exec, exec, s[4:5]
	v_mov_b32_e32 v3, v7
.LBB99_322:
	s_or_b64 exec, exec, s[2:3]
	v_and_b32_e32 v8, 0xffff, v3
.LBB99_323:
	s_or_b64 exec, exec, s[0:1]
	v_cmp_gt_u32_e32 vcc, 60, v5
	s_waitcnt lgkmcnt(0)
	v_cndmask_b32_e64 v7, 0, 4, vcc
	v_add_lshl_u32 v7, v7, v1, 2
	ds_bpermute_b32 v7, v7, v8
	v_add_u32_e32 v9, 4, v5
	v_cmp_lt_u32_e32 vcc, v9, v6
	s_and_saveexec_b64 s[0:1], vcc
	s_cbranch_execz .LBB99_329
; %bb.324:
	v_cmp_o_f16_e32 vcc, v3, v3
	s_and_saveexec_b64 s[2:3], vcc
	s_cbranch_execz .LBB99_328
; %bb.325:
	s_waitcnt lgkmcnt(0)
	v_cmp_o_f16_e32 vcc, v7, v7
	s_and_saveexec_b64 s[4:5], vcc
; %bb.326:
	v_cmp_gt_f16_e32 vcc, v3, v7
	v_cndmask_b32_e32 v7, v3, v7, vcc
; %bb.327:
	s_or_b64 exec, exec, s[4:5]
	v_mov_b32_e32 v3, v7
.LBB99_328:
	s_or_b64 exec, exec, s[2:3]
	v_and_b32_e32 v8, 0xffff, v3
.LBB99_329:
	;; [unrolled: 28-line block ×4, first 2 shown]
	s_or_b64 exec, exec, s[0:1]
	s_waitcnt lgkmcnt(0)
	v_lshlrev_b32_e32 v7, 2, v1
	v_or_b32_e32 v9, 0x80, v7
	ds_bpermute_b32 v8, v9, v8
	v_add_u32_e32 v5, 32, v5
	v_cmp_lt_u32_e32 vcc, v5, v6
	s_and_saveexec_b64 s[0:1], vcc
	s_cbranch_execz .LBB99_347
; %bb.342:
	v_cmp_o_f16_e32 vcc, v3, v3
	s_and_saveexec_b64 s[2:3], vcc
	s_cbranch_execz .LBB99_346
; %bb.343:
	s_waitcnt lgkmcnt(0)
	v_cmp_o_f16_e32 vcc, v8, v8
	s_and_saveexec_b64 s[4:5], vcc
; %bb.344:
	v_cmp_gt_f16_e32 vcc, v3, v8
	v_cndmask_b32_e32 v8, v3, v8, vcc
; %bb.345:
	s_or_b64 exec, exec, s[4:5]
	v_mov_b32_e32 v3, v8
.LBB99_346:
	s_or_b64 exec, exec, s[2:3]
.LBB99_347:
	s_or_b64 exec, exec, s[0:1]
	v_cmp_eq_u32_e32 vcc, 0, v1
	s_and_saveexec_b64 s[0:1], vcc
; %bb.348:
	v_lshlrev_b32_e32 v5, 1, v2
	ds_write_b16 v5, v3
; %bb.349:
	s_or_b64 exec, exec, s[0:1]
	v_cmp_gt_u32_e32 vcc, 4, v0
	s_waitcnt lgkmcnt(0)
	s_barrier
	s_and_saveexec_b64 s[0:1], vcc
	s_cbranch_execz .LBB99_363
; %bb.350:
	v_lshlrev_b32_e32 v3, 1, v1
	ds_read_u16 v3, v3
	v_and_b32_e32 v5, 3, v1
	v_cmp_ne_u32_e32 vcc, 3, v5
	v_addc_co_u32_e32 v6, vcc, 0, v1, vcc
	v_lshlrev_b32_e32 v6, 2, v6
	s_waitcnt lgkmcnt(0)
	v_and_b32_e32 v8, 0xffff, v3
	ds_bpermute_b32 v6, v6, v8
	s_add_i32 s12, s12, 63
	s_lshr_b32 s10, s12, 6
	v_add_u32_e32 v9, 1, v5
	v_cmp_gt_u32_e32 vcc, s10, v9
	s_and_saveexec_b64 s[2:3], vcc
	s_cbranch_execz .LBB99_356
; %bb.351:
	v_cmp_o_f16_e32 vcc, v3, v3
	s_and_saveexec_b64 s[4:5], vcc
	s_cbranch_execz .LBB99_355
; %bb.352:
	s_waitcnt lgkmcnt(0)
	v_cmp_o_f16_e32 vcc, v6, v6
	s_and_saveexec_b64 s[8:9], vcc
; %bb.353:
	v_cmp_gt_f16_e32 vcc, v3, v6
	v_cndmask_b32_e32 v6, v3, v6, vcc
; %bb.354:
	s_or_b64 exec, exec, s[8:9]
	v_mov_b32_e32 v3, v6
.LBB99_355:
	s_or_b64 exec, exec, s[4:5]
	v_and_b32_e32 v8, 0xffff, v3
.LBB99_356:
	s_or_b64 exec, exec, s[2:3]
	s_waitcnt lgkmcnt(0)
	v_or_b32_e32 v6, 8, v7
	ds_bpermute_b32 v6, v6, v8
	v_add_u32_e32 v5, 2, v5
	v_cmp_gt_u32_e32 vcc, s10, v5
	s_and_saveexec_b64 s[2:3], vcc
	s_cbranch_execz .LBB99_362
; %bb.357:
	v_cmp_o_f16_e32 vcc, v3, v3
	s_and_saveexec_b64 s[4:5], vcc
	s_cbranch_execz .LBB99_361
; %bb.358:
	s_waitcnt lgkmcnt(0)
	v_cmp_o_f16_e32 vcc, v6, v6
	s_and_saveexec_b64 s[8:9], vcc
; %bb.359:
	v_cmp_gt_f16_e32 vcc, v3, v6
	v_cndmask_b32_e32 v6, v3, v6, vcc
; %bb.360:
	s_or_b64 exec, exec, s[8:9]
	v_mov_b32_e32 v3, v6
.LBB99_361:
	s_or_b64 exec, exec, s[4:5]
.LBB99_362:
	s_or_b64 exec, exec, s[2:3]
.LBB99_363:
	s_or_b64 exec, exec, s[0:1]
	s_branch .LBB99_402
.LBB99_364:
                                        ; implicit-def: $vgpr3
	s_cbranch_execz .LBB99_402
; %bb.365:
	s_waitcnt vmcnt(0)
	v_and_b32_e32 v3, 0xffff, v4
	s_nop 1
	v_mov_b32_dpp v3, v3 quad_perm:[1,0,3,2] row_mask:0xf bank_mask:0xf bound_ctrl:1
	v_cmp_o_f16_e32 vcc, v3, v3
	s_and_saveexec_b64 s[0:1], vcc
	s_cbranch_execz .LBB99_369
; %bb.366:
	v_cmp_o_f16_e32 vcc, v4, v4
	s_and_saveexec_b64 s[2:3], vcc
; %bb.367:
	v_cmp_lt_f16_e32 vcc, v4, v3
	v_cndmask_b32_e32 v4, v3, v4, vcc
; %bb.368:
	s_or_b64 exec, exec, s[2:3]
	v_mov_b32_e32 v3, v4
.LBB99_369:
	s_or_b64 exec, exec, s[0:1]
	v_and_b32_e32 v4, 0xffff, v3
	s_nop 1
	v_mov_b32_dpp v4, v4 quad_perm:[2,3,0,1] row_mask:0xf bank_mask:0xf bound_ctrl:1
	v_cmp_o_f16_e32 vcc, v4, v4
	s_and_saveexec_b64 s[0:1], vcc
	s_cbranch_execz .LBB99_373
; %bb.370:
	v_cmp_o_f16_e32 vcc, v3, v3
	s_and_saveexec_b64 s[2:3], vcc
; %bb.371:
	v_cmp_lt_f16_e32 vcc, v3, v4
	v_cndmask_b32_e32 v3, v4, v3, vcc
; %bb.372:
	s_or_b64 exec, exec, s[2:3]
	v_mov_b32_e32 v4, v3
.LBB99_373:
	s_or_b64 exec, exec, s[0:1]
	v_and_b32_e32 v3, 0xffff, v4
	s_nop 1
	v_mov_b32_dpp v3, v3 row_ror:4 row_mask:0xf bank_mask:0xf bound_ctrl:1
	v_cmp_o_f16_e32 vcc, v3, v3
	s_and_saveexec_b64 s[0:1], vcc
	s_cbranch_execz .LBB99_377
; %bb.374:
	v_cmp_o_f16_e32 vcc, v4, v4
	s_and_saveexec_b64 s[2:3], vcc
; %bb.375:
	v_cmp_lt_f16_e32 vcc, v4, v3
	v_cndmask_b32_e32 v4, v3, v4, vcc
; %bb.376:
	s_or_b64 exec, exec, s[2:3]
	v_mov_b32_e32 v3, v4
.LBB99_377:
	s_or_b64 exec, exec, s[0:1]
	v_and_b32_e32 v4, 0xffff, v3
	s_nop 1
	v_mov_b32_dpp v4, v4 row_ror:8 row_mask:0xf bank_mask:0xf bound_ctrl:1
	v_cmp_o_f16_e32 vcc, v4, v4
	s_and_saveexec_b64 s[0:1], vcc
	s_cbranch_execz .LBB99_381
; %bb.378:
	v_cmp_o_f16_e32 vcc, v3, v3
	s_and_saveexec_b64 s[2:3], vcc
; %bb.379:
	v_cmp_lt_f16_e32 vcc, v3, v4
	v_cndmask_b32_e32 v3, v4, v3, vcc
; %bb.380:
	s_or_b64 exec, exec, s[2:3]
	v_mov_b32_e32 v4, v3
.LBB99_381:
	s_or_b64 exec, exec, s[0:1]
	v_and_b32_e32 v3, 0xffff, v4
	s_nop 1
	v_mov_b32_dpp v3, v3 row_bcast:15 row_mask:0xf bank_mask:0xf bound_ctrl:1
	v_cmp_o_f16_e32 vcc, v3, v3
	s_and_saveexec_b64 s[0:1], vcc
	s_cbranch_execz .LBB99_385
; %bb.382:
	v_cmp_o_f16_e32 vcc, v4, v4
	s_and_saveexec_b64 s[2:3], vcc
; %bb.383:
	v_cmp_lt_f16_e32 vcc, v4, v3
	v_cndmask_b32_e32 v4, v3, v4, vcc
; %bb.384:
	s_or_b64 exec, exec, s[2:3]
	v_mov_b32_e32 v3, v4
.LBB99_385:
	s_or_b64 exec, exec, s[0:1]
	v_and_b32_e32 v4, 0xffff, v3
	s_nop 1
	v_mov_b32_dpp v5, v4 row_bcast:31 row_mask:0xf bank_mask:0xf bound_ctrl:1
	v_cmp_o_f16_e32 vcc, v5, v5
	s_and_saveexec_b64 s[0:1], vcc
	s_cbranch_execz .LBB99_389
; %bb.386:
	v_cmp_o_f16_e32 vcc, v3, v3
	s_and_saveexec_b64 s[2:3], vcc
; %bb.387:
	v_cmp_lt_f16_e32 vcc, v3, v5
	v_cndmask_b32_e32 v3, v5, v3, vcc
; %bb.388:
	s_or_b64 exec, exec, s[2:3]
	v_mov_b32_e32 v5, v3
.LBB99_389:
	s_or_b64 exec, exec, s[0:1]
	v_lshlrev_b32_e32 v4, 2, v1
	v_or_b32_e32 v3, 0xfc, v4
	v_and_b32_e32 v5, 0xffff, v5
	ds_bpermute_b32 v3, v3, v5
	v_cmp_eq_u32_e32 vcc, 0, v1
	s_and_saveexec_b64 s[0:1], vcc
	s_cbranch_execz .LBB99_391
; %bb.390:
	v_lshlrev_b32_e32 v2, 1, v2
	s_waitcnt lgkmcnt(0)
	ds_write_b16 v2, v3
.LBB99_391:
	s_or_b64 exec, exec, s[0:1]
	v_cmp_gt_u32_e32 vcc, 64, v0
	s_waitcnt lgkmcnt(0)
	s_barrier
	s_and_saveexec_b64 s[0:1], vcc
	s_cbranch_execz .LBB99_401
; %bb.392:
	v_and_b32_e32 v2, 3, v1
	v_lshlrev_b32_e32 v3, 1, v2
	ds_read_u16 v3, v3
	v_cmp_ne_u32_e32 vcc, 3, v2
	v_addc_co_u32_e32 v1, vcc, 0, v1, vcc
	v_lshlrev_b32_e32 v1, 2, v1
	s_waitcnt lgkmcnt(0)
	v_and_b32_e32 v2, 0xffff, v3
	ds_bpermute_b32 v1, v1, v2
	v_cmp_o_f16_e32 vcc, v3, v3
	s_and_saveexec_b64 s[2:3], vcc
	s_cbranch_execz .LBB99_396
; %bb.393:
	s_waitcnt lgkmcnt(0)
	v_cmp_o_f16_e32 vcc, v1, v1
	s_and_saveexec_b64 s[4:5], vcc
; %bb.394:
	v_cmp_gt_f16_e32 vcc, v3, v1
	v_cndmask_b32_e32 v1, v3, v1, vcc
; %bb.395:
	s_or_b64 exec, exec, s[4:5]
	v_mov_b32_e32 v3, v1
.LBB99_396:
	s_or_b64 exec, exec, s[2:3]
	s_waitcnt lgkmcnt(0)
	v_or_b32_e32 v1, 8, v4
	v_and_b32_e32 v2, 0xffff, v3
	ds_bpermute_b32 v1, v1, v2
	v_cmp_o_f16_e32 vcc, v3, v3
	s_and_saveexec_b64 s[2:3], vcc
	s_cbranch_execz .LBB99_400
; %bb.397:
	s_waitcnt lgkmcnt(0)
	v_cmp_o_f16_e32 vcc, v1, v1
	s_and_saveexec_b64 s[4:5], vcc
; %bb.398:
	v_cmp_gt_f16_e32 vcc, v3, v1
	v_cndmask_b32_e32 v1, v3, v1, vcc
; %bb.399:
	s_or_b64 exec, exec, s[4:5]
	v_mov_b32_e32 v3, v1
.LBB99_400:
	s_or_b64 exec, exec, s[2:3]
.LBB99_401:
	s_or_b64 exec, exec, s[0:1]
.LBB99_402:
	v_cmp_eq_u32_e32 vcc, 0, v0
                                        ; implicit-def: $vgpr1
	s_and_saveexec_b64 s[0:1], vcc
	s_cbranch_execz .LBB99_408
; %bb.403:
	v_cmp_u_f16_e64 s[2:3], s33, s33
	s_and_b64 vcc, exec, s[2:3]
	s_waitcnt lgkmcnt(0)
	v_mov_b32_e32 v1, s33
	s_cbranch_vccnz .LBB99_407
; %bb.404:
	v_cmp_o_f16_e32 vcc, v3, v3
	s_and_saveexec_b64 s[2:3], vcc
; %bb.405:
	v_mov_b32_e32 v0, s33
	v_cmp_gt_f16_e32 vcc, s33, v3
	v_cndmask_b32_e32 v3, v0, v3, vcc
; %bb.406:
	s_or_b64 exec, exec, s[2:3]
	v_mov_b32_e32 v1, v3
.LBB99_407:
	s_or_b64 s[34:35], s[34:35], exec
.LBB99_408:
	s_or_b64 exec, exec, s[0:1]
	s_and_saveexec_b64 s[0:1], s[34:35]
	s_cbranch_execz .LBB99_410
.LBB99_409:
	s_lshl_b64 s[0:1], s[40:41], 1
	s_add_u32 s2, s38, s0
	s_addc_u32 s3, s39, s1
	s_lshl_b64 s[0:1], s[6:7], 1
	s_add_u32 s0, s2, s0
	s_addc_u32 s1, s3, s1
	v_mov_b32_e32 v0, 0
	s_waitcnt lgkmcnt(0)
	global_store_short v0, v1, s[0:1]
.LBB99_410:
	s_endpgm
	.section	.rodata,"a",@progbits
	.p2align	6, 0x0
	.amdhsa_kernel _ZN7rocprim17ROCPRIM_400000_NS6detail17trampoline_kernelINS0_14default_configENS1_32segmented_reduce_config_selectorIN3c104HalfEEEZNS1_21segmented_reduce_implIS3_PKS6_PS6_PKiS6_N6hipcub16HIPCUB_304000_NS6detail27convert_result_type_wrapperISA_SB_N2at6native12_GLOBAL__N_19CustomMinEEEEE10hipError_tPvRmT0_T1_jT2_SS_T4_T3_P12ihipStream_tbEUlT_E_NS1_11comp_targetILNS1_3genE2ELNS1_11target_archE906ELNS1_3gpuE6ELNS1_3repE0EEENS1_30default_config_static_selectorELNS0_4arch9wavefront6targetE1EEEvSR_
		.amdhsa_group_segment_fixed_size 8
		.amdhsa_private_segment_fixed_size 0
		.amdhsa_kernarg_size 48
		.amdhsa_user_sgpr_count 6
		.amdhsa_user_sgpr_private_segment_buffer 1
		.amdhsa_user_sgpr_dispatch_ptr 0
		.amdhsa_user_sgpr_queue_ptr 0
		.amdhsa_user_sgpr_kernarg_segment_ptr 1
		.amdhsa_user_sgpr_dispatch_id 0
		.amdhsa_user_sgpr_flat_scratch_init 0
		.amdhsa_user_sgpr_private_segment_size 0
		.amdhsa_uses_dynamic_stack 0
		.amdhsa_system_sgpr_private_segment_wavefront_offset 0
		.amdhsa_system_sgpr_workgroup_id_x 1
		.amdhsa_system_sgpr_workgroup_id_y 0
		.amdhsa_system_sgpr_workgroup_id_z 0
		.amdhsa_system_sgpr_workgroup_info 0
		.amdhsa_system_vgpr_workitem_id 0
		.amdhsa_next_free_vgpr 23
		.amdhsa_next_free_sgpr 51
		.amdhsa_reserve_vcc 1
		.amdhsa_reserve_flat_scratch 0
		.amdhsa_float_round_mode_32 0
		.amdhsa_float_round_mode_16_64 0
		.amdhsa_float_denorm_mode_32 3
		.amdhsa_float_denorm_mode_16_64 3
		.amdhsa_dx10_clamp 1
		.amdhsa_ieee_mode 1
		.amdhsa_fp16_overflow 0
		.amdhsa_exception_fp_ieee_invalid_op 0
		.amdhsa_exception_fp_denorm_src 0
		.amdhsa_exception_fp_ieee_div_zero 0
		.amdhsa_exception_fp_ieee_overflow 0
		.amdhsa_exception_fp_ieee_underflow 0
		.amdhsa_exception_fp_ieee_inexact 0
		.amdhsa_exception_int_div_zero 0
	.end_amdhsa_kernel
	.section	.text._ZN7rocprim17ROCPRIM_400000_NS6detail17trampoline_kernelINS0_14default_configENS1_32segmented_reduce_config_selectorIN3c104HalfEEEZNS1_21segmented_reduce_implIS3_PKS6_PS6_PKiS6_N6hipcub16HIPCUB_304000_NS6detail27convert_result_type_wrapperISA_SB_N2at6native12_GLOBAL__N_19CustomMinEEEEE10hipError_tPvRmT0_T1_jT2_SS_T4_T3_P12ihipStream_tbEUlT_E_NS1_11comp_targetILNS1_3genE2ELNS1_11target_archE906ELNS1_3gpuE6ELNS1_3repE0EEENS1_30default_config_static_selectorELNS0_4arch9wavefront6targetE1EEEvSR_,"axG",@progbits,_ZN7rocprim17ROCPRIM_400000_NS6detail17trampoline_kernelINS0_14default_configENS1_32segmented_reduce_config_selectorIN3c104HalfEEEZNS1_21segmented_reduce_implIS3_PKS6_PS6_PKiS6_N6hipcub16HIPCUB_304000_NS6detail27convert_result_type_wrapperISA_SB_N2at6native12_GLOBAL__N_19CustomMinEEEEE10hipError_tPvRmT0_T1_jT2_SS_T4_T3_P12ihipStream_tbEUlT_E_NS1_11comp_targetILNS1_3genE2ELNS1_11target_archE906ELNS1_3gpuE6ELNS1_3repE0EEENS1_30default_config_static_selectorELNS0_4arch9wavefront6targetE1EEEvSR_,comdat
.Lfunc_end99:
	.size	_ZN7rocprim17ROCPRIM_400000_NS6detail17trampoline_kernelINS0_14default_configENS1_32segmented_reduce_config_selectorIN3c104HalfEEEZNS1_21segmented_reduce_implIS3_PKS6_PS6_PKiS6_N6hipcub16HIPCUB_304000_NS6detail27convert_result_type_wrapperISA_SB_N2at6native12_GLOBAL__N_19CustomMinEEEEE10hipError_tPvRmT0_T1_jT2_SS_T4_T3_P12ihipStream_tbEUlT_E_NS1_11comp_targetILNS1_3genE2ELNS1_11target_archE906ELNS1_3gpuE6ELNS1_3repE0EEENS1_30default_config_static_selectorELNS0_4arch9wavefront6targetE1EEEvSR_, .Lfunc_end99-_ZN7rocprim17ROCPRIM_400000_NS6detail17trampoline_kernelINS0_14default_configENS1_32segmented_reduce_config_selectorIN3c104HalfEEEZNS1_21segmented_reduce_implIS3_PKS6_PS6_PKiS6_N6hipcub16HIPCUB_304000_NS6detail27convert_result_type_wrapperISA_SB_N2at6native12_GLOBAL__N_19CustomMinEEEEE10hipError_tPvRmT0_T1_jT2_SS_T4_T3_P12ihipStream_tbEUlT_E_NS1_11comp_targetILNS1_3genE2ELNS1_11target_archE906ELNS1_3gpuE6ELNS1_3repE0EEENS1_30default_config_static_selectorELNS0_4arch9wavefront6targetE1EEEvSR_
                                        ; -- End function
	.set _ZN7rocprim17ROCPRIM_400000_NS6detail17trampoline_kernelINS0_14default_configENS1_32segmented_reduce_config_selectorIN3c104HalfEEEZNS1_21segmented_reduce_implIS3_PKS6_PS6_PKiS6_N6hipcub16HIPCUB_304000_NS6detail27convert_result_type_wrapperISA_SB_N2at6native12_GLOBAL__N_19CustomMinEEEEE10hipError_tPvRmT0_T1_jT2_SS_T4_T3_P12ihipStream_tbEUlT_E_NS1_11comp_targetILNS1_3genE2ELNS1_11target_archE906ELNS1_3gpuE6ELNS1_3repE0EEENS1_30default_config_static_selectorELNS0_4arch9wavefront6targetE1EEEvSR_.num_vgpr, 23
	.set _ZN7rocprim17ROCPRIM_400000_NS6detail17trampoline_kernelINS0_14default_configENS1_32segmented_reduce_config_selectorIN3c104HalfEEEZNS1_21segmented_reduce_implIS3_PKS6_PS6_PKiS6_N6hipcub16HIPCUB_304000_NS6detail27convert_result_type_wrapperISA_SB_N2at6native12_GLOBAL__N_19CustomMinEEEEE10hipError_tPvRmT0_T1_jT2_SS_T4_T3_P12ihipStream_tbEUlT_E_NS1_11comp_targetILNS1_3genE2ELNS1_11target_archE906ELNS1_3gpuE6ELNS1_3repE0EEENS1_30default_config_static_selectorELNS0_4arch9wavefront6targetE1EEEvSR_.num_agpr, 0
	.set _ZN7rocprim17ROCPRIM_400000_NS6detail17trampoline_kernelINS0_14default_configENS1_32segmented_reduce_config_selectorIN3c104HalfEEEZNS1_21segmented_reduce_implIS3_PKS6_PS6_PKiS6_N6hipcub16HIPCUB_304000_NS6detail27convert_result_type_wrapperISA_SB_N2at6native12_GLOBAL__N_19CustomMinEEEEE10hipError_tPvRmT0_T1_jT2_SS_T4_T3_P12ihipStream_tbEUlT_E_NS1_11comp_targetILNS1_3genE2ELNS1_11target_archE906ELNS1_3gpuE6ELNS1_3repE0EEENS1_30default_config_static_selectorELNS0_4arch9wavefront6targetE1EEEvSR_.numbered_sgpr, 51
	.set _ZN7rocprim17ROCPRIM_400000_NS6detail17trampoline_kernelINS0_14default_configENS1_32segmented_reduce_config_selectorIN3c104HalfEEEZNS1_21segmented_reduce_implIS3_PKS6_PS6_PKiS6_N6hipcub16HIPCUB_304000_NS6detail27convert_result_type_wrapperISA_SB_N2at6native12_GLOBAL__N_19CustomMinEEEEE10hipError_tPvRmT0_T1_jT2_SS_T4_T3_P12ihipStream_tbEUlT_E_NS1_11comp_targetILNS1_3genE2ELNS1_11target_archE906ELNS1_3gpuE6ELNS1_3repE0EEENS1_30default_config_static_selectorELNS0_4arch9wavefront6targetE1EEEvSR_.num_named_barrier, 0
	.set _ZN7rocprim17ROCPRIM_400000_NS6detail17trampoline_kernelINS0_14default_configENS1_32segmented_reduce_config_selectorIN3c104HalfEEEZNS1_21segmented_reduce_implIS3_PKS6_PS6_PKiS6_N6hipcub16HIPCUB_304000_NS6detail27convert_result_type_wrapperISA_SB_N2at6native12_GLOBAL__N_19CustomMinEEEEE10hipError_tPvRmT0_T1_jT2_SS_T4_T3_P12ihipStream_tbEUlT_E_NS1_11comp_targetILNS1_3genE2ELNS1_11target_archE906ELNS1_3gpuE6ELNS1_3repE0EEENS1_30default_config_static_selectorELNS0_4arch9wavefront6targetE1EEEvSR_.private_seg_size, 0
	.set _ZN7rocprim17ROCPRIM_400000_NS6detail17trampoline_kernelINS0_14default_configENS1_32segmented_reduce_config_selectorIN3c104HalfEEEZNS1_21segmented_reduce_implIS3_PKS6_PS6_PKiS6_N6hipcub16HIPCUB_304000_NS6detail27convert_result_type_wrapperISA_SB_N2at6native12_GLOBAL__N_19CustomMinEEEEE10hipError_tPvRmT0_T1_jT2_SS_T4_T3_P12ihipStream_tbEUlT_E_NS1_11comp_targetILNS1_3genE2ELNS1_11target_archE906ELNS1_3gpuE6ELNS1_3repE0EEENS1_30default_config_static_selectorELNS0_4arch9wavefront6targetE1EEEvSR_.uses_vcc, 1
	.set _ZN7rocprim17ROCPRIM_400000_NS6detail17trampoline_kernelINS0_14default_configENS1_32segmented_reduce_config_selectorIN3c104HalfEEEZNS1_21segmented_reduce_implIS3_PKS6_PS6_PKiS6_N6hipcub16HIPCUB_304000_NS6detail27convert_result_type_wrapperISA_SB_N2at6native12_GLOBAL__N_19CustomMinEEEEE10hipError_tPvRmT0_T1_jT2_SS_T4_T3_P12ihipStream_tbEUlT_E_NS1_11comp_targetILNS1_3genE2ELNS1_11target_archE906ELNS1_3gpuE6ELNS1_3repE0EEENS1_30default_config_static_selectorELNS0_4arch9wavefront6targetE1EEEvSR_.uses_flat_scratch, 0
	.set _ZN7rocprim17ROCPRIM_400000_NS6detail17trampoline_kernelINS0_14default_configENS1_32segmented_reduce_config_selectorIN3c104HalfEEEZNS1_21segmented_reduce_implIS3_PKS6_PS6_PKiS6_N6hipcub16HIPCUB_304000_NS6detail27convert_result_type_wrapperISA_SB_N2at6native12_GLOBAL__N_19CustomMinEEEEE10hipError_tPvRmT0_T1_jT2_SS_T4_T3_P12ihipStream_tbEUlT_E_NS1_11comp_targetILNS1_3genE2ELNS1_11target_archE906ELNS1_3gpuE6ELNS1_3repE0EEENS1_30default_config_static_selectorELNS0_4arch9wavefront6targetE1EEEvSR_.has_dyn_sized_stack, 0
	.set _ZN7rocprim17ROCPRIM_400000_NS6detail17trampoline_kernelINS0_14default_configENS1_32segmented_reduce_config_selectorIN3c104HalfEEEZNS1_21segmented_reduce_implIS3_PKS6_PS6_PKiS6_N6hipcub16HIPCUB_304000_NS6detail27convert_result_type_wrapperISA_SB_N2at6native12_GLOBAL__N_19CustomMinEEEEE10hipError_tPvRmT0_T1_jT2_SS_T4_T3_P12ihipStream_tbEUlT_E_NS1_11comp_targetILNS1_3genE2ELNS1_11target_archE906ELNS1_3gpuE6ELNS1_3repE0EEENS1_30default_config_static_selectorELNS0_4arch9wavefront6targetE1EEEvSR_.has_recursion, 0
	.set _ZN7rocprim17ROCPRIM_400000_NS6detail17trampoline_kernelINS0_14default_configENS1_32segmented_reduce_config_selectorIN3c104HalfEEEZNS1_21segmented_reduce_implIS3_PKS6_PS6_PKiS6_N6hipcub16HIPCUB_304000_NS6detail27convert_result_type_wrapperISA_SB_N2at6native12_GLOBAL__N_19CustomMinEEEEE10hipError_tPvRmT0_T1_jT2_SS_T4_T3_P12ihipStream_tbEUlT_E_NS1_11comp_targetILNS1_3genE2ELNS1_11target_archE906ELNS1_3gpuE6ELNS1_3repE0EEENS1_30default_config_static_selectorELNS0_4arch9wavefront6targetE1EEEvSR_.has_indirect_call, 0
	.section	.AMDGPU.csdata,"",@progbits
; Kernel info:
; codeLenInByte = 7092
; TotalNumSgprs: 55
; NumVgprs: 23
; ScratchSize: 0
; MemoryBound: 0
; FloatMode: 240
; IeeeMode: 1
; LDSByteSize: 8 bytes/workgroup (compile time only)
; SGPRBlocks: 6
; VGPRBlocks: 5
; NumSGPRsForWavesPerEU: 55
; NumVGPRsForWavesPerEU: 23
; Occupancy: 10
; WaveLimiterHint : 1
; COMPUTE_PGM_RSRC2:SCRATCH_EN: 0
; COMPUTE_PGM_RSRC2:USER_SGPR: 6
; COMPUTE_PGM_RSRC2:TRAP_HANDLER: 0
; COMPUTE_PGM_RSRC2:TGID_X_EN: 1
; COMPUTE_PGM_RSRC2:TGID_Y_EN: 0
; COMPUTE_PGM_RSRC2:TGID_Z_EN: 0
; COMPUTE_PGM_RSRC2:TIDIG_COMP_CNT: 0
	.section	.text._ZN7rocprim17ROCPRIM_400000_NS6detail17trampoline_kernelINS0_14default_configENS1_32segmented_reduce_config_selectorIN3c104HalfEEEZNS1_21segmented_reduce_implIS3_PKS6_PS6_PKiS6_N6hipcub16HIPCUB_304000_NS6detail27convert_result_type_wrapperISA_SB_N2at6native12_GLOBAL__N_19CustomMinEEEEE10hipError_tPvRmT0_T1_jT2_SS_T4_T3_P12ihipStream_tbEUlT_E_NS1_11comp_targetILNS1_3genE9ELNS1_11target_archE1100ELNS1_3gpuE3ELNS1_3repE0EEENS1_30default_config_static_selectorELNS0_4arch9wavefront6targetE1EEEvSR_,"axG",@progbits,_ZN7rocprim17ROCPRIM_400000_NS6detail17trampoline_kernelINS0_14default_configENS1_32segmented_reduce_config_selectorIN3c104HalfEEEZNS1_21segmented_reduce_implIS3_PKS6_PS6_PKiS6_N6hipcub16HIPCUB_304000_NS6detail27convert_result_type_wrapperISA_SB_N2at6native12_GLOBAL__N_19CustomMinEEEEE10hipError_tPvRmT0_T1_jT2_SS_T4_T3_P12ihipStream_tbEUlT_E_NS1_11comp_targetILNS1_3genE9ELNS1_11target_archE1100ELNS1_3gpuE3ELNS1_3repE0EEENS1_30default_config_static_selectorELNS0_4arch9wavefront6targetE1EEEvSR_,comdat
	.globl	_ZN7rocprim17ROCPRIM_400000_NS6detail17trampoline_kernelINS0_14default_configENS1_32segmented_reduce_config_selectorIN3c104HalfEEEZNS1_21segmented_reduce_implIS3_PKS6_PS6_PKiS6_N6hipcub16HIPCUB_304000_NS6detail27convert_result_type_wrapperISA_SB_N2at6native12_GLOBAL__N_19CustomMinEEEEE10hipError_tPvRmT0_T1_jT2_SS_T4_T3_P12ihipStream_tbEUlT_E_NS1_11comp_targetILNS1_3genE9ELNS1_11target_archE1100ELNS1_3gpuE3ELNS1_3repE0EEENS1_30default_config_static_selectorELNS0_4arch9wavefront6targetE1EEEvSR_ ; -- Begin function _ZN7rocprim17ROCPRIM_400000_NS6detail17trampoline_kernelINS0_14default_configENS1_32segmented_reduce_config_selectorIN3c104HalfEEEZNS1_21segmented_reduce_implIS3_PKS6_PS6_PKiS6_N6hipcub16HIPCUB_304000_NS6detail27convert_result_type_wrapperISA_SB_N2at6native12_GLOBAL__N_19CustomMinEEEEE10hipError_tPvRmT0_T1_jT2_SS_T4_T3_P12ihipStream_tbEUlT_E_NS1_11comp_targetILNS1_3genE9ELNS1_11target_archE1100ELNS1_3gpuE3ELNS1_3repE0EEENS1_30default_config_static_selectorELNS0_4arch9wavefront6targetE1EEEvSR_
	.p2align	8
	.type	_ZN7rocprim17ROCPRIM_400000_NS6detail17trampoline_kernelINS0_14default_configENS1_32segmented_reduce_config_selectorIN3c104HalfEEEZNS1_21segmented_reduce_implIS3_PKS6_PS6_PKiS6_N6hipcub16HIPCUB_304000_NS6detail27convert_result_type_wrapperISA_SB_N2at6native12_GLOBAL__N_19CustomMinEEEEE10hipError_tPvRmT0_T1_jT2_SS_T4_T3_P12ihipStream_tbEUlT_E_NS1_11comp_targetILNS1_3genE9ELNS1_11target_archE1100ELNS1_3gpuE3ELNS1_3repE0EEENS1_30default_config_static_selectorELNS0_4arch9wavefront6targetE1EEEvSR_,@function
_ZN7rocprim17ROCPRIM_400000_NS6detail17trampoline_kernelINS0_14default_configENS1_32segmented_reduce_config_selectorIN3c104HalfEEEZNS1_21segmented_reduce_implIS3_PKS6_PS6_PKiS6_N6hipcub16HIPCUB_304000_NS6detail27convert_result_type_wrapperISA_SB_N2at6native12_GLOBAL__N_19CustomMinEEEEE10hipError_tPvRmT0_T1_jT2_SS_T4_T3_P12ihipStream_tbEUlT_E_NS1_11comp_targetILNS1_3genE9ELNS1_11target_archE1100ELNS1_3gpuE3ELNS1_3repE0EEENS1_30default_config_static_selectorELNS0_4arch9wavefront6targetE1EEEvSR_: ; @_ZN7rocprim17ROCPRIM_400000_NS6detail17trampoline_kernelINS0_14default_configENS1_32segmented_reduce_config_selectorIN3c104HalfEEEZNS1_21segmented_reduce_implIS3_PKS6_PS6_PKiS6_N6hipcub16HIPCUB_304000_NS6detail27convert_result_type_wrapperISA_SB_N2at6native12_GLOBAL__N_19CustomMinEEEEE10hipError_tPvRmT0_T1_jT2_SS_T4_T3_P12ihipStream_tbEUlT_E_NS1_11comp_targetILNS1_3genE9ELNS1_11target_archE1100ELNS1_3gpuE3ELNS1_3repE0EEENS1_30default_config_static_selectorELNS0_4arch9wavefront6targetE1EEEvSR_
; %bb.0:
	.section	.rodata,"a",@progbits
	.p2align	6, 0x0
	.amdhsa_kernel _ZN7rocprim17ROCPRIM_400000_NS6detail17trampoline_kernelINS0_14default_configENS1_32segmented_reduce_config_selectorIN3c104HalfEEEZNS1_21segmented_reduce_implIS3_PKS6_PS6_PKiS6_N6hipcub16HIPCUB_304000_NS6detail27convert_result_type_wrapperISA_SB_N2at6native12_GLOBAL__N_19CustomMinEEEEE10hipError_tPvRmT0_T1_jT2_SS_T4_T3_P12ihipStream_tbEUlT_E_NS1_11comp_targetILNS1_3genE9ELNS1_11target_archE1100ELNS1_3gpuE3ELNS1_3repE0EEENS1_30default_config_static_selectorELNS0_4arch9wavefront6targetE1EEEvSR_
		.amdhsa_group_segment_fixed_size 0
		.amdhsa_private_segment_fixed_size 0
		.amdhsa_kernarg_size 48
		.amdhsa_user_sgpr_count 6
		.amdhsa_user_sgpr_private_segment_buffer 1
		.amdhsa_user_sgpr_dispatch_ptr 0
		.amdhsa_user_sgpr_queue_ptr 0
		.amdhsa_user_sgpr_kernarg_segment_ptr 1
		.amdhsa_user_sgpr_dispatch_id 0
		.amdhsa_user_sgpr_flat_scratch_init 0
		.amdhsa_user_sgpr_private_segment_size 0
		.amdhsa_uses_dynamic_stack 0
		.amdhsa_system_sgpr_private_segment_wavefront_offset 0
		.amdhsa_system_sgpr_workgroup_id_x 1
		.amdhsa_system_sgpr_workgroup_id_y 0
		.amdhsa_system_sgpr_workgroup_id_z 0
		.amdhsa_system_sgpr_workgroup_info 0
		.amdhsa_system_vgpr_workitem_id 0
		.amdhsa_next_free_vgpr 1
		.amdhsa_next_free_sgpr 0
		.amdhsa_reserve_vcc 0
		.amdhsa_reserve_flat_scratch 0
		.amdhsa_float_round_mode_32 0
		.amdhsa_float_round_mode_16_64 0
		.amdhsa_float_denorm_mode_32 3
		.amdhsa_float_denorm_mode_16_64 3
		.amdhsa_dx10_clamp 1
		.amdhsa_ieee_mode 1
		.amdhsa_fp16_overflow 0
		.amdhsa_exception_fp_ieee_invalid_op 0
		.amdhsa_exception_fp_denorm_src 0
		.amdhsa_exception_fp_ieee_div_zero 0
		.amdhsa_exception_fp_ieee_overflow 0
		.amdhsa_exception_fp_ieee_underflow 0
		.amdhsa_exception_fp_ieee_inexact 0
		.amdhsa_exception_int_div_zero 0
	.end_amdhsa_kernel
	.section	.text._ZN7rocprim17ROCPRIM_400000_NS6detail17trampoline_kernelINS0_14default_configENS1_32segmented_reduce_config_selectorIN3c104HalfEEEZNS1_21segmented_reduce_implIS3_PKS6_PS6_PKiS6_N6hipcub16HIPCUB_304000_NS6detail27convert_result_type_wrapperISA_SB_N2at6native12_GLOBAL__N_19CustomMinEEEEE10hipError_tPvRmT0_T1_jT2_SS_T4_T3_P12ihipStream_tbEUlT_E_NS1_11comp_targetILNS1_3genE9ELNS1_11target_archE1100ELNS1_3gpuE3ELNS1_3repE0EEENS1_30default_config_static_selectorELNS0_4arch9wavefront6targetE1EEEvSR_,"axG",@progbits,_ZN7rocprim17ROCPRIM_400000_NS6detail17trampoline_kernelINS0_14default_configENS1_32segmented_reduce_config_selectorIN3c104HalfEEEZNS1_21segmented_reduce_implIS3_PKS6_PS6_PKiS6_N6hipcub16HIPCUB_304000_NS6detail27convert_result_type_wrapperISA_SB_N2at6native12_GLOBAL__N_19CustomMinEEEEE10hipError_tPvRmT0_T1_jT2_SS_T4_T3_P12ihipStream_tbEUlT_E_NS1_11comp_targetILNS1_3genE9ELNS1_11target_archE1100ELNS1_3gpuE3ELNS1_3repE0EEENS1_30default_config_static_selectorELNS0_4arch9wavefront6targetE1EEEvSR_,comdat
.Lfunc_end100:
	.size	_ZN7rocprim17ROCPRIM_400000_NS6detail17trampoline_kernelINS0_14default_configENS1_32segmented_reduce_config_selectorIN3c104HalfEEEZNS1_21segmented_reduce_implIS3_PKS6_PS6_PKiS6_N6hipcub16HIPCUB_304000_NS6detail27convert_result_type_wrapperISA_SB_N2at6native12_GLOBAL__N_19CustomMinEEEEE10hipError_tPvRmT0_T1_jT2_SS_T4_T3_P12ihipStream_tbEUlT_E_NS1_11comp_targetILNS1_3genE9ELNS1_11target_archE1100ELNS1_3gpuE3ELNS1_3repE0EEENS1_30default_config_static_selectorELNS0_4arch9wavefront6targetE1EEEvSR_, .Lfunc_end100-_ZN7rocprim17ROCPRIM_400000_NS6detail17trampoline_kernelINS0_14default_configENS1_32segmented_reduce_config_selectorIN3c104HalfEEEZNS1_21segmented_reduce_implIS3_PKS6_PS6_PKiS6_N6hipcub16HIPCUB_304000_NS6detail27convert_result_type_wrapperISA_SB_N2at6native12_GLOBAL__N_19CustomMinEEEEE10hipError_tPvRmT0_T1_jT2_SS_T4_T3_P12ihipStream_tbEUlT_E_NS1_11comp_targetILNS1_3genE9ELNS1_11target_archE1100ELNS1_3gpuE3ELNS1_3repE0EEENS1_30default_config_static_selectorELNS0_4arch9wavefront6targetE1EEEvSR_
                                        ; -- End function
	.set _ZN7rocprim17ROCPRIM_400000_NS6detail17trampoline_kernelINS0_14default_configENS1_32segmented_reduce_config_selectorIN3c104HalfEEEZNS1_21segmented_reduce_implIS3_PKS6_PS6_PKiS6_N6hipcub16HIPCUB_304000_NS6detail27convert_result_type_wrapperISA_SB_N2at6native12_GLOBAL__N_19CustomMinEEEEE10hipError_tPvRmT0_T1_jT2_SS_T4_T3_P12ihipStream_tbEUlT_E_NS1_11comp_targetILNS1_3genE9ELNS1_11target_archE1100ELNS1_3gpuE3ELNS1_3repE0EEENS1_30default_config_static_selectorELNS0_4arch9wavefront6targetE1EEEvSR_.num_vgpr, 0
	.set _ZN7rocprim17ROCPRIM_400000_NS6detail17trampoline_kernelINS0_14default_configENS1_32segmented_reduce_config_selectorIN3c104HalfEEEZNS1_21segmented_reduce_implIS3_PKS6_PS6_PKiS6_N6hipcub16HIPCUB_304000_NS6detail27convert_result_type_wrapperISA_SB_N2at6native12_GLOBAL__N_19CustomMinEEEEE10hipError_tPvRmT0_T1_jT2_SS_T4_T3_P12ihipStream_tbEUlT_E_NS1_11comp_targetILNS1_3genE9ELNS1_11target_archE1100ELNS1_3gpuE3ELNS1_3repE0EEENS1_30default_config_static_selectorELNS0_4arch9wavefront6targetE1EEEvSR_.num_agpr, 0
	.set _ZN7rocprim17ROCPRIM_400000_NS6detail17trampoline_kernelINS0_14default_configENS1_32segmented_reduce_config_selectorIN3c104HalfEEEZNS1_21segmented_reduce_implIS3_PKS6_PS6_PKiS6_N6hipcub16HIPCUB_304000_NS6detail27convert_result_type_wrapperISA_SB_N2at6native12_GLOBAL__N_19CustomMinEEEEE10hipError_tPvRmT0_T1_jT2_SS_T4_T3_P12ihipStream_tbEUlT_E_NS1_11comp_targetILNS1_3genE9ELNS1_11target_archE1100ELNS1_3gpuE3ELNS1_3repE0EEENS1_30default_config_static_selectorELNS0_4arch9wavefront6targetE1EEEvSR_.numbered_sgpr, 0
	.set _ZN7rocprim17ROCPRIM_400000_NS6detail17trampoline_kernelINS0_14default_configENS1_32segmented_reduce_config_selectorIN3c104HalfEEEZNS1_21segmented_reduce_implIS3_PKS6_PS6_PKiS6_N6hipcub16HIPCUB_304000_NS6detail27convert_result_type_wrapperISA_SB_N2at6native12_GLOBAL__N_19CustomMinEEEEE10hipError_tPvRmT0_T1_jT2_SS_T4_T3_P12ihipStream_tbEUlT_E_NS1_11comp_targetILNS1_3genE9ELNS1_11target_archE1100ELNS1_3gpuE3ELNS1_3repE0EEENS1_30default_config_static_selectorELNS0_4arch9wavefront6targetE1EEEvSR_.num_named_barrier, 0
	.set _ZN7rocprim17ROCPRIM_400000_NS6detail17trampoline_kernelINS0_14default_configENS1_32segmented_reduce_config_selectorIN3c104HalfEEEZNS1_21segmented_reduce_implIS3_PKS6_PS6_PKiS6_N6hipcub16HIPCUB_304000_NS6detail27convert_result_type_wrapperISA_SB_N2at6native12_GLOBAL__N_19CustomMinEEEEE10hipError_tPvRmT0_T1_jT2_SS_T4_T3_P12ihipStream_tbEUlT_E_NS1_11comp_targetILNS1_3genE9ELNS1_11target_archE1100ELNS1_3gpuE3ELNS1_3repE0EEENS1_30default_config_static_selectorELNS0_4arch9wavefront6targetE1EEEvSR_.private_seg_size, 0
	.set _ZN7rocprim17ROCPRIM_400000_NS6detail17trampoline_kernelINS0_14default_configENS1_32segmented_reduce_config_selectorIN3c104HalfEEEZNS1_21segmented_reduce_implIS3_PKS6_PS6_PKiS6_N6hipcub16HIPCUB_304000_NS6detail27convert_result_type_wrapperISA_SB_N2at6native12_GLOBAL__N_19CustomMinEEEEE10hipError_tPvRmT0_T1_jT2_SS_T4_T3_P12ihipStream_tbEUlT_E_NS1_11comp_targetILNS1_3genE9ELNS1_11target_archE1100ELNS1_3gpuE3ELNS1_3repE0EEENS1_30default_config_static_selectorELNS0_4arch9wavefront6targetE1EEEvSR_.uses_vcc, 0
	.set _ZN7rocprim17ROCPRIM_400000_NS6detail17trampoline_kernelINS0_14default_configENS1_32segmented_reduce_config_selectorIN3c104HalfEEEZNS1_21segmented_reduce_implIS3_PKS6_PS6_PKiS6_N6hipcub16HIPCUB_304000_NS6detail27convert_result_type_wrapperISA_SB_N2at6native12_GLOBAL__N_19CustomMinEEEEE10hipError_tPvRmT0_T1_jT2_SS_T4_T3_P12ihipStream_tbEUlT_E_NS1_11comp_targetILNS1_3genE9ELNS1_11target_archE1100ELNS1_3gpuE3ELNS1_3repE0EEENS1_30default_config_static_selectorELNS0_4arch9wavefront6targetE1EEEvSR_.uses_flat_scratch, 0
	.set _ZN7rocprim17ROCPRIM_400000_NS6detail17trampoline_kernelINS0_14default_configENS1_32segmented_reduce_config_selectorIN3c104HalfEEEZNS1_21segmented_reduce_implIS3_PKS6_PS6_PKiS6_N6hipcub16HIPCUB_304000_NS6detail27convert_result_type_wrapperISA_SB_N2at6native12_GLOBAL__N_19CustomMinEEEEE10hipError_tPvRmT0_T1_jT2_SS_T4_T3_P12ihipStream_tbEUlT_E_NS1_11comp_targetILNS1_3genE9ELNS1_11target_archE1100ELNS1_3gpuE3ELNS1_3repE0EEENS1_30default_config_static_selectorELNS0_4arch9wavefront6targetE1EEEvSR_.has_dyn_sized_stack, 0
	.set _ZN7rocprim17ROCPRIM_400000_NS6detail17trampoline_kernelINS0_14default_configENS1_32segmented_reduce_config_selectorIN3c104HalfEEEZNS1_21segmented_reduce_implIS3_PKS6_PS6_PKiS6_N6hipcub16HIPCUB_304000_NS6detail27convert_result_type_wrapperISA_SB_N2at6native12_GLOBAL__N_19CustomMinEEEEE10hipError_tPvRmT0_T1_jT2_SS_T4_T3_P12ihipStream_tbEUlT_E_NS1_11comp_targetILNS1_3genE9ELNS1_11target_archE1100ELNS1_3gpuE3ELNS1_3repE0EEENS1_30default_config_static_selectorELNS0_4arch9wavefront6targetE1EEEvSR_.has_recursion, 0
	.set _ZN7rocprim17ROCPRIM_400000_NS6detail17trampoline_kernelINS0_14default_configENS1_32segmented_reduce_config_selectorIN3c104HalfEEEZNS1_21segmented_reduce_implIS3_PKS6_PS6_PKiS6_N6hipcub16HIPCUB_304000_NS6detail27convert_result_type_wrapperISA_SB_N2at6native12_GLOBAL__N_19CustomMinEEEEE10hipError_tPvRmT0_T1_jT2_SS_T4_T3_P12ihipStream_tbEUlT_E_NS1_11comp_targetILNS1_3genE9ELNS1_11target_archE1100ELNS1_3gpuE3ELNS1_3repE0EEENS1_30default_config_static_selectorELNS0_4arch9wavefront6targetE1EEEvSR_.has_indirect_call, 0
	.section	.AMDGPU.csdata,"",@progbits
; Kernel info:
; codeLenInByte = 0
; TotalNumSgprs: 4
; NumVgprs: 0
; ScratchSize: 0
; MemoryBound: 0
; FloatMode: 240
; IeeeMode: 1
; LDSByteSize: 0 bytes/workgroup (compile time only)
; SGPRBlocks: 0
; VGPRBlocks: 0
; NumSGPRsForWavesPerEU: 4
; NumVGPRsForWavesPerEU: 1
; Occupancy: 10
; WaveLimiterHint : 0
; COMPUTE_PGM_RSRC2:SCRATCH_EN: 0
; COMPUTE_PGM_RSRC2:USER_SGPR: 6
; COMPUTE_PGM_RSRC2:TRAP_HANDLER: 0
; COMPUTE_PGM_RSRC2:TGID_X_EN: 1
; COMPUTE_PGM_RSRC2:TGID_Y_EN: 0
; COMPUTE_PGM_RSRC2:TGID_Z_EN: 0
; COMPUTE_PGM_RSRC2:TIDIG_COMP_CNT: 0
	.section	.text._ZN7rocprim17ROCPRIM_400000_NS6detail17trampoline_kernelINS0_14default_configENS1_32segmented_reduce_config_selectorIN3c104HalfEEEZNS1_21segmented_reduce_implIS3_PKS6_PS6_PKiS6_N6hipcub16HIPCUB_304000_NS6detail27convert_result_type_wrapperISA_SB_N2at6native12_GLOBAL__N_19CustomMinEEEEE10hipError_tPvRmT0_T1_jT2_SS_T4_T3_P12ihipStream_tbEUlT_E_NS1_11comp_targetILNS1_3genE8ELNS1_11target_archE1030ELNS1_3gpuE2ELNS1_3repE0EEENS1_30default_config_static_selectorELNS0_4arch9wavefront6targetE1EEEvSR_,"axG",@progbits,_ZN7rocprim17ROCPRIM_400000_NS6detail17trampoline_kernelINS0_14default_configENS1_32segmented_reduce_config_selectorIN3c104HalfEEEZNS1_21segmented_reduce_implIS3_PKS6_PS6_PKiS6_N6hipcub16HIPCUB_304000_NS6detail27convert_result_type_wrapperISA_SB_N2at6native12_GLOBAL__N_19CustomMinEEEEE10hipError_tPvRmT0_T1_jT2_SS_T4_T3_P12ihipStream_tbEUlT_E_NS1_11comp_targetILNS1_3genE8ELNS1_11target_archE1030ELNS1_3gpuE2ELNS1_3repE0EEENS1_30default_config_static_selectorELNS0_4arch9wavefront6targetE1EEEvSR_,comdat
	.globl	_ZN7rocprim17ROCPRIM_400000_NS6detail17trampoline_kernelINS0_14default_configENS1_32segmented_reduce_config_selectorIN3c104HalfEEEZNS1_21segmented_reduce_implIS3_PKS6_PS6_PKiS6_N6hipcub16HIPCUB_304000_NS6detail27convert_result_type_wrapperISA_SB_N2at6native12_GLOBAL__N_19CustomMinEEEEE10hipError_tPvRmT0_T1_jT2_SS_T4_T3_P12ihipStream_tbEUlT_E_NS1_11comp_targetILNS1_3genE8ELNS1_11target_archE1030ELNS1_3gpuE2ELNS1_3repE0EEENS1_30default_config_static_selectorELNS0_4arch9wavefront6targetE1EEEvSR_ ; -- Begin function _ZN7rocprim17ROCPRIM_400000_NS6detail17trampoline_kernelINS0_14default_configENS1_32segmented_reduce_config_selectorIN3c104HalfEEEZNS1_21segmented_reduce_implIS3_PKS6_PS6_PKiS6_N6hipcub16HIPCUB_304000_NS6detail27convert_result_type_wrapperISA_SB_N2at6native12_GLOBAL__N_19CustomMinEEEEE10hipError_tPvRmT0_T1_jT2_SS_T4_T3_P12ihipStream_tbEUlT_E_NS1_11comp_targetILNS1_3genE8ELNS1_11target_archE1030ELNS1_3gpuE2ELNS1_3repE0EEENS1_30default_config_static_selectorELNS0_4arch9wavefront6targetE1EEEvSR_
	.p2align	8
	.type	_ZN7rocprim17ROCPRIM_400000_NS6detail17trampoline_kernelINS0_14default_configENS1_32segmented_reduce_config_selectorIN3c104HalfEEEZNS1_21segmented_reduce_implIS3_PKS6_PS6_PKiS6_N6hipcub16HIPCUB_304000_NS6detail27convert_result_type_wrapperISA_SB_N2at6native12_GLOBAL__N_19CustomMinEEEEE10hipError_tPvRmT0_T1_jT2_SS_T4_T3_P12ihipStream_tbEUlT_E_NS1_11comp_targetILNS1_3genE8ELNS1_11target_archE1030ELNS1_3gpuE2ELNS1_3repE0EEENS1_30default_config_static_selectorELNS0_4arch9wavefront6targetE1EEEvSR_,@function
_ZN7rocprim17ROCPRIM_400000_NS6detail17trampoline_kernelINS0_14default_configENS1_32segmented_reduce_config_selectorIN3c104HalfEEEZNS1_21segmented_reduce_implIS3_PKS6_PS6_PKiS6_N6hipcub16HIPCUB_304000_NS6detail27convert_result_type_wrapperISA_SB_N2at6native12_GLOBAL__N_19CustomMinEEEEE10hipError_tPvRmT0_T1_jT2_SS_T4_T3_P12ihipStream_tbEUlT_E_NS1_11comp_targetILNS1_3genE8ELNS1_11target_archE1030ELNS1_3gpuE2ELNS1_3repE0EEENS1_30default_config_static_selectorELNS0_4arch9wavefront6targetE1EEEvSR_: ; @_ZN7rocprim17ROCPRIM_400000_NS6detail17trampoline_kernelINS0_14default_configENS1_32segmented_reduce_config_selectorIN3c104HalfEEEZNS1_21segmented_reduce_implIS3_PKS6_PS6_PKiS6_N6hipcub16HIPCUB_304000_NS6detail27convert_result_type_wrapperISA_SB_N2at6native12_GLOBAL__N_19CustomMinEEEEE10hipError_tPvRmT0_T1_jT2_SS_T4_T3_P12ihipStream_tbEUlT_E_NS1_11comp_targetILNS1_3genE8ELNS1_11target_archE1030ELNS1_3gpuE2ELNS1_3repE0EEENS1_30default_config_static_selectorELNS0_4arch9wavefront6targetE1EEEvSR_
; %bb.0:
	.section	.rodata,"a",@progbits
	.p2align	6, 0x0
	.amdhsa_kernel _ZN7rocprim17ROCPRIM_400000_NS6detail17trampoline_kernelINS0_14default_configENS1_32segmented_reduce_config_selectorIN3c104HalfEEEZNS1_21segmented_reduce_implIS3_PKS6_PS6_PKiS6_N6hipcub16HIPCUB_304000_NS6detail27convert_result_type_wrapperISA_SB_N2at6native12_GLOBAL__N_19CustomMinEEEEE10hipError_tPvRmT0_T1_jT2_SS_T4_T3_P12ihipStream_tbEUlT_E_NS1_11comp_targetILNS1_3genE8ELNS1_11target_archE1030ELNS1_3gpuE2ELNS1_3repE0EEENS1_30default_config_static_selectorELNS0_4arch9wavefront6targetE1EEEvSR_
		.amdhsa_group_segment_fixed_size 0
		.amdhsa_private_segment_fixed_size 0
		.amdhsa_kernarg_size 48
		.amdhsa_user_sgpr_count 6
		.amdhsa_user_sgpr_private_segment_buffer 1
		.amdhsa_user_sgpr_dispatch_ptr 0
		.amdhsa_user_sgpr_queue_ptr 0
		.amdhsa_user_sgpr_kernarg_segment_ptr 1
		.amdhsa_user_sgpr_dispatch_id 0
		.amdhsa_user_sgpr_flat_scratch_init 0
		.amdhsa_user_sgpr_private_segment_size 0
		.amdhsa_uses_dynamic_stack 0
		.amdhsa_system_sgpr_private_segment_wavefront_offset 0
		.amdhsa_system_sgpr_workgroup_id_x 1
		.amdhsa_system_sgpr_workgroup_id_y 0
		.amdhsa_system_sgpr_workgroup_id_z 0
		.amdhsa_system_sgpr_workgroup_info 0
		.amdhsa_system_vgpr_workitem_id 0
		.amdhsa_next_free_vgpr 1
		.amdhsa_next_free_sgpr 0
		.amdhsa_reserve_vcc 0
		.amdhsa_reserve_flat_scratch 0
		.amdhsa_float_round_mode_32 0
		.amdhsa_float_round_mode_16_64 0
		.amdhsa_float_denorm_mode_32 3
		.amdhsa_float_denorm_mode_16_64 3
		.amdhsa_dx10_clamp 1
		.amdhsa_ieee_mode 1
		.amdhsa_fp16_overflow 0
		.amdhsa_exception_fp_ieee_invalid_op 0
		.amdhsa_exception_fp_denorm_src 0
		.amdhsa_exception_fp_ieee_div_zero 0
		.amdhsa_exception_fp_ieee_overflow 0
		.amdhsa_exception_fp_ieee_underflow 0
		.amdhsa_exception_fp_ieee_inexact 0
		.amdhsa_exception_int_div_zero 0
	.end_amdhsa_kernel
	.section	.text._ZN7rocprim17ROCPRIM_400000_NS6detail17trampoline_kernelINS0_14default_configENS1_32segmented_reduce_config_selectorIN3c104HalfEEEZNS1_21segmented_reduce_implIS3_PKS6_PS6_PKiS6_N6hipcub16HIPCUB_304000_NS6detail27convert_result_type_wrapperISA_SB_N2at6native12_GLOBAL__N_19CustomMinEEEEE10hipError_tPvRmT0_T1_jT2_SS_T4_T3_P12ihipStream_tbEUlT_E_NS1_11comp_targetILNS1_3genE8ELNS1_11target_archE1030ELNS1_3gpuE2ELNS1_3repE0EEENS1_30default_config_static_selectorELNS0_4arch9wavefront6targetE1EEEvSR_,"axG",@progbits,_ZN7rocprim17ROCPRIM_400000_NS6detail17trampoline_kernelINS0_14default_configENS1_32segmented_reduce_config_selectorIN3c104HalfEEEZNS1_21segmented_reduce_implIS3_PKS6_PS6_PKiS6_N6hipcub16HIPCUB_304000_NS6detail27convert_result_type_wrapperISA_SB_N2at6native12_GLOBAL__N_19CustomMinEEEEE10hipError_tPvRmT0_T1_jT2_SS_T4_T3_P12ihipStream_tbEUlT_E_NS1_11comp_targetILNS1_3genE8ELNS1_11target_archE1030ELNS1_3gpuE2ELNS1_3repE0EEENS1_30default_config_static_selectorELNS0_4arch9wavefront6targetE1EEEvSR_,comdat
.Lfunc_end101:
	.size	_ZN7rocprim17ROCPRIM_400000_NS6detail17trampoline_kernelINS0_14default_configENS1_32segmented_reduce_config_selectorIN3c104HalfEEEZNS1_21segmented_reduce_implIS3_PKS6_PS6_PKiS6_N6hipcub16HIPCUB_304000_NS6detail27convert_result_type_wrapperISA_SB_N2at6native12_GLOBAL__N_19CustomMinEEEEE10hipError_tPvRmT0_T1_jT2_SS_T4_T3_P12ihipStream_tbEUlT_E_NS1_11comp_targetILNS1_3genE8ELNS1_11target_archE1030ELNS1_3gpuE2ELNS1_3repE0EEENS1_30default_config_static_selectorELNS0_4arch9wavefront6targetE1EEEvSR_, .Lfunc_end101-_ZN7rocprim17ROCPRIM_400000_NS6detail17trampoline_kernelINS0_14default_configENS1_32segmented_reduce_config_selectorIN3c104HalfEEEZNS1_21segmented_reduce_implIS3_PKS6_PS6_PKiS6_N6hipcub16HIPCUB_304000_NS6detail27convert_result_type_wrapperISA_SB_N2at6native12_GLOBAL__N_19CustomMinEEEEE10hipError_tPvRmT0_T1_jT2_SS_T4_T3_P12ihipStream_tbEUlT_E_NS1_11comp_targetILNS1_3genE8ELNS1_11target_archE1030ELNS1_3gpuE2ELNS1_3repE0EEENS1_30default_config_static_selectorELNS0_4arch9wavefront6targetE1EEEvSR_
                                        ; -- End function
	.set _ZN7rocprim17ROCPRIM_400000_NS6detail17trampoline_kernelINS0_14default_configENS1_32segmented_reduce_config_selectorIN3c104HalfEEEZNS1_21segmented_reduce_implIS3_PKS6_PS6_PKiS6_N6hipcub16HIPCUB_304000_NS6detail27convert_result_type_wrapperISA_SB_N2at6native12_GLOBAL__N_19CustomMinEEEEE10hipError_tPvRmT0_T1_jT2_SS_T4_T3_P12ihipStream_tbEUlT_E_NS1_11comp_targetILNS1_3genE8ELNS1_11target_archE1030ELNS1_3gpuE2ELNS1_3repE0EEENS1_30default_config_static_selectorELNS0_4arch9wavefront6targetE1EEEvSR_.num_vgpr, 0
	.set _ZN7rocprim17ROCPRIM_400000_NS6detail17trampoline_kernelINS0_14default_configENS1_32segmented_reduce_config_selectorIN3c104HalfEEEZNS1_21segmented_reduce_implIS3_PKS6_PS6_PKiS6_N6hipcub16HIPCUB_304000_NS6detail27convert_result_type_wrapperISA_SB_N2at6native12_GLOBAL__N_19CustomMinEEEEE10hipError_tPvRmT0_T1_jT2_SS_T4_T3_P12ihipStream_tbEUlT_E_NS1_11comp_targetILNS1_3genE8ELNS1_11target_archE1030ELNS1_3gpuE2ELNS1_3repE0EEENS1_30default_config_static_selectorELNS0_4arch9wavefront6targetE1EEEvSR_.num_agpr, 0
	.set _ZN7rocprim17ROCPRIM_400000_NS6detail17trampoline_kernelINS0_14default_configENS1_32segmented_reduce_config_selectorIN3c104HalfEEEZNS1_21segmented_reduce_implIS3_PKS6_PS6_PKiS6_N6hipcub16HIPCUB_304000_NS6detail27convert_result_type_wrapperISA_SB_N2at6native12_GLOBAL__N_19CustomMinEEEEE10hipError_tPvRmT0_T1_jT2_SS_T4_T3_P12ihipStream_tbEUlT_E_NS1_11comp_targetILNS1_3genE8ELNS1_11target_archE1030ELNS1_3gpuE2ELNS1_3repE0EEENS1_30default_config_static_selectorELNS0_4arch9wavefront6targetE1EEEvSR_.numbered_sgpr, 0
	.set _ZN7rocprim17ROCPRIM_400000_NS6detail17trampoline_kernelINS0_14default_configENS1_32segmented_reduce_config_selectorIN3c104HalfEEEZNS1_21segmented_reduce_implIS3_PKS6_PS6_PKiS6_N6hipcub16HIPCUB_304000_NS6detail27convert_result_type_wrapperISA_SB_N2at6native12_GLOBAL__N_19CustomMinEEEEE10hipError_tPvRmT0_T1_jT2_SS_T4_T3_P12ihipStream_tbEUlT_E_NS1_11comp_targetILNS1_3genE8ELNS1_11target_archE1030ELNS1_3gpuE2ELNS1_3repE0EEENS1_30default_config_static_selectorELNS0_4arch9wavefront6targetE1EEEvSR_.num_named_barrier, 0
	.set _ZN7rocprim17ROCPRIM_400000_NS6detail17trampoline_kernelINS0_14default_configENS1_32segmented_reduce_config_selectorIN3c104HalfEEEZNS1_21segmented_reduce_implIS3_PKS6_PS6_PKiS6_N6hipcub16HIPCUB_304000_NS6detail27convert_result_type_wrapperISA_SB_N2at6native12_GLOBAL__N_19CustomMinEEEEE10hipError_tPvRmT0_T1_jT2_SS_T4_T3_P12ihipStream_tbEUlT_E_NS1_11comp_targetILNS1_3genE8ELNS1_11target_archE1030ELNS1_3gpuE2ELNS1_3repE0EEENS1_30default_config_static_selectorELNS0_4arch9wavefront6targetE1EEEvSR_.private_seg_size, 0
	.set _ZN7rocprim17ROCPRIM_400000_NS6detail17trampoline_kernelINS0_14default_configENS1_32segmented_reduce_config_selectorIN3c104HalfEEEZNS1_21segmented_reduce_implIS3_PKS6_PS6_PKiS6_N6hipcub16HIPCUB_304000_NS6detail27convert_result_type_wrapperISA_SB_N2at6native12_GLOBAL__N_19CustomMinEEEEE10hipError_tPvRmT0_T1_jT2_SS_T4_T3_P12ihipStream_tbEUlT_E_NS1_11comp_targetILNS1_3genE8ELNS1_11target_archE1030ELNS1_3gpuE2ELNS1_3repE0EEENS1_30default_config_static_selectorELNS0_4arch9wavefront6targetE1EEEvSR_.uses_vcc, 0
	.set _ZN7rocprim17ROCPRIM_400000_NS6detail17trampoline_kernelINS0_14default_configENS1_32segmented_reduce_config_selectorIN3c104HalfEEEZNS1_21segmented_reduce_implIS3_PKS6_PS6_PKiS6_N6hipcub16HIPCUB_304000_NS6detail27convert_result_type_wrapperISA_SB_N2at6native12_GLOBAL__N_19CustomMinEEEEE10hipError_tPvRmT0_T1_jT2_SS_T4_T3_P12ihipStream_tbEUlT_E_NS1_11comp_targetILNS1_3genE8ELNS1_11target_archE1030ELNS1_3gpuE2ELNS1_3repE0EEENS1_30default_config_static_selectorELNS0_4arch9wavefront6targetE1EEEvSR_.uses_flat_scratch, 0
	.set _ZN7rocprim17ROCPRIM_400000_NS6detail17trampoline_kernelINS0_14default_configENS1_32segmented_reduce_config_selectorIN3c104HalfEEEZNS1_21segmented_reduce_implIS3_PKS6_PS6_PKiS6_N6hipcub16HIPCUB_304000_NS6detail27convert_result_type_wrapperISA_SB_N2at6native12_GLOBAL__N_19CustomMinEEEEE10hipError_tPvRmT0_T1_jT2_SS_T4_T3_P12ihipStream_tbEUlT_E_NS1_11comp_targetILNS1_3genE8ELNS1_11target_archE1030ELNS1_3gpuE2ELNS1_3repE0EEENS1_30default_config_static_selectorELNS0_4arch9wavefront6targetE1EEEvSR_.has_dyn_sized_stack, 0
	.set _ZN7rocprim17ROCPRIM_400000_NS6detail17trampoline_kernelINS0_14default_configENS1_32segmented_reduce_config_selectorIN3c104HalfEEEZNS1_21segmented_reduce_implIS3_PKS6_PS6_PKiS6_N6hipcub16HIPCUB_304000_NS6detail27convert_result_type_wrapperISA_SB_N2at6native12_GLOBAL__N_19CustomMinEEEEE10hipError_tPvRmT0_T1_jT2_SS_T4_T3_P12ihipStream_tbEUlT_E_NS1_11comp_targetILNS1_3genE8ELNS1_11target_archE1030ELNS1_3gpuE2ELNS1_3repE0EEENS1_30default_config_static_selectorELNS0_4arch9wavefront6targetE1EEEvSR_.has_recursion, 0
	.set _ZN7rocprim17ROCPRIM_400000_NS6detail17trampoline_kernelINS0_14default_configENS1_32segmented_reduce_config_selectorIN3c104HalfEEEZNS1_21segmented_reduce_implIS3_PKS6_PS6_PKiS6_N6hipcub16HIPCUB_304000_NS6detail27convert_result_type_wrapperISA_SB_N2at6native12_GLOBAL__N_19CustomMinEEEEE10hipError_tPvRmT0_T1_jT2_SS_T4_T3_P12ihipStream_tbEUlT_E_NS1_11comp_targetILNS1_3genE8ELNS1_11target_archE1030ELNS1_3gpuE2ELNS1_3repE0EEENS1_30default_config_static_selectorELNS0_4arch9wavefront6targetE1EEEvSR_.has_indirect_call, 0
	.section	.AMDGPU.csdata,"",@progbits
; Kernel info:
; codeLenInByte = 0
; TotalNumSgprs: 4
; NumVgprs: 0
; ScratchSize: 0
; MemoryBound: 0
; FloatMode: 240
; IeeeMode: 1
; LDSByteSize: 0 bytes/workgroup (compile time only)
; SGPRBlocks: 0
; VGPRBlocks: 0
; NumSGPRsForWavesPerEU: 4
; NumVGPRsForWavesPerEU: 1
; Occupancy: 10
; WaveLimiterHint : 0
; COMPUTE_PGM_RSRC2:SCRATCH_EN: 0
; COMPUTE_PGM_RSRC2:USER_SGPR: 6
; COMPUTE_PGM_RSRC2:TRAP_HANDLER: 0
; COMPUTE_PGM_RSRC2:TGID_X_EN: 1
; COMPUTE_PGM_RSRC2:TGID_Y_EN: 0
; COMPUTE_PGM_RSRC2:TGID_Z_EN: 0
; COMPUTE_PGM_RSRC2:TIDIG_COMP_CNT: 0
	.section	.text._ZN7rocprim17ROCPRIM_400000_NS6detail17trampoline_kernelINS0_14default_configENS1_32segmented_reduce_config_selectorIN3c104HalfEEEZNS1_21segmented_reduce_implIS3_PKS6_PS6_PKiS6_N6hipcub16HIPCUB_304000_NS6detail27convert_result_type_wrapperISA_SB_N2at6native12_GLOBAL__N_110CustomProdEEEEE10hipError_tPvRmT0_T1_jT2_SS_T4_T3_P12ihipStream_tbEUlT_E_NS1_11comp_targetILNS1_3genE0ELNS1_11target_archE4294967295ELNS1_3gpuE0ELNS1_3repE0EEENS1_30default_config_static_selectorELNS0_4arch9wavefront6targetE1EEEvSR_,"axG",@progbits,_ZN7rocprim17ROCPRIM_400000_NS6detail17trampoline_kernelINS0_14default_configENS1_32segmented_reduce_config_selectorIN3c104HalfEEEZNS1_21segmented_reduce_implIS3_PKS6_PS6_PKiS6_N6hipcub16HIPCUB_304000_NS6detail27convert_result_type_wrapperISA_SB_N2at6native12_GLOBAL__N_110CustomProdEEEEE10hipError_tPvRmT0_T1_jT2_SS_T4_T3_P12ihipStream_tbEUlT_E_NS1_11comp_targetILNS1_3genE0ELNS1_11target_archE4294967295ELNS1_3gpuE0ELNS1_3repE0EEENS1_30default_config_static_selectorELNS0_4arch9wavefront6targetE1EEEvSR_,comdat
	.globl	_ZN7rocprim17ROCPRIM_400000_NS6detail17trampoline_kernelINS0_14default_configENS1_32segmented_reduce_config_selectorIN3c104HalfEEEZNS1_21segmented_reduce_implIS3_PKS6_PS6_PKiS6_N6hipcub16HIPCUB_304000_NS6detail27convert_result_type_wrapperISA_SB_N2at6native12_GLOBAL__N_110CustomProdEEEEE10hipError_tPvRmT0_T1_jT2_SS_T4_T3_P12ihipStream_tbEUlT_E_NS1_11comp_targetILNS1_3genE0ELNS1_11target_archE4294967295ELNS1_3gpuE0ELNS1_3repE0EEENS1_30default_config_static_selectorELNS0_4arch9wavefront6targetE1EEEvSR_ ; -- Begin function _ZN7rocprim17ROCPRIM_400000_NS6detail17trampoline_kernelINS0_14default_configENS1_32segmented_reduce_config_selectorIN3c104HalfEEEZNS1_21segmented_reduce_implIS3_PKS6_PS6_PKiS6_N6hipcub16HIPCUB_304000_NS6detail27convert_result_type_wrapperISA_SB_N2at6native12_GLOBAL__N_110CustomProdEEEEE10hipError_tPvRmT0_T1_jT2_SS_T4_T3_P12ihipStream_tbEUlT_E_NS1_11comp_targetILNS1_3genE0ELNS1_11target_archE4294967295ELNS1_3gpuE0ELNS1_3repE0EEENS1_30default_config_static_selectorELNS0_4arch9wavefront6targetE1EEEvSR_
	.p2align	8
	.type	_ZN7rocprim17ROCPRIM_400000_NS6detail17trampoline_kernelINS0_14default_configENS1_32segmented_reduce_config_selectorIN3c104HalfEEEZNS1_21segmented_reduce_implIS3_PKS6_PS6_PKiS6_N6hipcub16HIPCUB_304000_NS6detail27convert_result_type_wrapperISA_SB_N2at6native12_GLOBAL__N_110CustomProdEEEEE10hipError_tPvRmT0_T1_jT2_SS_T4_T3_P12ihipStream_tbEUlT_E_NS1_11comp_targetILNS1_3genE0ELNS1_11target_archE4294967295ELNS1_3gpuE0ELNS1_3repE0EEENS1_30default_config_static_selectorELNS0_4arch9wavefront6targetE1EEEvSR_,@function
_ZN7rocprim17ROCPRIM_400000_NS6detail17trampoline_kernelINS0_14default_configENS1_32segmented_reduce_config_selectorIN3c104HalfEEEZNS1_21segmented_reduce_implIS3_PKS6_PS6_PKiS6_N6hipcub16HIPCUB_304000_NS6detail27convert_result_type_wrapperISA_SB_N2at6native12_GLOBAL__N_110CustomProdEEEEE10hipError_tPvRmT0_T1_jT2_SS_T4_T3_P12ihipStream_tbEUlT_E_NS1_11comp_targetILNS1_3genE0ELNS1_11target_archE4294967295ELNS1_3gpuE0ELNS1_3repE0EEENS1_30default_config_static_selectorELNS0_4arch9wavefront6targetE1EEEvSR_: ; @_ZN7rocprim17ROCPRIM_400000_NS6detail17trampoline_kernelINS0_14default_configENS1_32segmented_reduce_config_selectorIN3c104HalfEEEZNS1_21segmented_reduce_implIS3_PKS6_PS6_PKiS6_N6hipcub16HIPCUB_304000_NS6detail27convert_result_type_wrapperISA_SB_N2at6native12_GLOBAL__N_110CustomProdEEEEE10hipError_tPvRmT0_T1_jT2_SS_T4_T3_P12ihipStream_tbEUlT_E_NS1_11comp_targetILNS1_3genE0ELNS1_11target_archE4294967295ELNS1_3gpuE0ELNS1_3repE0EEENS1_30default_config_static_selectorELNS0_4arch9wavefront6targetE1EEEvSR_
; %bb.0:
	.section	.rodata,"a",@progbits
	.p2align	6, 0x0
	.amdhsa_kernel _ZN7rocprim17ROCPRIM_400000_NS6detail17trampoline_kernelINS0_14default_configENS1_32segmented_reduce_config_selectorIN3c104HalfEEEZNS1_21segmented_reduce_implIS3_PKS6_PS6_PKiS6_N6hipcub16HIPCUB_304000_NS6detail27convert_result_type_wrapperISA_SB_N2at6native12_GLOBAL__N_110CustomProdEEEEE10hipError_tPvRmT0_T1_jT2_SS_T4_T3_P12ihipStream_tbEUlT_E_NS1_11comp_targetILNS1_3genE0ELNS1_11target_archE4294967295ELNS1_3gpuE0ELNS1_3repE0EEENS1_30default_config_static_selectorELNS0_4arch9wavefront6targetE1EEEvSR_
		.amdhsa_group_segment_fixed_size 0
		.amdhsa_private_segment_fixed_size 0
		.amdhsa_kernarg_size 48
		.amdhsa_user_sgpr_count 6
		.amdhsa_user_sgpr_private_segment_buffer 1
		.amdhsa_user_sgpr_dispatch_ptr 0
		.amdhsa_user_sgpr_queue_ptr 0
		.amdhsa_user_sgpr_kernarg_segment_ptr 1
		.amdhsa_user_sgpr_dispatch_id 0
		.amdhsa_user_sgpr_flat_scratch_init 0
		.amdhsa_user_sgpr_private_segment_size 0
		.amdhsa_uses_dynamic_stack 0
		.amdhsa_system_sgpr_private_segment_wavefront_offset 0
		.amdhsa_system_sgpr_workgroup_id_x 1
		.amdhsa_system_sgpr_workgroup_id_y 0
		.amdhsa_system_sgpr_workgroup_id_z 0
		.amdhsa_system_sgpr_workgroup_info 0
		.amdhsa_system_vgpr_workitem_id 0
		.amdhsa_next_free_vgpr 1
		.amdhsa_next_free_sgpr 0
		.amdhsa_reserve_vcc 0
		.amdhsa_reserve_flat_scratch 0
		.amdhsa_float_round_mode_32 0
		.amdhsa_float_round_mode_16_64 0
		.amdhsa_float_denorm_mode_32 3
		.amdhsa_float_denorm_mode_16_64 3
		.amdhsa_dx10_clamp 1
		.amdhsa_ieee_mode 1
		.amdhsa_fp16_overflow 0
		.amdhsa_exception_fp_ieee_invalid_op 0
		.amdhsa_exception_fp_denorm_src 0
		.amdhsa_exception_fp_ieee_div_zero 0
		.amdhsa_exception_fp_ieee_overflow 0
		.amdhsa_exception_fp_ieee_underflow 0
		.amdhsa_exception_fp_ieee_inexact 0
		.amdhsa_exception_int_div_zero 0
	.end_amdhsa_kernel
	.section	.text._ZN7rocprim17ROCPRIM_400000_NS6detail17trampoline_kernelINS0_14default_configENS1_32segmented_reduce_config_selectorIN3c104HalfEEEZNS1_21segmented_reduce_implIS3_PKS6_PS6_PKiS6_N6hipcub16HIPCUB_304000_NS6detail27convert_result_type_wrapperISA_SB_N2at6native12_GLOBAL__N_110CustomProdEEEEE10hipError_tPvRmT0_T1_jT2_SS_T4_T3_P12ihipStream_tbEUlT_E_NS1_11comp_targetILNS1_3genE0ELNS1_11target_archE4294967295ELNS1_3gpuE0ELNS1_3repE0EEENS1_30default_config_static_selectorELNS0_4arch9wavefront6targetE1EEEvSR_,"axG",@progbits,_ZN7rocprim17ROCPRIM_400000_NS6detail17trampoline_kernelINS0_14default_configENS1_32segmented_reduce_config_selectorIN3c104HalfEEEZNS1_21segmented_reduce_implIS3_PKS6_PS6_PKiS6_N6hipcub16HIPCUB_304000_NS6detail27convert_result_type_wrapperISA_SB_N2at6native12_GLOBAL__N_110CustomProdEEEEE10hipError_tPvRmT0_T1_jT2_SS_T4_T3_P12ihipStream_tbEUlT_E_NS1_11comp_targetILNS1_3genE0ELNS1_11target_archE4294967295ELNS1_3gpuE0ELNS1_3repE0EEENS1_30default_config_static_selectorELNS0_4arch9wavefront6targetE1EEEvSR_,comdat
.Lfunc_end102:
	.size	_ZN7rocprim17ROCPRIM_400000_NS6detail17trampoline_kernelINS0_14default_configENS1_32segmented_reduce_config_selectorIN3c104HalfEEEZNS1_21segmented_reduce_implIS3_PKS6_PS6_PKiS6_N6hipcub16HIPCUB_304000_NS6detail27convert_result_type_wrapperISA_SB_N2at6native12_GLOBAL__N_110CustomProdEEEEE10hipError_tPvRmT0_T1_jT2_SS_T4_T3_P12ihipStream_tbEUlT_E_NS1_11comp_targetILNS1_3genE0ELNS1_11target_archE4294967295ELNS1_3gpuE0ELNS1_3repE0EEENS1_30default_config_static_selectorELNS0_4arch9wavefront6targetE1EEEvSR_, .Lfunc_end102-_ZN7rocprim17ROCPRIM_400000_NS6detail17trampoline_kernelINS0_14default_configENS1_32segmented_reduce_config_selectorIN3c104HalfEEEZNS1_21segmented_reduce_implIS3_PKS6_PS6_PKiS6_N6hipcub16HIPCUB_304000_NS6detail27convert_result_type_wrapperISA_SB_N2at6native12_GLOBAL__N_110CustomProdEEEEE10hipError_tPvRmT0_T1_jT2_SS_T4_T3_P12ihipStream_tbEUlT_E_NS1_11comp_targetILNS1_3genE0ELNS1_11target_archE4294967295ELNS1_3gpuE0ELNS1_3repE0EEENS1_30default_config_static_selectorELNS0_4arch9wavefront6targetE1EEEvSR_
                                        ; -- End function
	.set _ZN7rocprim17ROCPRIM_400000_NS6detail17trampoline_kernelINS0_14default_configENS1_32segmented_reduce_config_selectorIN3c104HalfEEEZNS1_21segmented_reduce_implIS3_PKS6_PS6_PKiS6_N6hipcub16HIPCUB_304000_NS6detail27convert_result_type_wrapperISA_SB_N2at6native12_GLOBAL__N_110CustomProdEEEEE10hipError_tPvRmT0_T1_jT2_SS_T4_T3_P12ihipStream_tbEUlT_E_NS1_11comp_targetILNS1_3genE0ELNS1_11target_archE4294967295ELNS1_3gpuE0ELNS1_3repE0EEENS1_30default_config_static_selectorELNS0_4arch9wavefront6targetE1EEEvSR_.num_vgpr, 0
	.set _ZN7rocprim17ROCPRIM_400000_NS6detail17trampoline_kernelINS0_14default_configENS1_32segmented_reduce_config_selectorIN3c104HalfEEEZNS1_21segmented_reduce_implIS3_PKS6_PS6_PKiS6_N6hipcub16HIPCUB_304000_NS6detail27convert_result_type_wrapperISA_SB_N2at6native12_GLOBAL__N_110CustomProdEEEEE10hipError_tPvRmT0_T1_jT2_SS_T4_T3_P12ihipStream_tbEUlT_E_NS1_11comp_targetILNS1_3genE0ELNS1_11target_archE4294967295ELNS1_3gpuE0ELNS1_3repE0EEENS1_30default_config_static_selectorELNS0_4arch9wavefront6targetE1EEEvSR_.num_agpr, 0
	.set _ZN7rocprim17ROCPRIM_400000_NS6detail17trampoline_kernelINS0_14default_configENS1_32segmented_reduce_config_selectorIN3c104HalfEEEZNS1_21segmented_reduce_implIS3_PKS6_PS6_PKiS6_N6hipcub16HIPCUB_304000_NS6detail27convert_result_type_wrapperISA_SB_N2at6native12_GLOBAL__N_110CustomProdEEEEE10hipError_tPvRmT0_T1_jT2_SS_T4_T3_P12ihipStream_tbEUlT_E_NS1_11comp_targetILNS1_3genE0ELNS1_11target_archE4294967295ELNS1_3gpuE0ELNS1_3repE0EEENS1_30default_config_static_selectorELNS0_4arch9wavefront6targetE1EEEvSR_.numbered_sgpr, 0
	.set _ZN7rocprim17ROCPRIM_400000_NS6detail17trampoline_kernelINS0_14default_configENS1_32segmented_reduce_config_selectorIN3c104HalfEEEZNS1_21segmented_reduce_implIS3_PKS6_PS6_PKiS6_N6hipcub16HIPCUB_304000_NS6detail27convert_result_type_wrapperISA_SB_N2at6native12_GLOBAL__N_110CustomProdEEEEE10hipError_tPvRmT0_T1_jT2_SS_T4_T3_P12ihipStream_tbEUlT_E_NS1_11comp_targetILNS1_3genE0ELNS1_11target_archE4294967295ELNS1_3gpuE0ELNS1_3repE0EEENS1_30default_config_static_selectorELNS0_4arch9wavefront6targetE1EEEvSR_.num_named_barrier, 0
	.set _ZN7rocprim17ROCPRIM_400000_NS6detail17trampoline_kernelINS0_14default_configENS1_32segmented_reduce_config_selectorIN3c104HalfEEEZNS1_21segmented_reduce_implIS3_PKS6_PS6_PKiS6_N6hipcub16HIPCUB_304000_NS6detail27convert_result_type_wrapperISA_SB_N2at6native12_GLOBAL__N_110CustomProdEEEEE10hipError_tPvRmT0_T1_jT2_SS_T4_T3_P12ihipStream_tbEUlT_E_NS1_11comp_targetILNS1_3genE0ELNS1_11target_archE4294967295ELNS1_3gpuE0ELNS1_3repE0EEENS1_30default_config_static_selectorELNS0_4arch9wavefront6targetE1EEEvSR_.private_seg_size, 0
	.set _ZN7rocprim17ROCPRIM_400000_NS6detail17trampoline_kernelINS0_14default_configENS1_32segmented_reduce_config_selectorIN3c104HalfEEEZNS1_21segmented_reduce_implIS3_PKS6_PS6_PKiS6_N6hipcub16HIPCUB_304000_NS6detail27convert_result_type_wrapperISA_SB_N2at6native12_GLOBAL__N_110CustomProdEEEEE10hipError_tPvRmT0_T1_jT2_SS_T4_T3_P12ihipStream_tbEUlT_E_NS1_11comp_targetILNS1_3genE0ELNS1_11target_archE4294967295ELNS1_3gpuE0ELNS1_3repE0EEENS1_30default_config_static_selectorELNS0_4arch9wavefront6targetE1EEEvSR_.uses_vcc, 0
	.set _ZN7rocprim17ROCPRIM_400000_NS6detail17trampoline_kernelINS0_14default_configENS1_32segmented_reduce_config_selectorIN3c104HalfEEEZNS1_21segmented_reduce_implIS3_PKS6_PS6_PKiS6_N6hipcub16HIPCUB_304000_NS6detail27convert_result_type_wrapperISA_SB_N2at6native12_GLOBAL__N_110CustomProdEEEEE10hipError_tPvRmT0_T1_jT2_SS_T4_T3_P12ihipStream_tbEUlT_E_NS1_11comp_targetILNS1_3genE0ELNS1_11target_archE4294967295ELNS1_3gpuE0ELNS1_3repE0EEENS1_30default_config_static_selectorELNS0_4arch9wavefront6targetE1EEEvSR_.uses_flat_scratch, 0
	.set _ZN7rocprim17ROCPRIM_400000_NS6detail17trampoline_kernelINS0_14default_configENS1_32segmented_reduce_config_selectorIN3c104HalfEEEZNS1_21segmented_reduce_implIS3_PKS6_PS6_PKiS6_N6hipcub16HIPCUB_304000_NS6detail27convert_result_type_wrapperISA_SB_N2at6native12_GLOBAL__N_110CustomProdEEEEE10hipError_tPvRmT0_T1_jT2_SS_T4_T3_P12ihipStream_tbEUlT_E_NS1_11comp_targetILNS1_3genE0ELNS1_11target_archE4294967295ELNS1_3gpuE0ELNS1_3repE0EEENS1_30default_config_static_selectorELNS0_4arch9wavefront6targetE1EEEvSR_.has_dyn_sized_stack, 0
	.set _ZN7rocprim17ROCPRIM_400000_NS6detail17trampoline_kernelINS0_14default_configENS1_32segmented_reduce_config_selectorIN3c104HalfEEEZNS1_21segmented_reduce_implIS3_PKS6_PS6_PKiS6_N6hipcub16HIPCUB_304000_NS6detail27convert_result_type_wrapperISA_SB_N2at6native12_GLOBAL__N_110CustomProdEEEEE10hipError_tPvRmT0_T1_jT2_SS_T4_T3_P12ihipStream_tbEUlT_E_NS1_11comp_targetILNS1_3genE0ELNS1_11target_archE4294967295ELNS1_3gpuE0ELNS1_3repE0EEENS1_30default_config_static_selectorELNS0_4arch9wavefront6targetE1EEEvSR_.has_recursion, 0
	.set _ZN7rocprim17ROCPRIM_400000_NS6detail17trampoline_kernelINS0_14default_configENS1_32segmented_reduce_config_selectorIN3c104HalfEEEZNS1_21segmented_reduce_implIS3_PKS6_PS6_PKiS6_N6hipcub16HIPCUB_304000_NS6detail27convert_result_type_wrapperISA_SB_N2at6native12_GLOBAL__N_110CustomProdEEEEE10hipError_tPvRmT0_T1_jT2_SS_T4_T3_P12ihipStream_tbEUlT_E_NS1_11comp_targetILNS1_3genE0ELNS1_11target_archE4294967295ELNS1_3gpuE0ELNS1_3repE0EEENS1_30default_config_static_selectorELNS0_4arch9wavefront6targetE1EEEvSR_.has_indirect_call, 0
	.section	.AMDGPU.csdata,"",@progbits
; Kernel info:
; codeLenInByte = 0
; TotalNumSgprs: 4
; NumVgprs: 0
; ScratchSize: 0
; MemoryBound: 0
; FloatMode: 240
; IeeeMode: 1
; LDSByteSize: 0 bytes/workgroup (compile time only)
; SGPRBlocks: 0
; VGPRBlocks: 0
; NumSGPRsForWavesPerEU: 4
; NumVGPRsForWavesPerEU: 1
; Occupancy: 10
; WaveLimiterHint : 0
; COMPUTE_PGM_RSRC2:SCRATCH_EN: 0
; COMPUTE_PGM_RSRC2:USER_SGPR: 6
; COMPUTE_PGM_RSRC2:TRAP_HANDLER: 0
; COMPUTE_PGM_RSRC2:TGID_X_EN: 1
; COMPUTE_PGM_RSRC2:TGID_Y_EN: 0
; COMPUTE_PGM_RSRC2:TGID_Z_EN: 0
; COMPUTE_PGM_RSRC2:TIDIG_COMP_CNT: 0
	.section	.text._ZN7rocprim17ROCPRIM_400000_NS6detail17trampoline_kernelINS0_14default_configENS1_32segmented_reduce_config_selectorIN3c104HalfEEEZNS1_21segmented_reduce_implIS3_PKS6_PS6_PKiS6_N6hipcub16HIPCUB_304000_NS6detail27convert_result_type_wrapperISA_SB_N2at6native12_GLOBAL__N_110CustomProdEEEEE10hipError_tPvRmT0_T1_jT2_SS_T4_T3_P12ihipStream_tbEUlT_E_NS1_11comp_targetILNS1_3genE5ELNS1_11target_archE942ELNS1_3gpuE9ELNS1_3repE0EEENS1_30default_config_static_selectorELNS0_4arch9wavefront6targetE1EEEvSR_,"axG",@progbits,_ZN7rocprim17ROCPRIM_400000_NS6detail17trampoline_kernelINS0_14default_configENS1_32segmented_reduce_config_selectorIN3c104HalfEEEZNS1_21segmented_reduce_implIS3_PKS6_PS6_PKiS6_N6hipcub16HIPCUB_304000_NS6detail27convert_result_type_wrapperISA_SB_N2at6native12_GLOBAL__N_110CustomProdEEEEE10hipError_tPvRmT0_T1_jT2_SS_T4_T3_P12ihipStream_tbEUlT_E_NS1_11comp_targetILNS1_3genE5ELNS1_11target_archE942ELNS1_3gpuE9ELNS1_3repE0EEENS1_30default_config_static_selectorELNS0_4arch9wavefront6targetE1EEEvSR_,comdat
	.globl	_ZN7rocprim17ROCPRIM_400000_NS6detail17trampoline_kernelINS0_14default_configENS1_32segmented_reduce_config_selectorIN3c104HalfEEEZNS1_21segmented_reduce_implIS3_PKS6_PS6_PKiS6_N6hipcub16HIPCUB_304000_NS6detail27convert_result_type_wrapperISA_SB_N2at6native12_GLOBAL__N_110CustomProdEEEEE10hipError_tPvRmT0_T1_jT2_SS_T4_T3_P12ihipStream_tbEUlT_E_NS1_11comp_targetILNS1_3genE5ELNS1_11target_archE942ELNS1_3gpuE9ELNS1_3repE0EEENS1_30default_config_static_selectorELNS0_4arch9wavefront6targetE1EEEvSR_ ; -- Begin function _ZN7rocprim17ROCPRIM_400000_NS6detail17trampoline_kernelINS0_14default_configENS1_32segmented_reduce_config_selectorIN3c104HalfEEEZNS1_21segmented_reduce_implIS3_PKS6_PS6_PKiS6_N6hipcub16HIPCUB_304000_NS6detail27convert_result_type_wrapperISA_SB_N2at6native12_GLOBAL__N_110CustomProdEEEEE10hipError_tPvRmT0_T1_jT2_SS_T4_T3_P12ihipStream_tbEUlT_E_NS1_11comp_targetILNS1_3genE5ELNS1_11target_archE942ELNS1_3gpuE9ELNS1_3repE0EEENS1_30default_config_static_selectorELNS0_4arch9wavefront6targetE1EEEvSR_
	.p2align	8
	.type	_ZN7rocprim17ROCPRIM_400000_NS6detail17trampoline_kernelINS0_14default_configENS1_32segmented_reduce_config_selectorIN3c104HalfEEEZNS1_21segmented_reduce_implIS3_PKS6_PS6_PKiS6_N6hipcub16HIPCUB_304000_NS6detail27convert_result_type_wrapperISA_SB_N2at6native12_GLOBAL__N_110CustomProdEEEEE10hipError_tPvRmT0_T1_jT2_SS_T4_T3_P12ihipStream_tbEUlT_E_NS1_11comp_targetILNS1_3genE5ELNS1_11target_archE942ELNS1_3gpuE9ELNS1_3repE0EEENS1_30default_config_static_selectorELNS0_4arch9wavefront6targetE1EEEvSR_,@function
_ZN7rocprim17ROCPRIM_400000_NS6detail17trampoline_kernelINS0_14default_configENS1_32segmented_reduce_config_selectorIN3c104HalfEEEZNS1_21segmented_reduce_implIS3_PKS6_PS6_PKiS6_N6hipcub16HIPCUB_304000_NS6detail27convert_result_type_wrapperISA_SB_N2at6native12_GLOBAL__N_110CustomProdEEEEE10hipError_tPvRmT0_T1_jT2_SS_T4_T3_P12ihipStream_tbEUlT_E_NS1_11comp_targetILNS1_3genE5ELNS1_11target_archE942ELNS1_3gpuE9ELNS1_3repE0EEENS1_30default_config_static_selectorELNS0_4arch9wavefront6targetE1EEEvSR_: ; @_ZN7rocprim17ROCPRIM_400000_NS6detail17trampoline_kernelINS0_14default_configENS1_32segmented_reduce_config_selectorIN3c104HalfEEEZNS1_21segmented_reduce_implIS3_PKS6_PS6_PKiS6_N6hipcub16HIPCUB_304000_NS6detail27convert_result_type_wrapperISA_SB_N2at6native12_GLOBAL__N_110CustomProdEEEEE10hipError_tPvRmT0_T1_jT2_SS_T4_T3_P12ihipStream_tbEUlT_E_NS1_11comp_targetILNS1_3genE5ELNS1_11target_archE942ELNS1_3gpuE9ELNS1_3repE0EEENS1_30default_config_static_selectorELNS0_4arch9wavefront6targetE1EEEvSR_
; %bb.0:
	.section	.rodata,"a",@progbits
	.p2align	6, 0x0
	.amdhsa_kernel _ZN7rocprim17ROCPRIM_400000_NS6detail17trampoline_kernelINS0_14default_configENS1_32segmented_reduce_config_selectorIN3c104HalfEEEZNS1_21segmented_reduce_implIS3_PKS6_PS6_PKiS6_N6hipcub16HIPCUB_304000_NS6detail27convert_result_type_wrapperISA_SB_N2at6native12_GLOBAL__N_110CustomProdEEEEE10hipError_tPvRmT0_T1_jT2_SS_T4_T3_P12ihipStream_tbEUlT_E_NS1_11comp_targetILNS1_3genE5ELNS1_11target_archE942ELNS1_3gpuE9ELNS1_3repE0EEENS1_30default_config_static_selectorELNS0_4arch9wavefront6targetE1EEEvSR_
		.amdhsa_group_segment_fixed_size 0
		.amdhsa_private_segment_fixed_size 0
		.amdhsa_kernarg_size 48
		.amdhsa_user_sgpr_count 6
		.amdhsa_user_sgpr_private_segment_buffer 1
		.amdhsa_user_sgpr_dispatch_ptr 0
		.amdhsa_user_sgpr_queue_ptr 0
		.amdhsa_user_sgpr_kernarg_segment_ptr 1
		.amdhsa_user_sgpr_dispatch_id 0
		.amdhsa_user_sgpr_flat_scratch_init 0
		.amdhsa_user_sgpr_private_segment_size 0
		.amdhsa_uses_dynamic_stack 0
		.amdhsa_system_sgpr_private_segment_wavefront_offset 0
		.amdhsa_system_sgpr_workgroup_id_x 1
		.amdhsa_system_sgpr_workgroup_id_y 0
		.amdhsa_system_sgpr_workgroup_id_z 0
		.amdhsa_system_sgpr_workgroup_info 0
		.amdhsa_system_vgpr_workitem_id 0
		.amdhsa_next_free_vgpr 1
		.amdhsa_next_free_sgpr 0
		.amdhsa_reserve_vcc 0
		.amdhsa_reserve_flat_scratch 0
		.amdhsa_float_round_mode_32 0
		.amdhsa_float_round_mode_16_64 0
		.amdhsa_float_denorm_mode_32 3
		.amdhsa_float_denorm_mode_16_64 3
		.amdhsa_dx10_clamp 1
		.amdhsa_ieee_mode 1
		.amdhsa_fp16_overflow 0
		.amdhsa_exception_fp_ieee_invalid_op 0
		.amdhsa_exception_fp_denorm_src 0
		.amdhsa_exception_fp_ieee_div_zero 0
		.amdhsa_exception_fp_ieee_overflow 0
		.amdhsa_exception_fp_ieee_underflow 0
		.amdhsa_exception_fp_ieee_inexact 0
		.amdhsa_exception_int_div_zero 0
	.end_amdhsa_kernel
	.section	.text._ZN7rocprim17ROCPRIM_400000_NS6detail17trampoline_kernelINS0_14default_configENS1_32segmented_reduce_config_selectorIN3c104HalfEEEZNS1_21segmented_reduce_implIS3_PKS6_PS6_PKiS6_N6hipcub16HIPCUB_304000_NS6detail27convert_result_type_wrapperISA_SB_N2at6native12_GLOBAL__N_110CustomProdEEEEE10hipError_tPvRmT0_T1_jT2_SS_T4_T3_P12ihipStream_tbEUlT_E_NS1_11comp_targetILNS1_3genE5ELNS1_11target_archE942ELNS1_3gpuE9ELNS1_3repE0EEENS1_30default_config_static_selectorELNS0_4arch9wavefront6targetE1EEEvSR_,"axG",@progbits,_ZN7rocprim17ROCPRIM_400000_NS6detail17trampoline_kernelINS0_14default_configENS1_32segmented_reduce_config_selectorIN3c104HalfEEEZNS1_21segmented_reduce_implIS3_PKS6_PS6_PKiS6_N6hipcub16HIPCUB_304000_NS6detail27convert_result_type_wrapperISA_SB_N2at6native12_GLOBAL__N_110CustomProdEEEEE10hipError_tPvRmT0_T1_jT2_SS_T4_T3_P12ihipStream_tbEUlT_E_NS1_11comp_targetILNS1_3genE5ELNS1_11target_archE942ELNS1_3gpuE9ELNS1_3repE0EEENS1_30default_config_static_selectorELNS0_4arch9wavefront6targetE1EEEvSR_,comdat
.Lfunc_end103:
	.size	_ZN7rocprim17ROCPRIM_400000_NS6detail17trampoline_kernelINS0_14default_configENS1_32segmented_reduce_config_selectorIN3c104HalfEEEZNS1_21segmented_reduce_implIS3_PKS6_PS6_PKiS6_N6hipcub16HIPCUB_304000_NS6detail27convert_result_type_wrapperISA_SB_N2at6native12_GLOBAL__N_110CustomProdEEEEE10hipError_tPvRmT0_T1_jT2_SS_T4_T3_P12ihipStream_tbEUlT_E_NS1_11comp_targetILNS1_3genE5ELNS1_11target_archE942ELNS1_3gpuE9ELNS1_3repE0EEENS1_30default_config_static_selectorELNS0_4arch9wavefront6targetE1EEEvSR_, .Lfunc_end103-_ZN7rocprim17ROCPRIM_400000_NS6detail17trampoline_kernelINS0_14default_configENS1_32segmented_reduce_config_selectorIN3c104HalfEEEZNS1_21segmented_reduce_implIS3_PKS6_PS6_PKiS6_N6hipcub16HIPCUB_304000_NS6detail27convert_result_type_wrapperISA_SB_N2at6native12_GLOBAL__N_110CustomProdEEEEE10hipError_tPvRmT0_T1_jT2_SS_T4_T3_P12ihipStream_tbEUlT_E_NS1_11comp_targetILNS1_3genE5ELNS1_11target_archE942ELNS1_3gpuE9ELNS1_3repE0EEENS1_30default_config_static_selectorELNS0_4arch9wavefront6targetE1EEEvSR_
                                        ; -- End function
	.set _ZN7rocprim17ROCPRIM_400000_NS6detail17trampoline_kernelINS0_14default_configENS1_32segmented_reduce_config_selectorIN3c104HalfEEEZNS1_21segmented_reduce_implIS3_PKS6_PS6_PKiS6_N6hipcub16HIPCUB_304000_NS6detail27convert_result_type_wrapperISA_SB_N2at6native12_GLOBAL__N_110CustomProdEEEEE10hipError_tPvRmT0_T1_jT2_SS_T4_T3_P12ihipStream_tbEUlT_E_NS1_11comp_targetILNS1_3genE5ELNS1_11target_archE942ELNS1_3gpuE9ELNS1_3repE0EEENS1_30default_config_static_selectorELNS0_4arch9wavefront6targetE1EEEvSR_.num_vgpr, 0
	.set _ZN7rocprim17ROCPRIM_400000_NS6detail17trampoline_kernelINS0_14default_configENS1_32segmented_reduce_config_selectorIN3c104HalfEEEZNS1_21segmented_reduce_implIS3_PKS6_PS6_PKiS6_N6hipcub16HIPCUB_304000_NS6detail27convert_result_type_wrapperISA_SB_N2at6native12_GLOBAL__N_110CustomProdEEEEE10hipError_tPvRmT0_T1_jT2_SS_T4_T3_P12ihipStream_tbEUlT_E_NS1_11comp_targetILNS1_3genE5ELNS1_11target_archE942ELNS1_3gpuE9ELNS1_3repE0EEENS1_30default_config_static_selectorELNS0_4arch9wavefront6targetE1EEEvSR_.num_agpr, 0
	.set _ZN7rocprim17ROCPRIM_400000_NS6detail17trampoline_kernelINS0_14default_configENS1_32segmented_reduce_config_selectorIN3c104HalfEEEZNS1_21segmented_reduce_implIS3_PKS6_PS6_PKiS6_N6hipcub16HIPCUB_304000_NS6detail27convert_result_type_wrapperISA_SB_N2at6native12_GLOBAL__N_110CustomProdEEEEE10hipError_tPvRmT0_T1_jT2_SS_T4_T3_P12ihipStream_tbEUlT_E_NS1_11comp_targetILNS1_3genE5ELNS1_11target_archE942ELNS1_3gpuE9ELNS1_3repE0EEENS1_30default_config_static_selectorELNS0_4arch9wavefront6targetE1EEEvSR_.numbered_sgpr, 0
	.set _ZN7rocprim17ROCPRIM_400000_NS6detail17trampoline_kernelINS0_14default_configENS1_32segmented_reduce_config_selectorIN3c104HalfEEEZNS1_21segmented_reduce_implIS3_PKS6_PS6_PKiS6_N6hipcub16HIPCUB_304000_NS6detail27convert_result_type_wrapperISA_SB_N2at6native12_GLOBAL__N_110CustomProdEEEEE10hipError_tPvRmT0_T1_jT2_SS_T4_T3_P12ihipStream_tbEUlT_E_NS1_11comp_targetILNS1_3genE5ELNS1_11target_archE942ELNS1_3gpuE9ELNS1_3repE0EEENS1_30default_config_static_selectorELNS0_4arch9wavefront6targetE1EEEvSR_.num_named_barrier, 0
	.set _ZN7rocprim17ROCPRIM_400000_NS6detail17trampoline_kernelINS0_14default_configENS1_32segmented_reduce_config_selectorIN3c104HalfEEEZNS1_21segmented_reduce_implIS3_PKS6_PS6_PKiS6_N6hipcub16HIPCUB_304000_NS6detail27convert_result_type_wrapperISA_SB_N2at6native12_GLOBAL__N_110CustomProdEEEEE10hipError_tPvRmT0_T1_jT2_SS_T4_T3_P12ihipStream_tbEUlT_E_NS1_11comp_targetILNS1_3genE5ELNS1_11target_archE942ELNS1_3gpuE9ELNS1_3repE0EEENS1_30default_config_static_selectorELNS0_4arch9wavefront6targetE1EEEvSR_.private_seg_size, 0
	.set _ZN7rocprim17ROCPRIM_400000_NS6detail17trampoline_kernelINS0_14default_configENS1_32segmented_reduce_config_selectorIN3c104HalfEEEZNS1_21segmented_reduce_implIS3_PKS6_PS6_PKiS6_N6hipcub16HIPCUB_304000_NS6detail27convert_result_type_wrapperISA_SB_N2at6native12_GLOBAL__N_110CustomProdEEEEE10hipError_tPvRmT0_T1_jT2_SS_T4_T3_P12ihipStream_tbEUlT_E_NS1_11comp_targetILNS1_3genE5ELNS1_11target_archE942ELNS1_3gpuE9ELNS1_3repE0EEENS1_30default_config_static_selectorELNS0_4arch9wavefront6targetE1EEEvSR_.uses_vcc, 0
	.set _ZN7rocprim17ROCPRIM_400000_NS6detail17trampoline_kernelINS0_14default_configENS1_32segmented_reduce_config_selectorIN3c104HalfEEEZNS1_21segmented_reduce_implIS3_PKS6_PS6_PKiS6_N6hipcub16HIPCUB_304000_NS6detail27convert_result_type_wrapperISA_SB_N2at6native12_GLOBAL__N_110CustomProdEEEEE10hipError_tPvRmT0_T1_jT2_SS_T4_T3_P12ihipStream_tbEUlT_E_NS1_11comp_targetILNS1_3genE5ELNS1_11target_archE942ELNS1_3gpuE9ELNS1_3repE0EEENS1_30default_config_static_selectorELNS0_4arch9wavefront6targetE1EEEvSR_.uses_flat_scratch, 0
	.set _ZN7rocprim17ROCPRIM_400000_NS6detail17trampoline_kernelINS0_14default_configENS1_32segmented_reduce_config_selectorIN3c104HalfEEEZNS1_21segmented_reduce_implIS3_PKS6_PS6_PKiS6_N6hipcub16HIPCUB_304000_NS6detail27convert_result_type_wrapperISA_SB_N2at6native12_GLOBAL__N_110CustomProdEEEEE10hipError_tPvRmT0_T1_jT2_SS_T4_T3_P12ihipStream_tbEUlT_E_NS1_11comp_targetILNS1_3genE5ELNS1_11target_archE942ELNS1_3gpuE9ELNS1_3repE0EEENS1_30default_config_static_selectorELNS0_4arch9wavefront6targetE1EEEvSR_.has_dyn_sized_stack, 0
	.set _ZN7rocprim17ROCPRIM_400000_NS6detail17trampoline_kernelINS0_14default_configENS1_32segmented_reduce_config_selectorIN3c104HalfEEEZNS1_21segmented_reduce_implIS3_PKS6_PS6_PKiS6_N6hipcub16HIPCUB_304000_NS6detail27convert_result_type_wrapperISA_SB_N2at6native12_GLOBAL__N_110CustomProdEEEEE10hipError_tPvRmT0_T1_jT2_SS_T4_T3_P12ihipStream_tbEUlT_E_NS1_11comp_targetILNS1_3genE5ELNS1_11target_archE942ELNS1_3gpuE9ELNS1_3repE0EEENS1_30default_config_static_selectorELNS0_4arch9wavefront6targetE1EEEvSR_.has_recursion, 0
	.set _ZN7rocprim17ROCPRIM_400000_NS6detail17trampoline_kernelINS0_14default_configENS1_32segmented_reduce_config_selectorIN3c104HalfEEEZNS1_21segmented_reduce_implIS3_PKS6_PS6_PKiS6_N6hipcub16HIPCUB_304000_NS6detail27convert_result_type_wrapperISA_SB_N2at6native12_GLOBAL__N_110CustomProdEEEEE10hipError_tPvRmT0_T1_jT2_SS_T4_T3_P12ihipStream_tbEUlT_E_NS1_11comp_targetILNS1_3genE5ELNS1_11target_archE942ELNS1_3gpuE9ELNS1_3repE0EEENS1_30default_config_static_selectorELNS0_4arch9wavefront6targetE1EEEvSR_.has_indirect_call, 0
	.section	.AMDGPU.csdata,"",@progbits
; Kernel info:
; codeLenInByte = 0
; TotalNumSgprs: 4
; NumVgprs: 0
; ScratchSize: 0
; MemoryBound: 0
; FloatMode: 240
; IeeeMode: 1
; LDSByteSize: 0 bytes/workgroup (compile time only)
; SGPRBlocks: 0
; VGPRBlocks: 0
; NumSGPRsForWavesPerEU: 4
; NumVGPRsForWavesPerEU: 1
; Occupancy: 10
; WaveLimiterHint : 0
; COMPUTE_PGM_RSRC2:SCRATCH_EN: 0
; COMPUTE_PGM_RSRC2:USER_SGPR: 6
; COMPUTE_PGM_RSRC2:TRAP_HANDLER: 0
; COMPUTE_PGM_RSRC2:TGID_X_EN: 1
; COMPUTE_PGM_RSRC2:TGID_Y_EN: 0
; COMPUTE_PGM_RSRC2:TGID_Z_EN: 0
; COMPUTE_PGM_RSRC2:TIDIG_COMP_CNT: 0
	.section	.text._ZN7rocprim17ROCPRIM_400000_NS6detail17trampoline_kernelINS0_14default_configENS1_32segmented_reduce_config_selectorIN3c104HalfEEEZNS1_21segmented_reduce_implIS3_PKS6_PS6_PKiS6_N6hipcub16HIPCUB_304000_NS6detail27convert_result_type_wrapperISA_SB_N2at6native12_GLOBAL__N_110CustomProdEEEEE10hipError_tPvRmT0_T1_jT2_SS_T4_T3_P12ihipStream_tbEUlT_E_NS1_11comp_targetILNS1_3genE10ELNS1_11target_archE1201ELNS1_3gpuE5ELNS1_3repE0EEENS1_30default_config_static_selectorELNS0_4arch9wavefront6targetE1EEEvSR_,"axG",@progbits,_ZN7rocprim17ROCPRIM_400000_NS6detail17trampoline_kernelINS0_14default_configENS1_32segmented_reduce_config_selectorIN3c104HalfEEEZNS1_21segmented_reduce_implIS3_PKS6_PS6_PKiS6_N6hipcub16HIPCUB_304000_NS6detail27convert_result_type_wrapperISA_SB_N2at6native12_GLOBAL__N_110CustomProdEEEEE10hipError_tPvRmT0_T1_jT2_SS_T4_T3_P12ihipStream_tbEUlT_E_NS1_11comp_targetILNS1_3genE10ELNS1_11target_archE1201ELNS1_3gpuE5ELNS1_3repE0EEENS1_30default_config_static_selectorELNS0_4arch9wavefront6targetE1EEEvSR_,comdat
	.globl	_ZN7rocprim17ROCPRIM_400000_NS6detail17trampoline_kernelINS0_14default_configENS1_32segmented_reduce_config_selectorIN3c104HalfEEEZNS1_21segmented_reduce_implIS3_PKS6_PS6_PKiS6_N6hipcub16HIPCUB_304000_NS6detail27convert_result_type_wrapperISA_SB_N2at6native12_GLOBAL__N_110CustomProdEEEEE10hipError_tPvRmT0_T1_jT2_SS_T4_T3_P12ihipStream_tbEUlT_E_NS1_11comp_targetILNS1_3genE10ELNS1_11target_archE1201ELNS1_3gpuE5ELNS1_3repE0EEENS1_30default_config_static_selectorELNS0_4arch9wavefront6targetE1EEEvSR_ ; -- Begin function _ZN7rocprim17ROCPRIM_400000_NS6detail17trampoline_kernelINS0_14default_configENS1_32segmented_reduce_config_selectorIN3c104HalfEEEZNS1_21segmented_reduce_implIS3_PKS6_PS6_PKiS6_N6hipcub16HIPCUB_304000_NS6detail27convert_result_type_wrapperISA_SB_N2at6native12_GLOBAL__N_110CustomProdEEEEE10hipError_tPvRmT0_T1_jT2_SS_T4_T3_P12ihipStream_tbEUlT_E_NS1_11comp_targetILNS1_3genE10ELNS1_11target_archE1201ELNS1_3gpuE5ELNS1_3repE0EEENS1_30default_config_static_selectorELNS0_4arch9wavefront6targetE1EEEvSR_
	.p2align	8
	.type	_ZN7rocprim17ROCPRIM_400000_NS6detail17trampoline_kernelINS0_14default_configENS1_32segmented_reduce_config_selectorIN3c104HalfEEEZNS1_21segmented_reduce_implIS3_PKS6_PS6_PKiS6_N6hipcub16HIPCUB_304000_NS6detail27convert_result_type_wrapperISA_SB_N2at6native12_GLOBAL__N_110CustomProdEEEEE10hipError_tPvRmT0_T1_jT2_SS_T4_T3_P12ihipStream_tbEUlT_E_NS1_11comp_targetILNS1_3genE10ELNS1_11target_archE1201ELNS1_3gpuE5ELNS1_3repE0EEENS1_30default_config_static_selectorELNS0_4arch9wavefront6targetE1EEEvSR_,@function
_ZN7rocprim17ROCPRIM_400000_NS6detail17trampoline_kernelINS0_14default_configENS1_32segmented_reduce_config_selectorIN3c104HalfEEEZNS1_21segmented_reduce_implIS3_PKS6_PS6_PKiS6_N6hipcub16HIPCUB_304000_NS6detail27convert_result_type_wrapperISA_SB_N2at6native12_GLOBAL__N_110CustomProdEEEEE10hipError_tPvRmT0_T1_jT2_SS_T4_T3_P12ihipStream_tbEUlT_E_NS1_11comp_targetILNS1_3genE10ELNS1_11target_archE1201ELNS1_3gpuE5ELNS1_3repE0EEENS1_30default_config_static_selectorELNS0_4arch9wavefront6targetE1EEEvSR_: ; @_ZN7rocprim17ROCPRIM_400000_NS6detail17trampoline_kernelINS0_14default_configENS1_32segmented_reduce_config_selectorIN3c104HalfEEEZNS1_21segmented_reduce_implIS3_PKS6_PS6_PKiS6_N6hipcub16HIPCUB_304000_NS6detail27convert_result_type_wrapperISA_SB_N2at6native12_GLOBAL__N_110CustomProdEEEEE10hipError_tPvRmT0_T1_jT2_SS_T4_T3_P12ihipStream_tbEUlT_E_NS1_11comp_targetILNS1_3genE10ELNS1_11target_archE1201ELNS1_3gpuE5ELNS1_3repE0EEENS1_30default_config_static_selectorELNS0_4arch9wavefront6targetE1EEEvSR_
; %bb.0:
	.section	.rodata,"a",@progbits
	.p2align	6, 0x0
	.amdhsa_kernel _ZN7rocprim17ROCPRIM_400000_NS6detail17trampoline_kernelINS0_14default_configENS1_32segmented_reduce_config_selectorIN3c104HalfEEEZNS1_21segmented_reduce_implIS3_PKS6_PS6_PKiS6_N6hipcub16HIPCUB_304000_NS6detail27convert_result_type_wrapperISA_SB_N2at6native12_GLOBAL__N_110CustomProdEEEEE10hipError_tPvRmT0_T1_jT2_SS_T4_T3_P12ihipStream_tbEUlT_E_NS1_11comp_targetILNS1_3genE10ELNS1_11target_archE1201ELNS1_3gpuE5ELNS1_3repE0EEENS1_30default_config_static_selectorELNS0_4arch9wavefront6targetE1EEEvSR_
		.amdhsa_group_segment_fixed_size 0
		.amdhsa_private_segment_fixed_size 0
		.amdhsa_kernarg_size 48
		.amdhsa_user_sgpr_count 6
		.amdhsa_user_sgpr_private_segment_buffer 1
		.amdhsa_user_sgpr_dispatch_ptr 0
		.amdhsa_user_sgpr_queue_ptr 0
		.amdhsa_user_sgpr_kernarg_segment_ptr 1
		.amdhsa_user_sgpr_dispatch_id 0
		.amdhsa_user_sgpr_flat_scratch_init 0
		.amdhsa_user_sgpr_private_segment_size 0
		.amdhsa_uses_dynamic_stack 0
		.amdhsa_system_sgpr_private_segment_wavefront_offset 0
		.amdhsa_system_sgpr_workgroup_id_x 1
		.amdhsa_system_sgpr_workgroup_id_y 0
		.amdhsa_system_sgpr_workgroup_id_z 0
		.amdhsa_system_sgpr_workgroup_info 0
		.amdhsa_system_vgpr_workitem_id 0
		.amdhsa_next_free_vgpr 1
		.amdhsa_next_free_sgpr 0
		.amdhsa_reserve_vcc 0
		.amdhsa_reserve_flat_scratch 0
		.amdhsa_float_round_mode_32 0
		.amdhsa_float_round_mode_16_64 0
		.amdhsa_float_denorm_mode_32 3
		.amdhsa_float_denorm_mode_16_64 3
		.amdhsa_dx10_clamp 1
		.amdhsa_ieee_mode 1
		.amdhsa_fp16_overflow 0
		.amdhsa_exception_fp_ieee_invalid_op 0
		.amdhsa_exception_fp_denorm_src 0
		.amdhsa_exception_fp_ieee_div_zero 0
		.amdhsa_exception_fp_ieee_overflow 0
		.amdhsa_exception_fp_ieee_underflow 0
		.amdhsa_exception_fp_ieee_inexact 0
		.amdhsa_exception_int_div_zero 0
	.end_amdhsa_kernel
	.section	.text._ZN7rocprim17ROCPRIM_400000_NS6detail17trampoline_kernelINS0_14default_configENS1_32segmented_reduce_config_selectorIN3c104HalfEEEZNS1_21segmented_reduce_implIS3_PKS6_PS6_PKiS6_N6hipcub16HIPCUB_304000_NS6detail27convert_result_type_wrapperISA_SB_N2at6native12_GLOBAL__N_110CustomProdEEEEE10hipError_tPvRmT0_T1_jT2_SS_T4_T3_P12ihipStream_tbEUlT_E_NS1_11comp_targetILNS1_3genE10ELNS1_11target_archE1201ELNS1_3gpuE5ELNS1_3repE0EEENS1_30default_config_static_selectorELNS0_4arch9wavefront6targetE1EEEvSR_,"axG",@progbits,_ZN7rocprim17ROCPRIM_400000_NS6detail17trampoline_kernelINS0_14default_configENS1_32segmented_reduce_config_selectorIN3c104HalfEEEZNS1_21segmented_reduce_implIS3_PKS6_PS6_PKiS6_N6hipcub16HIPCUB_304000_NS6detail27convert_result_type_wrapperISA_SB_N2at6native12_GLOBAL__N_110CustomProdEEEEE10hipError_tPvRmT0_T1_jT2_SS_T4_T3_P12ihipStream_tbEUlT_E_NS1_11comp_targetILNS1_3genE10ELNS1_11target_archE1201ELNS1_3gpuE5ELNS1_3repE0EEENS1_30default_config_static_selectorELNS0_4arch9wavefront6targetE1EEEvSR_,comdat
.Lfunc_end104:
	.size	_ZN7rocprim17ROCPRIM_400000_NS6detail17trampoline_kernelINS0_14default_configENS1_32segmented_reduce_config_selectorIN3c104HalfEEEZNS1_21segmented_reduce_implIS3_PKS6_PS6_PKiS6_N6hipcub16HIPCUB_304000_NS6detail27convert_result_type_wrapperISA_SB_N2at6native12_GLOBAL__N_110CustomProdEEEEE10hipError_tPvRmT0_T1_jT2_SS_T4_T3_P12ihipStream_tbEUlT_E_NS1_11comp_targetILNS1_3genE10ELNS1_11target_archE1201ELNS1_3gpuE5ELNS1_3repE0EEENS1_30default_config_static_selectorELNS0_4arch9wavefront6targetE1EEEvSR_, .Lfunc_end104-_ZN7rocprim17ROCPRIM_400000_NS6detail17trampoline_kernelINS0_14default_configENS1_32segmented_reduce_config_selectorIN3c104HalfEEEZNS1_21segmented_reduce_implIS3_PKS6_PS6_PKiS6_N6hipcub16HIPCUB_304000_NS6detail27convert_result_type_wrapperISA_SB_N2at6native12_GLOBAL__N_110CustomProdEEEEE10hipError_tPvRmT0_T1_jT2_SS_T4_T3_P12ihipStream_tbEUlT_E_NS1_11comp_targetILNS1_3genE10ELNS1_11target_archE1201ELNS1_3gpuE5ELNS1_3repE0EEENS1_30default_config_static_selectorELNS0_4arch9wavefront6targetE1EEEvSR_
                                        ; -- End function
	.set _ZN7rocprim17ROCPRIM_400000_NS6detail17trampoline_kernelINS0_14default_configENS1_32segmented_reduce_config_selectorIN3c104HalfEEEZNS1_21segmented_reduce_implIS3_PKS6_PS6_PKiS6_N6hipcub16HIPCUB_304000_NS6detail27convert_result_type_wrapperISA_SB_N2at6native12_GLOBAL__N_110CustomProdEEEEE10hipError_tPvRmT0_T1_jT2_SS_T4_T3_P12ihipStream_tbEUlT_E_NS1_11comp_targetILNS1_3genE10ELNS1_11target_archE1201ELNS1_3gpuE5ELNS1_3repE0EEENS1_30default_config_static_selectorELNS0_4arch9wavefront6targetE1EEEvSR_.num_vgpr, 0
	.set _ZN7rocprim17ROCPRIM_400000_NS6detail17trampoline_kernelINS0_14default_configENS1_32segmented_reduce_config_selectorIN3c104HalfEEEZNS1_21segmented_reduce_implIS3_PKS6_PS6_PKiS6_N6hipcub16HIPCUB_304000_NS6detail27convert_result_type_wrapperISA_SB_N2at6native12_GLOBAL__N_110CustomProdEEEEE10hipError_tPvRmT0_T1_jT2_SS_T4_T3_P12ihipStream_tbEUlT_E_NS1_11comp_targetILNS1_3genE10ELNS1_11target_archE1201ELNS1_3gpuE5ELNS1_3repE0EEENS1_30default_config_static_selectorELNS0_4arch9wavefront6targetE1EEEvSR_.num_agpr, 0
	.set _ZN7rocprim17ROCPRIM_400000_NS6detail17trampoline_kernelINS0_14default_configENS1_32segmented_reduce_config_selectorIN3c104HalfEEEZNS1_21segmented_reduce_implIS3_PKS6_PS6_PKiS6_N6hipcub16HIPCUB_304000_NS6detail27convert_result_type_wrapperISA_SB_N2at6native12_GLOBAL__N_110CustomProdEEEEE10hipError_tPvRmT0_T1_jT2_SS_T4_T3_P12ihipStream_tbEUlT_E_NS1_11comp_targetILNS1_3genE10ELNS1_11target_archE1201ELNS1_3gpuE5ELNS1_3repE0EEENS1_30default_config_static_selectorELNS0_4arch9wavefront6targetE1EEEvSR_.numbered_sgpr, 0
	.set _ZN7rocprim17ROCPRIM_400000_NS6detail17trampoline_kernelINS0_14default_configENS1_32segmented_reduce_config_selectorIN3c104HalfEEEZNS1_21segmented_reduce_implIS3_PKS6_PS6_PKiS6_N6hipcub16HIPCUB_304000_NS6detail27convert_result_type_wrapperISA_SB_N2at6native12_GLOBAL__N_110CustomProdEEEEE10hipError_tPvRmT0_T1_jT2_SS_T4_T3_P12ihipStream_tbEUlT_E_NS1_11comp_targetILNS1_3genE10ELNS1_11target_archE1201ELNS1_3gpuE5ELNS1_3repE0EEENS1_30default_config_static_selectorELNS0_4arch9wavefront6targetE1EEEvSR_.num_named_barrier, 0
	.set _ZN7rocprim17ROCPRIM_400000_NS6detail17trampoline_kernelINS0_14default_configENS1_32segmented_reduce_config_selectorIN3c104HalfEEEZNS1_21segmented_reduce_implIS3_PKS6_PS6_PKiS6_N6hipcub16HIPCUB_304000_NS6detail27convert_result_type_wrapperISA_SB_N2at6native12_GLOBAL__N_110CustomProdEEEEE10hipError_tPvRmT0_T1_jT2_SS_T4_T3_P12ihipStream_tbEUlT_E_NS1_11comp_targetILNS1_3genE10ELNS1_11target_archE1201ELNS1_3gpuE5ELNS1_3repE0EEENS1_30default_config_static_selectorELNS0_4arch9wavefront6targetE1EEEvSR_.private_seg_size, 0
	.set _ZN7rocprim17ROCPRIM_400000_NS6detail17trampoline_kernelINS0_14default_configENS1_32segmented_reduce_config_selectorIN3c104HalfEEEZNS1_21segmented_reduce_implIS3_PKS6_PS6_PKiS6_N6hipcub16HIPCUB_304000_NS6detail27convert_result_type_wrapperISA_SB_N2at6native12_GLOBAL__N_110CustomProdEEEEE10hipError_tPvRmT0_T1_jT2_SS_T4_T3_P12ihipStream_tbEUlT_E_NS1_11comp_targetILNS1_3genE10ELNS1_11target_archE1201ELNS1_3gpuE5ELNS1_3repE0EEENS1_30default_config_static_selectorELNS0_4arch9wavefront6targetE1EEEvSR_.uses_vcc, 0
	.set _ZN7rocprim17ROCPRIM_400000_NS6detail17trampoline_kernelINS0_14default_configENS1_32segmented_reduce_config_selectorIN3c104HalfEEEZNS1_21segmented_reduce_implIS3_PKS6_PS6_PKiS6_N6hipcub16HIPCUB_304000_NS6detail27convert_result_type_wrapperISA_SB_N2at6native12_GLOBAL__N_110CustomProdEEEEE10hipError_tPvRmT0_T1_jT2_SS_T4_T3_P12ihipStream_tbEUlT_E_NS1_11comp_targetILNS1_3genE10ELNS1_11target_archE1201ELNS1_3gpuE5ELNS1_3repE0EEENS1_30default_config_static_selectorELNS0_4arch9wavefront6targetE1EEEvSR_.uses_flat_scratch, 0
	.set _ZN7rocprim17ROCPRIM_400000_NS6detail17trampoline_kernelINS0_14default_configENS1_32segmented_reduce_config_selectorIN3c104HalfEEEZNS1_21segmented_reduce_implIS3_PKS6_PS6_PKiS6_N6hipcub16HIPCUB_304000_NS6detail27convert_result_type_wrapperISA_SB_N2at6native12_GLOBAL__N_110CustomProdEEEEE10hipError_tPvRmT0_T1_jT2_SS_T4_T3_P12ihipStream_tbEUlT_E_NS1_11comp_targetILNS1_3genE10ELNS1_11target_archE1201ELNS1_3gpuE5ELNS1_3repE0EEENS1_30default_config_static_selectorELNS0_4arch9wavefront6targetE1EEEvSR_.has_dyn_sized_stack, 0
	.set _ZN7rocprim17ROCPRIM_400000_NS6detail17trampoline_kernelINS0_14default_configENS1_32segmented_reduce_config_selectorIN3c104HalfEEEZNS1_21segmented_reduce_implIS3_PKS6_PS6_PKiS6_N6hipcub16HIPCUB_304000_NS6detail27convert_result_type_wrapperISA_SB_N2at6native12_GLOBAL__N_110CustomProdEEEEE10hipError_tPvRmT0_T1_jT2_SS_T4_T3_P12ihipStream_tbEUlT_E_NS1_11comp_targetILNS1_3genE10ELNS1_11target_archE1201ELNS1_3gpuE5ELNS1_3repE0EEENS1_30default_config_static_selectorELNS0_4arch9wavefront6targetE1EEEvSR_.has_recursion, 0
	.set _ZN7rocprim17ROCPRIM_400000_NS6detail17trampoline_kernelINS0_14default_configENS1_32segmented_reduce_config_selectorIN3c104HalfEEEZNS1_21segmented_reduce_implIS3_PKS6_PS6_PKiS6_N6hipcub16HIPCUB_304000_NS6detail27convert_result_type_wrapperISA_SB_N2at6native12_GLOBAL__N_110CustomProdEEEEE10hipError_tPvRmT0_T1_jT2_SS_T4_T3_P12ihipStream_tbEUlT_E_NS1_11comp_targetILNS1_3genE10ELNS1_11target_archE1201ELNS1_3gpuE5ELNS1_3repE0EEENS1_30default_config_static_selectorELNS0_4arch9wavefront6targetE1EEEvSR_.has_indirect_call, 0
	.section	.AMDGPU.csdata,"",@progbits
; Kernel info:
; codeLenInByte = 0
; TotalNumSgprs: 4
; NumVgprs: 0
; ScratchSize: 0
; MemoryBound: 0
; FloatMode: 240
; IeeeMode: 1
; LDSByteSize: 0 bytes/workgroup (compile time only)
; SGPRBlocks: 0
; VGPRBlocks: 0
; NumSGPRsForWavesPerEU: 4
; NumVGPRsForWavesPerEU: 1
; Occupancy: 10
; WaveLimiterHint : 0
; COMPUTE_PGM_RSRC2:SCRATCH_EN: 0
; COMPUTE_PGM_RSRC2:USER_SGPR: 6
; COMPUTE_PGM_RSRC2:TRAP_HANDLER: 0
; COMPUTE_PGM_RSRC2:TGID_X_EN: 1
; COMPUTE_PGM_RSRC2:TGID_Y_EN: 0
; COMPUTE_PGM_RSRC2:TGID_Z_EN: 0
; COMPUTE_PGM_RSRC2:TIDIG_COMP_CNT: 0
	.section	.text._ZN7rocprim17ROCPRIM_400000_NS6detail17trampoline_kernelINS0_14default_configENS1_32segmented_reduce_config_selectorIN3c104HalfEEEZNS1_21segmented_reduce_implIS3_PKS6_PS6_PKiS6_N6hipcub16HIPCUB_304000_NS6detail27convert_result_type_wrapperISA_SB_N2at6native12_GLOBAL__N_110CustomProdEEEEE10hipError_tPvRmT0_T1_jT2_SS_T4_T3_P12ihipStream_tbEUlT_E_NS1_11comp_targetILNS1_3genE4ELNS1_11target_archE910ELNS1_3gpuE8ELNS1_3repE0EEENS1_30default_config_static_selectorELNS0_4arch9wavefront6targetE1EEEvSR_,"axG",@progbits,_ZN7rocprim17ROCPRIM_400000_NS6detail17trampoline_kernelINS0_14default_configENS1_32segmented_reduce_config_selectorIN3c104HalfEEEZNS1_21segmented_reduce_implIS3_PKS6_PS6_PKiS6_N6hipcub16HIPCUB_304000_NS6detail27convert_result_type_wrapperISA_SB_N2at6native12_GLOBAL__N_110CustomProdEEEEE10hipError_tPvRmT0_T1_jT2_SS_T4_T3_P12ihipStream_tbEUlT_E_NS1_11comp_targetILNS1_3genE4ELNS1_11target_archE910ELNS1_3gpuE8ELNS1_3repE0EEENS1_30default_config_static_selectorELNS0_4arch9wavefront6targetE1EEEvSR_,comdat
	.globl	_ZN7rocprim17ROCPRIM_400000_NS6detail17trampoline_kernelINS0_14default_configENS1_32segmented_reduce_config_selectorIN3c104HalfEEEZNS1_21segmented_reduce_implIS3_PKS6_PS6_PKiS6_N6hipcub16HIPCUB_304000_NS6detail27convert_result_type_wrapperISA_SB_N2at6native12_GLOBAL__N_110CustomProdEEEEE10hipError_tPvRmT0_T1_jT2_SS_T4_T3_P12ihipStream_tbEUlT_E_NS1_11comp_targetILNS1_3genE4ELNS1_11target_archE910ELNS1_3gpuE8ELNS1_3repE0EEENS1_30default_config_static_selectorELNS0_4arch9wavefront6targetE1EEEvSR_ ; -- Begin function _ZN7rocprim17ROCPRIM_400000_NS6detail17trampoline_kernelINS0_14default_configENS1_32segmented_reduce_config_selectorIN3c104HalfEEEZNS1_21segmented_reduce_implIS3_PKS6_PS6_PKiS6_N6hipcub16HIPCUB_304000_NS6detail27convert_result_type_wrapperISA_SB_N2at6native12_GLOBAL__N_110CustomProdEEEEE10hipError_tPvRmT0_T1_jT2_SS_T4_T3_P12ihipStream_tbEUlT_E_NS1_11comp_targetILNS1_3genE4ELNS1_11target_archE910ELNS1_3gpuE8ELNS1_3repE0EEENS1_30default_config_static_selectorELNS0_4arch9wavefront6targetE1EEEvSR_
	.p2align	8
	.type	_ZN7rocprim17ROCPRIM_400000_NS6detail17trampoline_kernelINS0_14default_configENS1_32segmented_reduce_config_selectorIN3c104HalfEEEZNS1_21segmented_reduce_implIS3_PKS6_PS6_PKiS6_N6hipcub16HIPCUB_304000_NS6detail27convert_result_type_wrapperISA_SB_N2at6native12_GLOBAL__N_110CustomProdEEEEE10hipError_tPvRmT0_T1_jT2_SS_T4_T3_P12ihipStream_tbEUlT_E_NS1_11comp_targetILNS1_3genE4ELNS1_11target_archE910ELNS1_3gpuE8ELNS1_3repE0EEENS1_30default_config_static_selectorELNS0_4arch9wavefront6targetE1EEEvSR_,@function
_ZN7rocprim17ROCPRIM_400000_NS6detail17trampoline_kernelINS0_14default_configENS1_32segmented_reduce_config_selectorIN3c104HalfEEEZNS1_21segmented_reduce_implIS3_PKS6_PS6_PKiS6_N6hipcub16HIPCUB_304000_NS6detail27convert_result_type_wrapperISA_SB_N2at6native12_GLOBAL__N_110CustomProdEEEEE10hipError_tPvRmT0_T1_jT2_SS_T4_T3_P12ihipStream_tbEUlT_E_NS1_11comp_targetILNS1_3genE4ELNS1_11target_archE910ELNS1_3gpuE8ELNS1_3repE0EEENS1_30default_config_static_selectorELNS0_4arch9wavefront6targetE1EEEvSR_: ; @_ZN7rocprim17ROCPRIM_400000_NS6detail17trampoline_kernelINS0_14default_configENS1_32segmented_reduce_config_selectorIN3c104HalfEEEZNS1_21segmented_reduce_implIS3_PKS6_PS6_PKiS6_N6hipcub16HIPCUB_304000_NS6detail27convert_result_type_wrapperISA_SB_N2at6native12_GLOBAL__N_110CustomProdEEEEE10hipError_tPvRmT0_T1_jT2_SS_T4_T3_P12ihipStream_tbEUlT_E_NS1_11comp_targetILNS1_3genE4ELNS1_11target_archE910ELNS1_3gpuE8ELNS1_3repE0EEENS1_30default_config_static_selectorELNS0_4arch9wavefront6targetE1EEEvSR_
; %bb.0:
	.section	.rodata,"a",@progbits
	.p2align	6, 0x0
	.amdhsa_kernel _ZN7rocprim17ROCPRIM_400000_NS6detail17trampoline_kernelINS0_14default_configENS1_32segmented_reduce_config_selectorIN3c104HalfEEEZNS1_21segmented_reduce_implIS3_PKS6_PS6_PKiS6_N6hipcub16HIPCUB_304000_NS6detail27convert_result_type_wrapperISA_SB_N2at6native12_GLOBAL__N_110CustomProdEEEEE10hipError_tPvRmT0_T1_jT2_SS_T4_T3_P12ihipStream_tbEUlT_E_NS1_11comp_targetILNS1_3genE4ELNS1_11target_archE910ELNS1_3gpuE8ELNS1_3repE0EEENS1_30default_config_static_selectorELNS0_4arch9wavefront6targetE1EEEvSR_
		.amdhsa_group_segment_fixed_size 0
		.amdhsa_private_segment_fixed_size 0
		.amdhsa_kernarg_size 48
		.amdhsa_user_sgpr_count 6
		.amdhsa_user_sgpr_private_segment_buffer 1
		.amdhsa_user_sgpr_dispatch_ptr 0
		.amdhsa_user_sgpr_queue_ptr 0
		.amdhsa_user_sgpr_kernarg_segment_ptr 1
		.amdhsa_user_sgpr_dispatch_id 0
		.amdhsa_user_sgpr_flat_scratch_init 0
		.amdhsa_user_sgpr_private_segment_size 0
		.amdhsa_uses_dynamic_stack 0
		.amdhsa_system_sgpr_private_segment_wavefront_offset 0
		.amdhsa_system_sgpr_workgroup_id_x 1
		.amdhsa_system_sgpr_workgroup_id_y 0
		.amdhsa_system_sgpr_workgroup_id_z 0
		.amdhsa_system_sgpr_workgroup_info 0
		.amdhsa_system_vgpr_workitem_id 0
		.amdhsa_next_free_vgpr 1
		.amdhsa_next_free_sgpr 0
		.amdhsa_reserve_vcc 0
		.amdhsa_reserve_flat_scratch 0
		.amdhsa_float_round_mode_32 0
		.amdhsa_float_round_mode_16_64 0
		.amdhsa_float_denorm_mode_32 3
		.amdhsa_float_denorm_mode_16_64 3
		.amdhsa_dx10_clamp 1
		.amdhsa_ieee_mode 1
		.amdhsa_fp16_overflow 0
		.amdhsa_exception_fp_ieee_invalid_op 0
		.amdhsa_exception_fp_denorm_src 0
		.amdhsa_exception_fp_ieee_div_zero 0
		.amdhsa_exception_fp_ieee_overflow 0
		.amdhsa_exception_fp_ieee_underflow 0
		.amdhsa_exception_fp_ieee_inexact 0
		.amdhsa_exception_int_div_zero 0
	.end_amdhsa_kernel
	.section	.text._ZN7rocprim17ROCPRIM_400000_NS6detail17trampoline_kernelINS0_14default_configENS1_32segmented_reduce_config_selectorIN3c104HalfEEEZNS1_21segmented_reduce_implIS3_PKS6_PS6_PKiS6_N6hipcub16HIPCUB_304000_NS6detail27convert_result_type_wrapperISA_SB_N2at6native12_GLOBAL__N_110CustomProdEEEEE10hipError_tPvRmT0_T1_jT2_SS_T4_T3_P12ihipStream_tbEUlT_E_NS1_11comp_targetILNS1_3genE4ELNS1_11target_archE910ELNS1_3gpuE8ELNS1_3repE0EEENS1_30default_config_static_selectorELNS0_4arch9wavefront6targetE1EEEvSR_,"axG",@progbits,_ZN7rocprim17ROCPRIM_400000_NS6detail17trampoline_kernelINS0_14default_configENS1_32segmented_reduce_config_selectorIN3c104HalfEEEZNS1_21segmented_reduce_implIS3_PKS6_PS6_PKiS6_N6hipcub16HIPCUB_304000_NS6detail27convert_result_type_wrapperISA_SB_N2at6native12_GLOBAL__N_110CustomProdEEEEE10hipError_tPvRmT0_T1_jT2_SS_T4_T3_P12ihipStream_tbEUlT_E_NS1_11comp_targetILNS1_3genE4ELNS1_11target_archE910ELNS1_3gpuE8ELNS1_3repE0EEENS1_30default_config_static_selectorELNS0_4arch9wavefront6targetE1EEEvSR_,comdat
.Lfunc_end105:
	.size	_ZN7rocprim17ROCPRIM_400000_NS6detail17trampoline_kernelINS0_14default_configENS1_32segmented_reduce_config_selectorIN3c104HalfEEEZNS1_21segmented_reduce_implIS3_PKS6_PS6_PKiS6_N6hipcub16HIPCUB_304000_NS6detail27convert_result_type_wrapperISA_SB_N2at6native12_GLOBAL__N_110CustomProdEEEEE10hipError_tPvRmT0_T1_jT2_SS_T4_T3_P12ihipStream_tbEUlT_E_NS1_11comp_targetILNS1_3genE4ELNS1_11target_archE910ELNS1_3gpuE8ELNS1_3repE0EEENS1_30default_config_static_selectorELNS0_4arch9wavefront6targetE1EEEvSR_, .Lfunc_end105-_ZN7rocprim17ROCPRIM_400000_NS6detail17trampoline_kernelINS0_14default_configENS1_32segmented_reduce_config_selectorIN3c104HalfEEEZNS1_21segmented_reduce_implIS3_PKS6_PS6_PKiS6_N6hipcub16HIPCUB_304000_NS6detail27convert_result_type_wrapperISA_SB_N2at6native12_GLOBAL__N_110CustomProdEEEEE10hipError_tPvRmT0_T1_jT2_SS_T4_T3_P12ihipStream_tbEUlT_E_NS1_11comp_targetILNS1_3genE4ELNS1_11target_archE910ELNS1_3gpuE8ELNS1_3repE0EEENS1_30default_config_static_selectorELNS0_4arch9wavefront6targetE1EEEvSR_
                                        ; -- End function
	.set _ZN7rocprim17ROCPRIM_400000_NS6detail17trampoline_kernelINS0_14default_configENS1_32segmented_reduce_config_selectorIN3c104HalfEEEZNS1_21segmented_reduce_implIS3_PKS6_PS6_PKiS6_N6hipcub16HIPCUB_304000_NS6detail27convert_result_type_wrapperISA_SB_N2at6native12_GLOBAL__N_110CustomProdEEEEE10hipError_tPvRmT0_T1_jT2_SS_T4_T3_P12ihipStream_tbEUlT_E_NS1_11comp_targetILNS1_3genE4ELNS1_11target_archE910ELNS1_3gpuE8ELNS1_3repE0EEENS1_30default_config_static_selectorELNS0_4arch9wavefront6targetE1EEEvSR_.num_vgpr, 0
	.set _ZN7rocprim17ROCPRIM_400000_NS6detail17trampoline_kernelINS0_14default_configENS1_32segmented_reduce_config_selectorIN3c104HalfEEEZNS1_21segmented_reduce_implIS3_PKS6_PS6_PKiS6_N6hipcub16HIPCUB_304000_NS6detail27convert_result_type_wrapperISA_SB_N2at6native12_GLOBAL__N_110CustomProdEEEEE10hipError_tPvRmT0_T1_jT2_SS_T4_T3_P12ihipStream_tbEUlT_E_NS1_11comp_targetILNS1_3genE4ELNS1_11target_archE910ELNS1_3gpuE8ELNS1_3repE0EEENS1_30default_config_static_selectorELNS0_4arch9wavefront6targetE1EEEvSR_.num_agpr, 0
	.set _ZN7rocprim17ROCPRIM_400000_NS6detail17trampoline_kernelINS0_14default_configENS1_32segmented_reduce_config_selectorIN3c104HalfEEEZNS1_21segmented_reduce_implIS3_PKS6_PS6_PKiS6_N6hipcub16HIPCUB_304000_NS6detail27convert_result_type_wrapperISA_SB_N2at6native12_GLOBAL__N_110CustomProdEEEEE10hipError_tPvRmT0_T1_jT2_SS_T4_T3_P12ihipStream_tbEUlT_E_NS1_11comp_targetILNS1_3genE4ELNS1_11target_archE910ELNS1_3gpuE8ELNS1_3repE0EEENS1_30default_config_static_selectorELNS0_4arch9wavefront6targetE1EEEvSR_.numbered_sgpr, 0
	.set _ZN7rocprim17ROCPRIM_400000_NS6detail17trampoline_kernelINS0_14default_configENS1_32segmented_reduce_config_selectorIN3c104HalfEEEZNS1_21segmented_reduce_implIS3_PKS6_PS6_PKiS6_N6hipcub16HIPCUB_304000_NS6detail27convert_result_type_wrapperISA_SB_N2at6native12_GLOBAL__N_110CustomProdEEEEE10hipError_tPvRmT0_T1_jT2_SS_T4_T3_P12ihipStream_tbEUlT_E_NS1_11comp_targetILNS1_3genE4ELNS1_11target_archE910ELNS1_3gpuE8ELNS1_3repE0EEENS1_30default_config_static_selectorELNS0_4arch9wavefront6targetE1EEEvSR_.num_named_barrier, 0
	.set _ZN7rocprim17ROCPRIM_400000_NS6detail17trampoline_kernelINS0_14default_configENS1_32segmented_reduce_config_selectorIN3c104HalfEEEZNS1_21segmented_reduce_implIS3_PKS6_PS6_PKiS6_N6hipcub16HIPCUB_304000_NS6detail27convert_result_type_wrapperISA_SB_N2at6native12_GLOBAL__N_110CustomProdEEEEE10hipError_tPvRmT0_T1_jT2_SS_T4_T3_P12ihipStream_tbEUlT_E_NS1_11comp_targetILNS1_3genE4ELNS1_11target_archE910ELNS1_3gpuE8ELNS1_3repE0EEENS1_30default_config_static_selectorELNS0_4arch9wavefront6targetE1EEEvSR_.private_seg_size, 0
	.set _ZN7rocprim17ROCPRIM_400000_NS6detail17trampoline_kernelINS0_14default_configENS1_32segmented_reduce_config_selectorIN3c104HalfEEEZNS1_21segmented_reduce_implIS3_PKS6_PS6_PKiS6_N6hipcub16HIPCUB_304000_NS6detail27convert_result_type_wrapperISA_SB_N2at6native12_GLOBAL__N_110CustomProdEEEEE10hipError_tPvRmT0_T1_jT2_SS_T4_T3_P12ihipStream_tbEUlT_E_NS1_11comp_targetILNS1_3genE4ELNS1_11target_archE910ELNS1_3gpuE8ELNS1_3repE0EEENS1_30default_config_static_selectorELNS0_4arch9wavefront6targetE1EEEvSR_.uses_vcc, 0
	.set _ZN7rocprim17ROCPRIM_400000_NS6detail17trampoline_kernelINS0_14default_configENS1_32segmented_reduce_config_selectorIN3c104HalfEEEZNS1_21segmented_reduce_implIS3_PKS6_PS6_PKiS6_N6hipcub16HIPCUB_304000_NS6detail27convert_result_type_wrapperISA_SB_N2at6native12_GLOBAL__N_110CustomProdEEEEE10hipError_tPvRmT0_T1_jT2_SS_T4_T3_P12ihipStream_tbEUlT_E_NS1_11comp_targetILNS1_3genE4ELNS1_11target_archE910ELNS1_3gpuE8ELNS1_3repE0EEENS1_30default_config_static_selectorELNS0_4arch9wavefront6targetE1EEEvSR_.uses_flat_scratch, 0
	.set _ZN7rocprim17ROCPRIM_400000_NS6detail17trampoline_kernelINS0_14default_configENS1_32segmented_reduce_config_selectorIN3c104HalfEEEZNS1_21segmented_reduce_implIS3_PKS6_PS6_PKiS6_N6hipcub16HIPCUB_304000_NS6detail27convert_result_type_wrapperISA_SB_N2at6native12_GLOBAL__N_110CustomProdEEEEE10hipError_tPvRmT0_T1_jT2_SS_T4_T3_P12ihipStream_tbEUlT_E_NS1_11comp_targetILNS1_3genE4ELNS1_11target_archE910ELNS1_3gpuE8ELNS1_3repE0EEENS1_30default_config_static_selectorELNS0_4arch9wavefront6targetE1EEEvSR_.has_dyn_sized_stack, 0
	.set _ZN7rocprim17ROCPRIM_400000_NS6detail17trampoline_kernelINS0_14default_configENS1_32segmented_reduce_config_selectorIN3c104HalfEEEZNS1_21segmented_reduce_implIS3_PKS6_PS6_PKiS6_N6hipcub16HIPCUB_304000_NS6detail27convert_result_type_wrapperISA_SB_N2at6native12_GLOBAL__N_110CustomProdEEEEE10hipError_tPvRmT0_T1_jT2_SS_T4_T3_P12ihipStream_tbEUlT_E_NS1_11comp_targetILNS1_3genE4ELNS1_11target_archE910ELNS1_3gpuE8ELNS1_3repE0EEENS1_30default_config_static_selectorELNS0_4arch9wavefront6targetE1EEEvSR_.has_recursion, 0
	.set _ZN7rocprim17ROCPRIM_400000_NS6detail17trampoline_kernelINS0_14default_configENS1_32segmented_reduce_config_selectorIN3c104HalfEEEZNS1_21segmented_reduce_implIS3_PKS6_PS6_PKiS6_N6hipcub16HIPCUB_304000_NS6detail27convert_result_type_wrapperISA_SB_N2at6native12_GLOBAL__N_110CustomProdEEEEE10hipError_tPvRmT0_T1_jT2_SS_T4_T3_P12ihipStream_tbEUlT_E_NS1_11comp_targetILNS1_3genE4ELNS1_11target_archE910ELNS1_3gpuE8ELNS1_3repE0EEENS1_30default_config_static_selectorELNS0_4arch9wavefront6targetE1EEEvSR_.has_indirect_call, 0
	.section	.AMDGPU.csdata,"",@progbits
; Kernel info:
; codeLenInByte = 0
; TotalNumSgprs: 4
; NumVgprs: 0
; ScratchSize: 0
; MemoryBound: 0
; FloatMode: 240
; IeeeMode: 1
; LDSByteSize: 0 bytes/workgroup (compile time only)
; SGPRBlocks: 0
; VGPRBlocks: 0
; NumSGPRsForWavesPerEU: 4
; NumVGPRsForWavesPerEU: 1
; Occupancy: 10
; WaveLimiterHint : 0
; COMPUTE_PGM_RSRC2:SCRATCH_EN: 0
; COMPUTE_PGM_RSRC2:USER_SGPR: 6
; COMPUTE_PGM_RSRC2:TRAP_HANDLER: 0
; COMPUTE_PGM_RSRC2:TGID_X_EN: 1
; COMPUTE_PGM_RSRC2:TGID_Y_EN: 0
; COMPUTE_PGM_RSRC2:TGID_Z_EN: 0
; COMPUTE_PGM_RSRC2:TIDIG_COMP_CNT: 0
	.section	.text._ZN7rocprim17ROCPRIM_400000_NS6detail17trampoline_kernelINS0_14default_configENS1_32segmented_reduce_config_selectorIN3c104HalfEEEZNS1_21segmented_reduce_implIS3_PKS6_PS6_PKiS6_N6hipcub16HIPCUB_304000_NS6detail27convert_result_type_wrapperISA_SB_N2at6native12_GLOBAL__N_110CustomProdEEEEE10hipError_tPvRmT0_T1_jT2_SS_T4_T3_P12ihipStream_tbEUlT_E_NS1_11comp_targetILNS1_3genE3ELNS1_11target_archE908ELNS1_3gpuE7ELNS1_3repE0EEENS1_30default_config_static_selectorELNS0_4arch9wavefront6targetE1EEEvSR_,"axG",@progbits,_ZN7rocprim17ROCPRIM_400000_NS6detail17trampoline_kernelINS0_14default_configENS1_32segmented_reduce_config_selectorIN3c104HalfEEEZNS1_21segmented_reduce_implIS3_PKS6_PS6_PKiS6_N6hipcub16HIPCUB_304000_NS6detail27convert_result_type_wrapperISA_SB_N2at6native12_GLOBAL__N_110CustomProdEEEEE10hipError_tPvRmT0_T1_jT2_SS_T4_T3_P12ihipStream_tbEUlT_E_NS1_11comp_targetILNS1_3genE3ELNS1_11target_archE908ELNS1_3gpuE7ELNS1_3repE0EEENS1_30default_config_static_selectorELNS0_4arch9wavefront6targetE1EEEvSR_,comdat
	.globl	_ZN7rocprim17ROCPRIM_400000_NS6detail17trampoline_kernelINS0_14default_configENS1_32segmented_reduce_config_selectorIN3c104HalfEEEZNS1_21segmented_reduce_implIS3_PKS6_PS6_PKiS6_N6hipcub16HIPCUB_304000_NS6detail27convert_result_type_wrapperISA_SB_N2at6native12_GLOBAL__N_110CustomProdEEEEE10hipError_tPvRmT0_T1_jT2_SS_T4_T3_P12ihipStream_tbEUlT_E_NS1_11comp_targetILNS1_3genE3ELNS1_11target_archE908ELNS1_3gpuE7ELNS1_3repE0EEENS1_30default_config_static_selectorELNS0_4arch9wavefront6targetE1EEEvSR_ ; -- Begin function _ZN7rocprim17ROCPRIM_400000_NS6detail17trampoline_kernelINS0_14default_configENS1_32segmented_reduce_config_selectorIN3c104HalfEEEZNS1_21segmented_reduce_implIS3_PKS6_PS6_PKiS6_N6hipcub16HIPCUB_304000_NS6detail27convert_result_type_wrapperISA_SB_N2at6native12_GLOBAL__N_110CustomProdEEEEE10hipError_tPvRmT0_T1_jT2_SS_T4_T3_P12ihipStream_tbEUlT_E_NS1_11comp_targetILNS1_3genE3ELNS1_11target_archE908ELNS1_3gpuE7ELNS1_3repE0EEENS1_30default_config_static_selectorELNS0_4arch9wavefront6targetE1EEEvSR_
	.p2align	8
	.type	_ZN7rocprim17ROCPRIM_400000_NS6detail17trampoline_kernelINS0_14default_configENS1_32segmented_reduce_config_selectorIN3c104HalfEEEZNS1_21segmented_reduce_implIS3_PKS6_PS6_PKiS6_N6hipcub16HIPCUB_304000_NS6detail27convert_result_type_wrapperISA_SB_N2at6native12_GLOBAL__N_110CustomProdEEEEE10hipError_tPvRmT0_T1_jT2_SS_T4_T3_P12ihipStream_tbEUlT_E_NS1_11comp_targetILNS1_3genE3ELNS1_11target_archE908ELNS1_3gpuE7ELNS1_3repE0EEENS1_30default_config_static_selectorELNS0_4arch9wavefront6targetE1EEEvSR_,@function
_ZN7rocprim17ROCPRIM_400000_NS6detail17trampoline_kernelINS0_14default_configENS1_32segmented_reduce_config_selectorIN3c104HalfEEEZNS1_21segmented_reduce_implIS3_PKS6_PS6_PKiS6_N6hipcub16HIPCUB_304000_NS6detail27convert_result_type_wrapperISA_SB_N2at6native12_GLOBAL__N_110CustomProdEEEEE10hipError_tPvRmT0_T1_jT2_SS_T4_T3_P12ihipStream_tbEUlT_E_NS1_11comp_targetILNS1_3genE3ELNS1_11target_archE908ELNS1_3gpuE7ELNS1_3repE0EEENS1_30default_config_static_selectorELNS0_4arch9wavefront6targetE1EEEvSR_: ; @_ZN7rocprim17ROCPRIM_400000_NS6detail17trampoline_kernelINS0_14default_configENS1_32segmented_reduce_config_selectorIN3c104HalfEEEZNS1_21segmented_reduce_implIS3_PKS6_PS6_PKiS6_N6hipcub16HIPCUB_304000_NS6detail27convert_result_type_wrapperISA_SB_N2at6native12_GLOBAL__N_110CustomProdEEEEE10hipError_tPvRmT0_T1_jT2_SS_T4_T3_P12ihipStream_tbEUlT_E_NS1_11comp_targetILNS1_3genE3ELNS1_11target_archE908ELNS1_3gpuE7ELNS1_3repE0EEENS1_30default_config_static_selectorELNS0_4arch9wavefront6targetE1EEEvSR_
; %bb.0:
	.section	.rodata,"a",@progbits
	.p2align	6, 0x0
	.amdhsa_kernel _ZN7rocprim17ROCPRIM_400000_NS6detail17trampoline_kernelINS0_14default_configENS1_32segmented_reduce_config_selectorIN3c104HalfEEEZNS1_21segmented_reduce_implIS3_PKS6_PS6_PKiS6_N6hipcub16HIPCUB_304000_NS6detail27convert_result_type_wrapperISA_SB_N2at6native12_GLOBAL__N_110CustomProdEEEEE10hipError_tPvRmT0_T1_jT2_SS_T4_T3_P12ihipStream_tbEUlT_E_NS1_11comp_targetILNS1_3genE3ELNS1_11target_archE908ELNS1_3gpuE7ELNS1_3repE0EEENS1_30default_config_static_selectorELNS0_4arch9wavefront6targetE1EEEvSR_
		.amdhsa_group_segment_fixed_size 0
		.amdhsa_private_segment_fixed_size 0
		.amdhsa_kernarg_size 48
		.amdhsa_user_sgpr_count 6
		.amdhsa_user_sgpr_private_segment_buffer 1
		.amdhsa_user_sgpr_dispatch_ptr 0
		.amdhsa_user_sgpr_queue_ptr 0
		.amdhsa_user_sgpr_kernarg_segment_ptr 1
		.amdhsa_user_sgpr_dispatch_id 0
		.amdhsa_user_sgpr_flat_scratch_init 0
		.amdhsa_user_sgpr_private_segment_size 0
		.amdhsa_uses_dynamic_stack 0
		.amdhsa_system_sgpr_private_segment_wavefront_offset 0
		.amdhsa_system_sgpr_workgroup_id_x 1
		.amdhsa_system_sgpr_workgroup_id_y 0
		.amdhsa_system_sgpr_workgroup_id_z 0
		.amdhsa_system_sgpr_workgroup_info 0
		.amdhsa_system_vgpr_workitem_id 0
		.amdhsa_next_free_vgpr 1
		.amdhsa_next_free_sgpr 0
		.amdhsa_reserve_vcc 0
		.amdhsa_reserve_flat_scratch 0
		.amdhsa_float_round_mode_32 0
		.amdhsa_float_round_mode_16_64 0
		.amdhsa_float_denorm_mode_32 3
		.amdhsa_float_denorm_mode_16_64 3
		.amdhsa_dx10_clamp 1
		.amdhsa_ieee_mode 1
		.amdhsa_fp16_overflow 0
		.amdhsa_exception_fp_ieee_invalid_op 0
		.amdhsa_exception_fp_denorm_src 0
		.amdhsa_exception_fp_ieee_div_zero 0
		.amdhsa_exception_fp_ieee_overflow 0
		.amdhsa_exception_fp_ieee_underflow 0
		.amdhsa_exception_fp_ieee_inexact 0
		.amdhsa_exception_int_div_zero 0
	.end_amdhsa_kernel
	.section	.text._ZN7rocprim17ROCPRIM_400000_NS6detail17trampoline_kernelINS0_14default_configENS1_32segmented_reduce_config_selectorIN3c104HalfEEEZNS1_21segmented_reduce_implIS3_PKS6_PS6_PKiS6_N6hipcub16HIPCUB_304000_NS6detail27convert_result_type_wrapperISA_SB_N2at6native12_GLOBAL__N_110CustomProdEEEEE10hipError_tPvRmT0_T1_jT2_SS_T4_T3_P12ihipStream_tbEUlT_E_NS1_11comp_targetILNS1_3genE3ELNS1_11target_archE908ELNS1_3gpuE7ELNS1_3repE0EEENS1_30default_config_static_selectorELNS0_4arch9wavefront6targetE1EEEvSR_,"axG",@progbits,_ZN7rocprim17ROCPRIM_400000_NS6detail17trampoline_kernelINS0_14default_configENS1_32segmented_reduce_config_selectorIN3c104HalfEEEZNS1_21segmented_reduce_implIS3_PKS6_PS6_PKiS6_N6hipcub16HIPCUB_304000_NS6detail27convert_result_type_wrapperISA_SB_N2at6native12_GLOBAL__N_110CustomProdEEEEE10hipError_tPvRmT0_T1_jT2_SS_T4_T3_P12ihipStream_tbEUlT_E_NS1_11comp_targetILNS1_3genE3ELNS1_11target_archE908ELNS1_3gpuE7ELNS1_3repE0EEENS1_30default_config_static_selectorELNS0_4arch9wavefront6targetE1EEEvSR_,comdat
.Lfunc_end106:
	.size	_ZN7rocprim17ROCPRIM_400000_NS6detail17trampoline_kernelINS0_14default_configENS1_32segmented_reduce_config_selectorIN3c104HalfEEEZNS1_21segmented_reduce_implIS3_PKS6_PS6_PKiS6_N6hipcub16HIPCUB_304000_NS6detail27convert_result_type_wrapperISA_SB_N2at6native12_GLOBAL__N_110CustomProdEEEEE10hipError_tPvRmT0_T1_jT2_SS_T4_T3_P12ihipStream_tbEUlT_E_NS1_11comp_targetILNS1_3genE3ELNS1_11target_archE908ELNS1_3gpuE7ELNS1_3repE0EEENS1_30default_config_static_selectorELNS0_4arch9wavefront6targetE1EEEvSR_, .Lfunc_end106-_ZN7rocprim17ROCPRIM_400000_NS6detail17trampoline_kernelINS0_14default_configENS1_32segmented_reduce_config_selectorIN3c104HalfEEEZNS1_21segmented_reduce_implIS3_PKS6_PS6_PKiS6_N6hipcub16HIPCUB_304000_NS6detail27convert_result_type_wrapperISA_SB_N2at6native12_GLOBAL__N_110CustomProdEEEEE10hipError_tPvRmT0_T1_jT2_SS_T4_T3_P12ihipStream_tbEUlT_E_NS1_11comp_targetILNS1_3genE3ELNS1_11target_archE908ELNS1_3gpuE7ELNS1_3repE0EEENS1_30default_config_static_selectorELNS0_4arch9wavefront6targetE1EEEvSR_
                                        ; -- End function
	.set _ZN7rocprim17ROCPRIM_400000_NS6detail17trampoline_kernelINS0_14default_configENS1_32segmented_reduce_config_selectorIN3c104HalfEEEZNS1_21segmented_reduce_implIS3_PKS6_PS6_PKiS6_N6hipcub16HIPCUB_304000_NS6detail27convert_result_type_wrapperISA_SB_N2at6native12_GLOBAL__N_110CustomProdEEEEE10hipError_tPvRmT0_T1_jT2_SS_T4_T3_P12ihipStream_tbEUlT_E_NS1_11comp_targetILNS1_3genE3ELNS1_11target_archE908ELNS1_3gpuE7ELNS1_3repE0EEENS1_30default_config_static_selectorELNS0_4arch9wavefront6targetE1EEEvSR_.num_vgpr, 0
	.set _ZN7rocprim17ROCPRIM_400000_NS6detail17trampoline_kernelINS0_14default_configENS1_32segmented_reduce_config_selectorIN3c104HalfEEEZNS1_21segmented_reduce_implIS3_PKS6_PS6_PKiS6_N6hipcub16HIPCUB_304000_NS6detail27convert_result_type_wrapperISA_SB_N2at6native12_GLOBAL__N_110CustomProdEEEEE10hipError_tPvRmT0_T1_jT2_SS_T4_T3_P12ihipStream_tbEUlT_E_NS1_11comp_targetILNS1_3genE3ELNS1_11target_archE908ELNS1_3gpuE7ELNS1_3repE0EEENS1_30default_config_static_selectorELNS0_4arch9wavefront6targetE1EEEvSR_.num_agpr, 0
	.set _ZN7rocprim17ROCPRIM_400000_NS6detail17trampoline_kernelINS0_14default_configENS1_32segmented_reduce_config_selectorIN3c104HalfEEEZNS1_21segmented_reduce_implIS3_PKS6_PS6_PKiS6_N6hipcub16HIPCUB_304000_NS6detail27convert_result_type_wrapperISA_SB_N2at6native12_GLOBAL__N_110CustomProdEEEEE10hipError_tPvRmT0_T1_jT2_SS_T4_T3_P12ihipStream_tbEUlT_E_NS1_11comp_targetILNS1_3genE3ELNS1_11target_archE908ELNS1_3gpuE7ELNS1_3repE0EEENS1_30default_config_static_selectorELNS0_4arch9wavefront6targetE1EEEvSR_.numbered_sgpr, 0
	.set _ZN7rocprim17ROCPRIM_400000_NS6detail17trampoline_kernelINS0_14default_configENS1_32segmented_reduce_config_selectorIN3c104HalfEEEZNS1_21segmented_reduce_implIS3_PKS6_PS6_PKiS6_N6hipcub16HIPCUB_304000_NS6detail27convert_result_type_wrapperISA_SB_N2at6native12_GLOBAL__N_110CustomProdEEEEE10hipError_tPvRmT0_T1_jT2_SS_T4_T3_P12ihipStream_tbEUlT_E_NS1_11comp_targetILNS1_3genE3ELNS1_11target_archE908ELNS1_3gpuE7ELNS1_3repE0EEENS1_30default_config_static_selectorELNS0_4arch9wavefront6targetE1EEEvSR_.num_named_barrier, 0
	.set _ZN7rocprim17ROCPRIM_400000_NS6detail17trampoline_kernelINS0_14default_configENS1_32segmented_reduce_config_selectorIN3c104HalfEEEZNS1_21segmented_reduce_implIS3_PKS6_PS6_PKiS6_N6hipcub16HIPCUB_304000_NS6detail27convert_result_type_wrapperISA_SB_N2at6native12_GLOBAL__N_110CustomProdEEEEE10hipError_tPvRmT0_T1_jT2_SS_T4_T3_P12ihipStream_tbEUlT_E_NS1_11comp_targetILNS1_3genE3ELNS1_11target_archE908ELNS1_3gpuE7ELNS1_3repE0EEENS1_30default_config_static_selectorELNS0_4arch9wavefront6targetE1EEEvSR_.private_seg_size, 0
	.set _ZN7rocprim17ROCPRIM_400000_NS6detail17trampoline_kernelINS0_14default_configENS1_32segmented_reduce_config_selectorIN3c104HalfEEEZNS1_21segmented_reduce_implIS3_PKS6_PS6_PKiS6_N6hipcub16HIPCUB_304000_NS6detail27convert_result_type_wrapperISA_SB_N2at6native12_GLOBAL__N_110CustomProdEEEEE10hipError_tPvRmT0_T1_jT2_SS_T4_T3_P12ihipStream_tbEUlT_E_NS1_11comp_targetILNS1_3genE3ELNS1_11target_archE908ELNS1_3gpuE7ELNS1_3repE0EEENS1_30default_config_static_selectorELNS0_4arch9wavefront6targetE1EEEvSR_.uses_vcc, 0
	.set _ZN7rocprim17ROCPRIM_400000_NS6detail17trampoline_kernelINS0_14default_configENS1_32segmented_reduce_config_selectorIN3c104HalfEEEZNS1_21segmented_reduce_implIS3_PKS6_PS6_PKiS6_N6hipcub16HIPCUB_304000_NS6detail27convert_result_type_wrapperISA_SB_N2at6native12_GLOBAL__N_110CustomProdEEEEE10hipError_tPvRmT0_T1_jT2_SS_T4_T3_P12ihipStream_tbEUlT_E_NS1_11comp_targetILNS1_3genE3ELNS1_11target_archE908ELNS1_3gpuE7ELNS1_3repE0EEENS1_30default_config_static_selectorELNS0_4arch9wavefront6targetE1EEEvSR_.uses_flat_scratch, 0
	.set _ZN7rocprim17ROCPRIM_400000_NS6detail17trampoline_kernelINS0_14default_configENS1_32segmented_reduce_config_selectorIN3c104HalfEEEZNS1_21segmented_reduce_implIS3_PKS6_PS6_PKiS6_N6hipcub16HIPCUB_304000_NS6detail27convert_result_type_wrapperISA_SB_N2at6native12_GLOBAL__N_110CustomProdEEEEE10hipError_tPvRmT0_T1_jT2_SS_T4_T3_P12ihipStream_tbEUlT_E_NS1_11comp_targetILNS1_3genE3ELNS1_11target_archE908ELNS1_3gpuE7ELNS1_3repE0EEENS1_30default_config_static_selectorELNS0_4arch9wavefront6targetE1EEEvSR_.has_dyn_sized_stack, 0
	.set _ZN7rocprim17ROCPRIM_400000_NS6detail17trampoline_kernelINS0_14default_configENS1_32segmented_reduce_config_selectorIN3c104HalfEEEZNS1_21segmented_reduce_implIS3_PKS6_PS6_PKiS6_N6hipcub16HIPCUB_304000_NS6detail27convert_result_type_wrapperISA_SB_N2at6native12_GLOBAL__N_110CustomProdEEEEE10hipError_tPvRmT0_T1_jT2_SS_T4_T3_P12ihipStream_tbEUlT_E_NS1_11comp_targetILNS1_3genE3ELNS1_11target_archE908ELNS1_3gpuE7ELNS1_3repE0EEENS1_30default_config_static_selectorELNS0_4arch9wavefront6targetE1EEEvSR_.has_recursion, 0
	.set _ZN7rocprim17ROCPRIM_400000_NS6detail17trampoline_kernelINS0_14default_configENS1_32segmented_reduce_config_selectorIN3c104HalfEEEZNS1_21segmented_reduce_implIS3_PKS6_PS6_PKiS6_N6hipcub16HIPCUB_304000_NS6detail27convert_result_type_wrapperISA_SB_N2at6native12_GLOBAL__N_110CustomProdEEEEE10hipError_tPvRmT0_T1_jT2_SS_T4_T3_P12ihipStream_tbEUlT_E_NS1_11comp_targetILNS1_3genE3ELNS1_11target_archE908ELNS1_3gpuE7ELNS1_3repE0EEENS1_30default_config_static_selectorELNS0_4arch9wavefront6targetE1EEEvSR_.has_indirect_call, 0
	.section	.AMDGPU.csdata,"",@progbits
; Kernel info:
; codeLenInByte = 0
; TotalNumSgprs: 4
; NumVgprs: 0
; ScratchSize: 0
; MemoryBound: 0
; FloatMode: 240
; IeeeMode: 1
; LDSByteSize: 0 bytes/workgroup (compile time only)
; SGPRBlocks: 0
; VGPRBlocks: 0
; NumSGPRsForWavesPerEU: 4
; NumVGPRsForWavesPerEU: 1
; Occupancy: 10
; WaveLimiterHint : 0
; COMPUTE_PGM_RSRC2:SCRATCH_EN: 0
; COMPUTE_PGM_RSRC2:USER_SGPR: 6
; COMPUTE_PGM_RSRC2:TRAP_HANDLER: 0
; COMPUTE_PGM_RSRC2:TGID_X_EN: 1
; COMPUTE_PGM_RSRC2:TGID_Y_EN: 0
; COMPUTE_PGM_RSRC2:TGID_Z_EN: 0
; COMPUTE_PGM_RSRC2:TIDIG_COMP_CNT: 0
	.section	.text._ZN7rocprim17ROCPRIM_400000_NS6detail17trampoline_kernelINS0_14default_configENS1_32segmented_reduce_config_selectorIN3c104HalfEEEZNS1_21segmented_reduce_implIS3_PKS6_PS6_PKiS6_N6hipcub16HIPCUB_304000_NS6detail27convert_result_type_wrapperISA_SB_N2at6native12_GLOBAL__N_110CustomProdEEEEE10hipError_tPvRmT0_T1_jT2_SS_T4_T3_P12ihipStream_tbEUlT_E_NS1_11comp_targetILNS1_3genE2ELNS1_11target_archE906ELNS1_3gpuE6ELNS1_3repE0EEENS1_30default_config_static_selectorELNS0_4arch9wavefront6targetE1EEEvSR_,"axG",@progbits,_ZN7rocprim17ROCPRIM_400000_NS6detail17trampoline_kernelINS0_14default_configENS1_32segmented_reduce_config_selectorIN3c104HalfEEEZNS1_21segmented_reduce_implIS3_PKS6_PS6_PKiS6_N6hipcub16HIPCUB_304000_NS6detail27convert_result_type_wrapperISA_SB_N2at6native12_GLOBAL__N_110CustomProdEEEEE10hipError_tPvRmT0_T1_jT2_SS_T4_T3_P12ihipStream_tbEUlT_E_NS1_11comp_targetILNS1_3genE2ELNS1_11target_archE906ELNS1_3gpuE6ELNS1_3repE0EEENS1_30default_config_static_selectorELNS0_4arch9wavefront6targetE1EEEvSR_,comdat
	.globl	_ZN7rocprim17ROCPRIM_400000_NS6detail17trampoline_kernelINS0_14default_configENS1_32segmented_reduce_config_selectorIN3c104HalfEEEZNS1_21segmented_reduce_implIS3_PKS6_PS6_PKiS6_N6hipcub16HIPCUB_304000_NS6detail27convert_result_type_wrapperISA_SB_N2at6native12_GLOBAL__N_110CustomProdEEEEE10hipError_tPvRmT0_T1_jT2_SS_T4_T3_P12ihipStream_tbEUlT_E_NS1_11comp_targetILNS1_3genE2ELNS1_11target_archE906ELNS1_3gpuE6ELNS1_3repE0EEENS1_30default_config_static_selectorELNS0_4arch9wavefront6targetE1EEEvSR_ ; -- Begin function _ZN7rocprim17ROCPRIM_400000_NS6detail17trampoline_kernelINS0_14default_configENS1_32segmented_reduce_config_selectorIN3c104HalfEEEZNS1_21segmented_reduce_implIS3_PKS6_PS6_PKiS6_N6hipcub16HIPCUB_304000_NS6detail27convert_result_type_wrapperISA_SB_N2at6native12_GLOBAL__N_110CustomProdEEEEE10hipError_tPvRmT0_T1_jT2_SS_T4_T3_P12ihipStream_tbEUlT_E_NS1_11comp_targetILNS1_3genE2ELNS1_11target_archE906ELNS1_3gpuE6ELNS1_3repE0EEENS1_30default_config_static_selectorELNS0_4arch9wavefront6targetE1EEEvSR_
	.p2align	8
	.type	_ZN7rocprim17ROCPRIM_400000_NS6detail17trampoline_kernelINS0_14default_configENS1_32segmented_reduce_config_selectorIN3c104HalfEEEZNS1_21segmented_reduce_implIS3_PKS6_PS6_PKiS6_N6hipcub16HIPCUB_304000_NS6detail27convert_result_type_wrapperISA_SB_N2at6native12_GLOBAL__N_110CustomProdEEEEE10hipError_tPvRmT0_T1_jT2_SS_T4_T3_P12ihipStream_tbEUlT_E_NS1_11comp_targetILNS1_3genE2ELNS1_11target_archE906ELNS1_3gpuE6ELNS1_3repE0EEENS1_30default_config_static_selectorELNS0_4arch9wavefront6targetE1EEEvSR_,@function
_ZN7rocprim17ROCPRIM_400000_NS6detail17trampoline_kernelINS0_14default_configENS1_32segmented_reduce_config_selectorIN3c104HalfEEEZNS1_21segmented_reduce_implIS3_PKS6_PS6_PKiS6_N6hipcub16HIPCUB_304000_NS6detail27convert_result_type_wrapperISA_SB_N2at6native12_GLOBAL__N_110CustomProdEEEEE10hipError_tPvRmT0_T1_jT2_SS_T4_T3_P12ihipStream_tbEUlT_E_NS1_11comp_targetILNS1_3genE2ELNS1_11target_archE906ELNS1_3gpuE6ELNS1_3repE0EEENS1_30default_config_static_selectorELNS0_4arch9wavefront6targetE1EEEvSR_: ; @_ZN7rocprim17ROCPRIM_400000_NS6detail17trampoline_kernelINS0_14default_configENS1_32segmented_reduce_config_selectorIN3c104HalfEEEZNS1_21segmented_reduce_implIS3_PKS6_PS6_PKiS6_N6hipcub16HIPCUB_304000_NS6detail27convert_result_type_wrapperISA_SB_N2at6native12_GLOBAL__N_110CustomProdEEEEE10hipError_tPvRmT0_T1_jT2_SS_T4_T3_P12ihipStream_tbEUlT_E_NS1_11comp_targetILNS1_3genE2ELNS1_11target_archE906ELNS1_3gpuE6ELNS1_3repE0EEENS1_30default_config_static_selectorELNS0_4arch9wavefront6targetE1EEEvSR_
; %bb.0:
	s_load_dword s2, s[4:5], 0x28
	s_load_dwordx8 s[36:43], s[4:5], 0x0
	s_load_dwordx2 s[0:1], s[4:5], 0x20
	s_mov_b32 s7, 0
	v_cmp_eq_u32_e32 vcc, 0, v0
	s_waitcnt lgkmcnt(0)
	s_lshr_b32 s33, s2, 16
	s_lshl_b64 s[2:3], s[40:41], 1
	s_add_u32 s44, s38, s2
	s_addc_u32 s45, s39, s3
	s_lshl_b64 s[2:3], s[40:41], 2
	s_add_u32 s4, s42, s2
	s_addc_u32 s5, s43, s3
	s_add_u32 s8, s0, s2
	s_addc_u32 s9, s1, s3
	s_lshl_b64 s[0:1], s[6:7], 2
	s_add_u32 s2, s4, s0
	s_addc_u32 s3, s5, s1
	s_add_u32 s0, s8, s0
	s_addc_u32 s1, s9, s1
	s_load_dword s34, s[2:3], 0x0
	s_load_dword s42, s[0:1], 0x0
	s_mov_b64 s[0:1], -1
	s_waitcnt lgkmcnt(0)
	s_cmp_gt_i32 s42, s34
	s_cbranch_scc1 .LBB107_4
; %bb.1:
	s_and_saveexec_b64 s[0:1], vcc
	s_cbranch_execz .LBB107_3
; %bb.2:
	s_lshl_b64 s[2:3], s[6:7], 1
	s_add_u32 s2, s44, s2
	s_addc_u32 s3, s45, s3
	v_mov_b32_e32 v1, 0
	v_mov_b32_e32 v2, s33
	global_store_short v1, v2, s[2:3]
.LBB107_3:
	s_or_b64 exec, exec, s[0:1]
	s_mov_b64 s[0:1], 0
.LBB107_4:
	s_andn2_b64 vcc, exec, s[0:1]
	s_cbranch_vccnz .LBB107_69
; %bb.5:
	s_add_i32 s0, s34, 0x1000
	s_cmp_le_i32 s0, s42
	s_movk_i32 s1, 0x1000
	s_cbranch_scc0 .LBB107_46
; %bb.6:
	s_ashr_i32 s35, s34, 31
	s_lshl_b64 s[2:3], s[34:35], 1
	s_add_u32 s2, s36, s2
	s_addc_u32 s3, s37, s3
	v_lshlrev_b32_e32 v18, 1, v0
	v_mov_b32_e32 v1, s3
	v_add_co_u32_e32 v9, vcc, s2, v18
	v_addc_co_u32_e32 v10, vcc, 0, v1, vcc
	global_load_ushort v1, v18, s[2:3]
	global_load_ushort v2, v18, s[2:3] offset:512
	global_load_ushort v3, v18, s[2:3] offset:1024
	;; [unrolled: 1-line block ×7, first 2 shown]
	v_add_co_u32_e32 v19, vcc, s1, v9
	v_addc_co_u32_e32 v20, vcc, 0, v10, vcc
	global_load_ushort v9, v[19:20], off
	global_load_ushort v10, v[19:20], off offset:512
	global_load_ushort v11, v[19:20], off offset:1024
	;; [unrolled: 1-line block ×7, first 2 shown]
	s_add_i32 s1, s34, 0x2000
	s_cmp_ge_i32 s1, s42
	s_waitcnt vmcnt(14)
	v_mul_f16_e32 v17, v1, v2
	s_waitcnt vmcnt(13)
	v_mul_f16_e32 v17, v17, v3
	;; [unrolled: 2-line block ×15, first 2 shown]
	s_cbranch_scc1 .LBB107_9
; %bb.7:
	v_mov_b32_e32 v1, s37
	v_add_co_u32_e32 v19, vcc, s36, v18
	v_addc_co_u32_e32 v20, vcc, 0, v1, vcc
	s_movk_i32 s1, 0x1000
.LBB107_8:                              ; =>This Inner Loop Header: Depth=1
	s_mov_b32 s2, s0
	s_ashr_i32 s3, s0, 31
	s_lshl_b64 s[4:5], s[2:3], 1
	v_mov_b32_e32 v1, s5
	v_add_co_u32_e32 v9, vcc, s4, v19
	v_addc_co_u32_e32 v10, vcc, v20, v1, vcc
	global_load_ushort v1, v[9:10], off
	global_load_ushort v2, v[9:10], off offset:512
	global_load_ushort v3, v[9:10], off offset:1024
	;; [unrolled: 1-line block ×7, first 2 shown]
	v_add_co_u32_e32 v21, vcc, s1, v9
	v_addc_co_u32_e32 v22, vcc, 0, v10, vcc
	global_load_ushort v9, v[21:22], off
	global_load_ushort v10, v[21:22], off offset:512
	global_load_ushort v11, v[21:22], off offset:1024
	;; [unrolled: 1-line block ×7, first 2 shown]
	s_addk_i32 s0, 0x1000
	s_addk_i32 s2, 0x2000
	s_cmp_lt_i32 s2, s42
	s_waitcnt vmcnt(15)
	v_mul_f16_e32 v17, v17, v1
	s_waitcnt vmcnt(14)
	v_mul_f16_e32 v17, v17, v2
	;; [unrolled: 2-line block ×16, first 2 shown]
	s_cbranch_scc1 .LBB107_8
.LBB107_9:
	s_ashr_i32 s1, s0, 31
	s_sub_i32 s35, s42, s0
	s_lshl_b64 s[0:1], s[0:1], 1
	s_add_u32 s38, s36, s0
	s_addc_u32 s39, s37, s1
	v_cmp_gt_u32_e32 vcc, s35, v0
	s_and_saveexec_b64 s[0:1], vcc
	s_cbranch_execz .LBB107_11
; %bb.10:
	global_load_ushort v1, v18, s[38:39]
.LBB107_11:
	s_or_b64 exec, exec, s[0:1]
	v_or_b32_e32 v19, 0x100, v0
	v_cmp_gt_u32_e64 s[0:1], s35, v19
	s_and_saveexec_b64 s[2:3], s[0:1]
	s_cbranch_execz .LBB107_13
; %bb.12:
	global_load_ushort v2, v18, s[38:39] offset:512
.LBB107_13:
	s_or_b64 exec, exec, s[2:3]
	v_or_b32_e32 v19, 0x200, v0
	v_cmp_gt_u32_e64 s[2:3], s35, v19
	s_and_saveexec_b64 s[4:5], s[2:3]
	s_cbranch_execz .LBB107_15
; %bb.14:
	global_load_ushort v3, v18, s[38:39] offset:1024
.LBB107_15:
	;; [unrolled: 8-line block ×7, first 2 shown]
	s_or_b64 exec, exec, s[16:17]
	v_or_b32_e32 v18, 0x800, v0
	v_cmp_gt_u32_e64 s[16:17], s35, v18
	s_and_saveexec_b64 s[18:19], s[16:17]
	s_cbranch_execz .LBB107_27
; %bb.26:
	v_lshlrev_b32_e32 v9, 1, v18
	global_load_ushort v9, v9, s[38:39]
.LBB107_27:
	s_or_b64 exec, exec, s[18:19]
	v_or_b32_e32 v18, 0x900, v0
	v_cmp_gt_u32_e64 s[18:19], s35, v18
	s_and_saveexec_b64 s[20:21], s[18:19]
	s_cbranch_execz .LBB107_29
; %bb.28:
	v_lshlrev_b32_e32 v10, 1, v18
	global_load_ushort v10, v10, s[38:39]
.LBB107_29:
	;; [unrolled: 9-line block ×8, first 2 shown]
	s_or_b64 exec, exec, s[40:41]
	s_waitcnt vmcnt(0)
	v_mul_f16_e32 v1, v17, v1
	v_cndmask_b32_e32 v1, v17, v1, vcc
	v_mul_f16_e32 v2, v1, v2
	v_cndmask_b32_e64 v1, v1, v2, s[0:1]
	v_mul_f16_e32 v2, v1, v3
	v_cndmask_b32_e64 v1, v1, v2, s[2:3]
	;; [unrolled: 2-line block ×15, first 2 shown]
	v_and_b32_e32 v3, 0xffff, v2
	v_mbcnt_lo_u32_b32 v1, -1, 0
	v_mbcnt_hi_u32_b32 v1, -1, v1
	v_mul_f16_dpp v2, v3, v2 quad_perm:[1,0,3,2] row_mask:0xf bank_mask:0xf bound_ctrl:1
	v_lshlrev_b32_e32 v3, 2, v1
	v_or_b32_e32 v4, 0xfc, v3
	v_mul_f16_dpp v2, v2, v2 quad_perm:[2,3,0,1] row_mask:0xf bank_mask:0xf bound_ctrl:1
	v_cmp_eq_u32_e32 vcc, 0, v1
	s_nop 0
	v_mul_f16_dpp v2, v2, v2 row_ror:4 row_mask:0xf bank_mask:0xf bound_ctrl:1
	s_nop 1
	v_mul_f16_dpp v2, v2, v2 row_ror:8 row_mask:0xf bank_mask:0xf bound_ctrl:1
	s_nop 1
	v_mul_f16_dpp v2, v2, v2 row_bcast:15 row_mask:0xf bank_mask:0xf bound_ctrl:1
	s_nop 1
	v_mul_f16_dpp v2, v2, v2 row_bcast:31 row_mask:0xf bank_mask:0xf bound_ctrl:1
	ds_bpermute_b32 v2, v4, v2
	s_and_saveexec_b64 s[0:1], vcc
	s_cbranch_execz .LBB107_43
; %bb.42:
	v_lshrrev_b32_e32 v4, 5, v0
	v_and_b32_e32 v4, 6, v4
	s_waitcnt lgkmcnt(0)
	ds_write_b16 v4, v2
.LBB107_43:
	s_or_b64 exec, exec, s[0:1]
	v_cmp_gt_u32_e32 vcc, 64, v0
	s_waitcnt lgkmcnt(0)
	s_barrier
	s_and_saveexec_b64 s[0:1], vcc
	s_cbranch_execz .LBB107_45
; %bb.44:
	v_and_b32_e32 v2, 3, v1
	v_lshlrev_b32_e32 v4, 1, v2
	ds_read_u16 v4, v4
	v_cmp_ne_u32_e32 vcc, 3, v2
	v_addc_co_u32_e32 v1, vcc, 0, v1, vcc
	v_lshlrev_b32_e32 v1, 2, v1
	s_waitcnt lgkmcnt(0)
	v_and_b32_e32 v2, 0xffff, v4
	ds_bpermute_b32 v1, v1, v2
	v_or_b32_e32 v2, 8, v3
	s_waitcnt lgkmcnt(0)
	v_mul_f16_e32 v1, v4, v1
	ds_bpermute_b32 v2, v2, v1
	s_waitcnt lgkmcnt(0)
	v_mul_f16_e32 v2, v1, v2
.LBB107_45:
	s_or_b64 exec, exec, s[0:1]
	s_branch .LBB107_67
.LBB107_46:
                                        ; implicit-def: $vgpr2
	s_cbranch_execz .LBB107_67
; %bb.47:
	s_sub_i32 s12, s42, s34
	v_cmp_gt_u32_e32 vcc, s12, v0
                                        ; implicit-def: $vgpr3
	s_and_saveexec_b64 s[0:1], vcc
	s_cbranch_execz .LBB107_53
; %bb.48:
	v_add_u32_e32 v1, s34, v0
	v_ashrrev_i32_e32 v2, 31, v1
	v_lshlrev_b64 v[2:3], 1, v[1:2]
	v_mov_b32_e32 v4, s37
	v_add_co_u32_e32 v2, vcc, s36, v2
	v_addc_co_u32_e32 v3, vcc, v4, v3, vcc
	global_load_ushort v3, v[2:3], off
	v_add_u32_e32 v1, 0x100, v1
	v_cmp_gt_i32_e32 vcc, s42, v1
	s_and_saveexec_b64 s[2:3], vcc
	s_cbranch_execz .LBB107_52
; %bb.49:
	s_mov_b64 s[4:5], 0
	v_mov_b32_e32 v4, s37
.LBB107_50:                             ; =>This Inner Loop Header: Depth=1
	v_ashrrev_i32_e32 v2, 31, v1
	v_lshlrev_b64 v[5:6], 1, v[1:2]
	v_add_u32_e32 v1, 0x100, v1
	v_add_co_u32_e32 v5, vcc, s36, v5
	v_addc_co_u32_e32 v6, vcc, v4, v6, vcc
	global_load_ushort v2, v[5:6], off
	v_cmp_le_i32_e32 vcc, s42, v1
	s_or_b64 s[4:5], vcc, s[4:5]
	s_waitcnt vmcnt(0)
	v_mul_f16_e32 v3, v3, v2
	s_andn2_b64 exec, exec, s[4:5]
	s_cbranch_execnz .LBB107_50
; %bb.51:
	s_or_b64 exec, exec, s[4:5]
.LBB107_52:
	s_or_b64 exec, exec, s[2:3]
.LBB107_53:
	s_or_b64 exec, exec, s[0:1]
	s_cmpk_lt_u32 s12, 0x100
	v_mbcnt_lo_u32_b32 v1, -1, 0
	s_cbranch_scc0 .LBB107_61
; %bb.54:
	v_mbcnt_hi_u32_b32 v4, -1, v1
	v_and_b32_e32 v6, 63, v4
	v_cmp_ne_u32_e32 vcc, 63, v6
	v_addc_co_u32_e32 v2, vcc, 0, v4, vcc
	v_lshlrev_b32_e32 v2, 2, v2
	s_waitcnt vmcnt(0)
	v_and_b32_e32 v7, 0xffff, v3
	ds_bpermute_b32 v2, v2, v7
	v_and_b32_e32 v5, 0xc0, v0
	v_sub_u32_e64 v5, s12, v5 clamp
	v_add_u32_e32 v9, 1, v6
	v_cmp_lt_u32_e64 s[8:9], v9, v5
	s_waitcnt lgkmcnt(0)
	v_mul_f16_e32 v8, v3, v2
	v_cmp_gt_u32_e32 vcc, 62, v6
	v_cndmask_b32_e64 v2, v7, v8, s[8:9]
	v_cndmask_b32_e64 v7, 0, 2, vcc
	v_add_lshl_u32 v7, v7, v4, 2
	ds_bpermute_b32 v7, v7, v2
	v_add_u32_e32 v10, 2, v6
	v_cndmask_b32_e64 v11, v3, v8, s[8:9]
	v_cmp_gt_u32_e64 s[0:1], 60, v6
	v_cmp_lt_u32_e32 vcc, v10, v5
	s_waitcnt lgkmcnt(0)
	v_mul_f16_e32 v9, v11, v7
	v_cndmask_b32_e64 v7, 0, 4, s[0:1]
	v_cndmask_b32_e32 v2, v2, v9, vcc
	v_add_lshl_u32 v7, v7, v4, 2
	ds_bpermute_b32 v7, v7, v2
	v_add_u32_e32 v12, 4, v6
	v_cndmask_b32_e32 v11, v11, v9, vcc
	v_cmp_gt_u32_e64 s[2:3], 56, v6
	v_cmp_lt_u32_e64 s[0:1], v12, v5
	s_waitcnt lgkmcnt(0)
	v_mul_f16_e32 v10, v11, v7
	v_cndmask_b32_e64 v7, 0, 8, s[2:3]
	v_cndmask_b32_e64 v2, v2, v10, s[0:1]
	v_add_lshl_u32 v7, v7, v4, 2
	ds_bpermute_b32 v7, v7, v2
	v_add_u32_e32 v12, 8, v6
	v_cndmask_b32_e64 v13, v11, v10, s[0:1]
	v_cmp_gt_u32_e64 s[4:5], 48, v6
	v_cmp_lt_u32_e64 s[2:3], v12, v5
	s_waitcnt lgkmcnt(0)
	v_mul_f16_e32 v11, v13, v7
	v_cndmask_b32_e64 v7, 0, 16, s[4:5]
	v_cndmask_b32_e64 v2, v2, v11, s[2:3]
	v_add_lshl_u32 v7, v7, v4, 2
	ds_bpermute_b32 v7, v7, v2
	v_add_u32_e32 v14, 16, v6
	v_cndmask_b32_e64 v13, v13, v11, s[2:3]
	v_cmp_lt_u32_e64 s[4:5], v14, v5
	s_waitcnt lgkmcnt(0)
	v_mul_f16_e32 v12, v13, v7
	v_lshlrev_b32_e32 v7, 2, v4
	v_cndmask_b32_e64 v2, v2, v12, s[4:5]
	v_or_b32_e32 v14, 0x80, v7
	ds_bpermute_b32 v14, v14, v2
	v_mov_b32_e32 v2, v3
	s_and_saveexec_b64 s[10:11], s[8:9]
	s_cbranch_execz .LBB107_56
; %bb.55:
	v_cndmask_b32_e32 v8, v8, v9, vcc
	v_cndmask_b32_e64 v8, v8, v10, s[0:1]
	v_add_u32_e32 v2, 32, v6
	v_cndmask_b32_e64 v6, v13, v12, s[4:5]
	v_cndmask_b32_e64 v8, v8, v11, s[2:3]
	s_waitcnt lgkmcnt(0)
	v_mul_f16_e32 v6, v6, v14
	v_cndmask_b32_e64 v8, v8, v12, s[4:5]
	v_cmp_lt_u32_e32 vcc, v2, v5
	v_cndmask_b32_e32 v2, v8, v6, vcc
.LBB107_56:
	s_or_b64 exec, exec, s[10:11]
	v_cmp_eq_u32_e32 vcc, 0, v4
	s_and_saveexec_b64 s[0:1], vcc
; %bb.57:
	v_lshrrev_b32_e32 v5, 5, v0
	v_and_b32_e32 v5, 6, v5
	ds_write_b16 v5, v2
; %bb.58:
	s_or_b64 exec, exec, s[0:1]
	v_cmp_gt_u32_e32 vcc, 4, v0
	s_waitcnt lgkmcnt(0)
	s_barrier
	s_and_saveexec_b64 s[2:3], vcc
	s_cbranch_execz .LBB107_60
; %bb.59:
	v_lshlrev_b32_e32 v2, 1, v4
	ds_read_u16 v2, v2
	v_and_b32_e32 v5, 3, v4
	v_cmp_ne_u32_e32 vcc, 3, v5
	v_addc_co_u32_e32 v4, vcc, 0, v4, vcc
	v_lshlrev_b32_e32 v4, 2, v4
	s_waitcnt lgkmcnt(0)
	v_and_b32_e32 v6, 0xffff, v2
	ds_bpermute_b32 v4, v4, v6
	s_add_i32 s12, s12, 63
	s_lshr_b32 s0, s12, 6
	v_add_u32_e32 v8, 1, v5
	v_cmp_gt_u32_e32 vcc, s0, v8
	s_waitcnt lgkmcnt(0)
	v_mul_f16_e32 v4, v2, v4
	v_cndmask_b32_e32 v6, v6, v4, vcc
	v_or_b32_e32 v7, 8, v7
	ds_bpermute_b32 v6, v7, v6
	v_add_u32_e32 v5, 2, v5
	v_cmp_gt_u32_e64 s[0:1], s0, v5
	s_waitcnt lgkmcnt(0)
	v_mul_f16_e32 v6, v4, v6
	v_cndmask_b32_e64 v4, v4, v6, s[0:1]
	v_cndmask_b32_e32 v2, v2, v4, vcc
.LBB107_60:
	s_or_b64 exec, exec, s[2:3]
	s_branch .LBB107_67
.LBB107_61:
                                        ; implicit-def: $vgpr2
	s_cbranch_execz .LBB107_67
; %bb.62:
	s_waitcnt vmcnt(0)
	v_and_b32_e32 v2, 0xffff, v3
	v_mbcnt_hi_u32_b32 v1, -1, v1
	v_cmp_eq_u32_e32 vcc, 0, v1
	v_mul_f16_dpp v2, v2, v3 quad_perm:[1,0,3,2] row_mask:0xf bank_mask:0xf bound_ctrl:1
	v_lshlrev_b32_e32 v3, 2, v1
	v_or_b32_e32 v4, 0xfc, v3
	v_mul_f16_dpp v2, v2, v2 quad_perm:[2,3,0,1] row_mask:0xf bank_mask:0xf bound_ctrl:1
	s_nop 1
	v_mul_f16_dpp v2, v2, v2 row_ror:4 row_mask:0xf bank_mask:0xf bound_ctrl:1
	s_nop 1
	v_mul_f16_dpp v2, v2, v2 row_ror:8 row_mask:0xf bank_mask:0xf bound_ctrl:1
	s_nop 1
	v_mul_f16_dpp v2, v2, v2 row_bcast:15 row_mask:0xf bank_mask:0xf bound_ctrl:1
	s_nop 1
	v_mul_f16_dpp v2, v2, v2 row_bcast:31 row_mask:0xf bank_mask:0xf bound_ctrl:1
	ds_bpermute_b32 v2, v4, v2
	s_and_saveexec_b64 s[0:1], vcc
	s_cbranch_execz .LBB107_64
; %bb.63:
	v_lshrrev_b32_e32 v4, 5, v0
	v_and_b32_e32 v4, 6, v4
	s_waitcnt lgkmcnt(0)
	ds_write_b16 v4, v2
.LBB107_64:
	s_or_b64 exec, exec, s[0:1]
	v_cmp_gt_u32_e32 vcc, 64, v0
	s_waitcnt lgkmcnt(0)
	s_barrier
	s_and_saveexec_b64 s[0:1], vcc
	s_cbranch_execz .LBB107_66
; %bb.65:
	v_and_b32_e32 v2, 3, v1
	v_lshlrev_b32_e32 v4, 1, v2
	ds_read_u16 v4, v4
	v_cmp_ne_u32_e32 vcc, 3, v2
	v_addc_co_u32_e32 v1, vcc, 0, v1, vcc
	v_lshlrev_b32_e32 v1, 2, v1
	s_waitcnt lgkmcnt(0)
	v_and_b32_e32 v2, 0xffff, v4
	ds_bpermute_b32 v1, v1, v2
	v_or_b32_e32 v2, 8, v3
	s_waitcnt lgkmcnt(0)
	v_mul_f16_e32 v1, v4, v1
	ds_bpermute_b32 v2, v2, v1
	s_waitcnt lgkmcnt(0)
	v_mul_f16_e32 v2, v1, v2
.LBB107_66:
	s_or_b64 exec, exec, s[0:1]
.LBB107_67:
	v_cmp_eq_u32_e32 vcc, 0, v0
	s_and_saveexec_b64 s[0:1], vcc
	s_cbranch_execz .LBB107_69
; %bb.68:
	s_lshl_b64 s[0:1], s[6:7], 1
	s_add_u32 s0, s44, s0
	s_addc_u32 s1, s45, s1
	v_mov_b32_e32 v0, 0
	v_mul_f16_e32 v1, s33, v2
	global_store_short v0, v1, s[0:1]
.LBB107_69:
	s_endpgm
	.section	.rodata,"a",@progbits
	.p2align	6, 0x0
	.amdhsa_kernel _ZN7rocprim17ROCPRIM_400000_NS6detail17trampoline_kernelINS0_14default_configENS1_32segmented_reduce_config_selectorIN3c104HalfEEEZNS1_21segmented_reduce_implIS3_PKS6_PS6_PKiS6_N6hipcub16HIPCUB_304000_NS6detail27convert_result_type_wrapperISA_SB_N2at6native12_GLOBAL__N_110CustomProdEEEEE10hipError_tPvRmT0_T1_jT2_SS_T4_T3_P12ihipStream_tbEUlT_E_NS1_11comp_targetILNS1_3genE2ELNS1_11target_archE906ELNS1_3gpuE6ELNS1_3repE0EEENS1_30default_config_static_selectorELNS0_4arch9wavefront6targetE1EEEvSR_
		.amdhsa_group_segment_fixed_size 8
		.amdhsa_private_segment_fixed_size 0
		.amdhsa_kernarg_size 48
		.amdhsa_user_sgpr_count 6
		.amdhsa_user_sgpr_private_segment_buffer 1
		.amdhsa_user_sgpr_dispatch_ptr 0
		.amdhsa_user_sgpr_queue_ptr 0
		.amdhsa_user_sgpr_kernarg_segment_ptr 1
		.amdhsa_user_sgpr_dispatch_id 0
		.amdhsa_user_sgpr_flat_scratch_init 0
		.amdhsa_user_sgpr_private_segment_size 0
		.amdhsa_uses_dynamic_stack 0
		.amdhsa_system_sgpr_private_segment_wavefront_offset 0
		.amdhsa_system_sgpr_workgroup_id_x 1
		.amdhsa_system_sgpr_workgroup_id_y 0
		.amdhsa_system_sgpr_workgroup_id_z 0
		.amdhsa_system_sgpr_workgroup_info 0
		.amdhsa_system_vgpr_workitem_id 0
		.amdhsa_next_free_vgpr 23
		.amdhsa_next_free_sgpr 46
		.amdhsa_reserve_vcc 1
		.amdhsa_reserve_flat_scratch 0
		.amdhsa_float_round_mode_32 0
		.amdhsa_float_round_mode_16_64 0
		.amdhsa_float_denorm_mode_32 3
		.amdhsa_float_denorm_mode_16_64 3
		.amdhsa_dx10_clamp 1
		.amdhsa_ieee_mode 1
		.amdhsa_fp16_overflow 0
		.amdhsa_exception_fp_ieee_invalid_op 0
		.amdhsa_exception_fp_denorm_src 0
		.amdhsa_exception_fp_ieee_div_zero 0
		.amdhsa_exception_fp_ieee_overflow 0
		.amdhsa_exception_fp_ieee_underflow 0
		.amdhsa_exception_fp_ieee_inexact 0
		.amdhsa_exception_int_div_zero 0
	.end_amdhsa_kernel
	.section	.text._ZN7rocprim17ROCPRIM_400000_NS6detail17trampoline_kernelINS0_14default_configENS1_32segmented_reduce_config_selectorIN3c104HalfEEEZNS1_21segmented_reduce_implIS3_PKS6_PS6_PKiS6_N6hipcub16HIPCUB_304000_NS6detail27convert_result_type_wrapperISA_SB_N2at6native12_GLOBAL__N_110CustomProdEEEEE10hipError_tPvRmT0_T1_jT2_SS_T4_T3_P12ihipStream_tbEUlT_E_NS1_11comp_targetILNS1_3genE2ELNS1_11target_archE906ELNS1_3gpuE6ELNS1_3repE0EEENS1_30default_config_static_selectorELNS0_4arch9wavefront6targetE1EEEvSR_,"axG",@progbits,_ZN7rocprim17ROCPRIM_400000_NS6detail17trampoline_kernelINS0_14default_configENS1_32segmented_reduce_config_selectorIN3c104HalfEEEZNS1_21segmented_reduce_implIS3_PKS6_PS6_PKiS6_N6hipcub16HIPCUB_304000_NS6detail27convert_result_type_wrapperISA_SB_N2at6native12_GLOBAL__N_110CustomProdEEEEE10hipError_tPvRmT0_T1_jT2_SS_T4_T3_P12ihipStream_tbEUlT_E_NS1_11comp_targetILNS1_3genE2ELNS1_11target_archE906ELNS1_3gpuE6ELNS1_3repE0EEENS1_30default_config_static_selectorELNS0_4arch9wavefront6targetE1EEEvSR_,comdat
.Lfunc_end107:
	.size	_ZN7rocprim17ROCPRIM_400000_NS6detail17trampoline_kernelINS0_14default_configENS1_32segmented_reduce_config_selectorIN3c104HalfEEEZNS1_21segmented_reduce_implIS3_PKS6_PS6_PKiS6_N6hipcub16HIPCUB_304000_NS6detail27convert_result_type_wrapperISA_SB_N2at6native12_GLOBAL__N_110CustomProdEEEEE10hipError_tPvRmT0_T1_jT2_SS_T4_T3_P12ihipStream_tbEUlT_E_NS1_11comp_targetILNS1_3genE2ELNS1_11target_archE906ELNS1_3gpuE6ELNS1_3repE0EEENS1_30default_config_static_selectorELNS0_4arch9wavefront6targetE1EEEvSR_, .Lfunc_end107-_ZN7rocprim17ROCPRIM_400000_NS6detail17trampoline_kernelINS0_14default_configENS1_32segmented_reduce_config_selectorIN3c104HalfEEEZNS1_21segmented_reduce_implIS3_PKS6_PS6_PKiS6_N6hipcub16HIPCUB_304000_NS6detail27convert_result_type_wrapperISA_SB_N2at6native12_GLOBAL__N_110CustomProdEEEEE10hipError_tPvRmT0_T1_jT2_SS_T4_T3_P12ihipStream_tbEUlT_E_NS1_11comp_targetILNS1_3genE2ELNS1_11target_archE906ELNS1_3gpuE6ELNS1_3repE0EEENS1_30default_config_static_selectorELNS0_4arch9wavefront6targetE1EEEvSR_
                                        ; -- End function
	.set _ZN7rocprim17ROCPRIM_400000_NS6detail17trampoline_kernelINS0_14default_configENS1_32segmented_reduce_config_selectorIN3c104HalfEEEZNS1_21segmented_reduce_implIS3_PKS6_PS6_PKiS6_N6hipcub16HIPCUB_304000_NS6detail27convert_result_type_wrapperISA_SB_N2at6native12_GLOBAL__N_110CustomProdEEEEE10hipError_tPvRmT0_T1_jT2_SS_T4_T3_P12ihipStream_tbEUlT_E_NS1_11comp_targetILNS1_3genE2ELNS1_11target_archE906ELNS1_3gpuE6ELNS1_3repE0EEENS1_30default_config_static_selectorELNS0_4arch9wavefront6targetE1EEEvSR_.num_vgpr, 23
	.set _ZN7rocprim17ROCPRIM_400000_NS6detail17trampoline_kernelINS0_14default_configENS1_32segmented_reduce_config_selectorIN3c104HalfEEEZNS1_21segmented_reduce_implIS3_PKS6_PS6_PKiS6_N6hipcub16HIPCUB_304000_NS6detail27convert_result_type_wrapperISA_SB_N2at6native12_GLOBAL__N_110CustomProdEEEEE10hipError_tPvRmT0_T1_jT2_SS_T4_T3_P12ihipStream_tbEUlT_E_NS1_11comp_targetILNS1_3genE2ELNS1_11target_archE906ELNS1_3gpuE6ELNS1_3repE0EEENS1_30default_config_static_selectorELNS0_4arch9wavefront6targetE1EEEvSR_.num_agpr, 0
	.set _ZN7rocprim17ROCPRIM_400000_NS6detail17trampoline_kernelINS0_14default_configENS1_32segmented_reduce_config_selectorIN3c104HalfEEEZNS1_21segmented_reduce_implIS3_PKS6_PS6_PKiS6_N6hipcub16HIPCUB_304000_NS6detail27convert_result_type_wrapperISA_SB_N2at6native12_GLOBAL__N_110CustomProdEEEEE10hipError_tPvRmT0_T1_jT2_SS_T4_T3_P12ihipStream_tbEUlT_E_NS1_11comp_targetILNS1_3genE2ELNS1_11target_archE906ELNS1_3gpuE6ELNS1_3repE0EEENS1_30default_config_static_selectorELNS0_4arch9wavefront6targetE1EEEvSR_.numbered_sgpr, 46
	.set _ZN7rocprim17ROCPRIM_400000_NS6detail17trampoline_kernelINS0_14default_configENS1_32segmented_reduce_config_selectorIN3c104HalfEEEZNS1_21segmented_reduce_implIS3_PKS6_PS6_PKiS6_N6hipcub16HIPCUB_304000_NS6detail27convert_result_type_wrapperISA_SB_N2at6native12_GLOBAL__N_110CustomProdEEEEE10hipError_tPvRmT0_T1_jT2_SS_T4_T3_P12ihipStream_tbEUlT_E_NS1_11comp_targetILNS1_3genE2ELNS1_11target_archE906ELNS1_3gpuE6ELNS1_3repE0EEENS1_30default_config_static_selectorELNS0_4arch9wavefront6targetE1EEEvSR_.num_named_barrier, 0
	.set _ZN7rocprim17ROCPRIM_400000_NS6detail17trampoline_kernelINS0_14default_configENS1_32segmented_reduce_config_selectorIN3c104HalfEEEZNS1_21segmented_reduce_implIS3_PKS6_PS6_PKiS6_N6hipcub16HIPCUB_304000_NS6detail27convert_result_type_wrapperISA_SB_N2at6native12_GLOBAL__N_110CustomProdEEEEE10hipError_tPvRmT0_T1_jT2_SS_T4_T3_P12ihipStream_tbEUlT_E_NS1_11comp_targetILNS1_3genE2ELNS1_11target_archE906ELNS1_3gpuE6ELNS1_3repE0EEENS1_30default_config_static_selectorELNS0_4arch9wavefront6targetE1EEEvSR_.private_seg_size, 0
	.set _ZN7rocprim17ROCPRIM_400000_NS6detail17trampoline_kernelINS0_14default_configENS1_32segmented_reduce_config_selectorIN3c104HalfEEEZNS1_21segmented_reduce_implIS3_PKS6_PS6_PKiS6_N6hipcub16HIPCUB_304000_NS6detail27convert_result_type_wrapperISA_SB_N2at6native12_GLOBAL__N_110CustomProdEEEEE10hipError_tPvRmT0_T1_jT2_SS_T4_T3_P12ihipStream_tbEUlT_E_NS1_11comp_targetILNS1_3genE2ELNS1_11target_archE906ELNS1_3gpuE6ELNS1_3repE0EEENS1_30default_config_static_selectorELNS0_4arch9wavefront6targetE1EEEvSR_.uses_vcc, 1
	.set _ZN7rocprim17ROCPRIM_400000_NS6detail17trampoline_kernelINS0_14default_configENS1_32segmented_reduce_config_selectorIN3c104HalfEEEZNS1_21segmented_reduce_implIS3_PKS6_PS6_PKiS6_N6hipcub16HIPCUB_304000_NS6detail27convert_result_type_wrapperISA_SB_N2at6native12_GLOBAL__N_110CustomProdEEEEE10hipError_tPvRmT0_T1_jT2_SS_T4_T3_P12ihipStream_tbEUlT_E_NS1_11comp_targetILNS1_3genE2ELNS1_11target_archE906ELNS1_3gpuE6ELNS1_3repE0EEENS1_30default_config_static_selectorELNS0_4arch9wavefront6targetE1EEEvSR_.uses_flat_scratch, 0
	.set _ZN7rocprim17ROCPRIM_400000_NS6detail17trampoline_kernelINS0_14default_configENS1_32segmented_reduce_config_selectorIN3c104HalfEEEZNS1_21segmented_reduce_implIS3_PKS6_PS6_PKiS6_N6hipcub16HIPCUB_304000_NS6detail27convert_result_type_wrapperISA_SB_N2at6native12_GLOBAL__N_110CustomProdEEEEE10hipError_tPvRmT0_T1_jT2_SS_T4_T3_P12ihipStream_tbEUlT_E_NS1_11comp_targetILNS1_3genE2ELNS1_11target_archE906ELNS1_3gpuE6ELNS1_3repE0EEENS1_30default_config_static_selectorELNS0_4arch9wavefront6targetE1EEEvSR_.has_dyn_sized_stack, 0
	.set _ZN7rocprim17ROCPRIM_400000_NS6detail17trampoline_kernelINS0_14default_configENS1_32segmented_reduce_config_selectorIN3c104HalfEEEZNS1_21segmented_reduce_implIS3_PKS6_PS6_PKiS6_N6hipcub16HIPCUB_304000_NS6detail27convert_result_type_wrapperISA_SB_N2at6native12_GLOBAL__N_110CustomProdEEEEE10hipError_tPvRmT0_T1_jT2_SS_T4_T3_P12ihipStream_tbEUlT_E_NS1_11comp_targetILNS1_3genE2ELNS1_11target_archE906ELNS1_3gpuE6ELNS1_3repE0EEENS1_30default_config_static_selectorELNS0_4arch9wavefront6targetE1EEEvSR_.has_recursion, 0
	.set _ZN7rocprim17ROCPRIM_400000_NS6detail17trampoline_kernelINS0_14default_configENS1_32segmented_reduce_config_selectorIN3c104HalfEEEZNS1_21segmented_reduce_implIS3_PKS6_PS6_PKiS6_N6hipcub16HIPCUB_304000_NS6detail27convert_result_type_wrapperISA_SB_N2at6native12_GLOBAL__N_110CustomProdEEEEE10hipError_tPvRmT0_T1_jT2_SS_T4_T3_P12ihipStream_tbEUlT_E_NS1_11comp_targetILNS1_3genE2ELNS1_11target_archE906ELNS1_3gpuE6ELNS1_3repE0EEENS1_30default_config_static_selectorELNS0_4arch9wavefront6targetE1EEEvSR_.has_indirect_call, 0
	.section	.AMDGPU.csdata,"",@progbits
; Kernel info:
; codeLenInByte = 2948
; TotalNumSgprs: 50
; NumVgprs: 23
; ScratchSize: 0
; MemoryBound: 0
; FloatMode: 240
; IeeeMode: 1
; LDSByteSize: 8 bytes/workgroup (compile time only)
; SGPRBlocks: 6
; VGPRBlocks: 5
; NumSGPRsForWavesPerEU: 50
; NumVGPRsForWavesPerEU: 23
; Occupancy: 10
; WaveLimiterHint : 1
; COMPUTE_PGM_RSRC2:SCRATCH_EN: 0
; COMPUTE_PGM_RSRC2:USER_SGPR: 6
; COMPUTE_PGM_RSRC2:TRAP_HANDLER: 0
; COMPUTE_PGM_RSRC2:TGID_X_EN: 1
; COMPUTE_PGM_RSRC2:TGID_Y_EN: 0
; COMPUTE_PGM_RSRC2:TGID_Z_EN: 0
; COMPUTE_PGM_RSRC2:TIDIG_COMP_CNT: 0
	.section	.text._ZN7rocprim17ROCPRIM_400000_NS6detail17trampoline_kernelINS0_14default_configENS1_32segmented_reduce_config_selectorIN3c104HalfEEEZNS1_21segmented_reduce_implIS3_PKS6_PS6_PKiS6_N6hipcub16HIPCUB_304000_NS6detail27convert_result_type_wrapperISA_SB_N2at6native12_GLOBAL__N_110CustomProdEEEEE10hipError_tPvRmT0_T1_jT2_SS_T4_T3_P12ihipStream_tbEUlT_E_NS1_11comp_targetILNS1_3genE9ELNS1_11target_archE1100ELNS1_3gpuE3ELNS1_3repE0EEENS1_30default_config_static_selectorELNS0_4arch9wavefront6targetE1EEEvSR_,"axG",@progbits,_ZN7rocprim17ROCPRIM_400000_NS6detail17trampoline_kernelINS0_14default_configENS1_32segmented_reduce_config_selectorIN3c104HalfEEEZNS1_21segmented_reduce_implIS3_PKS6_PS6_PKiS6_N6hipcub16HIPCUB_304000_NS6detail27convert_result_type_wrapperISA_SB_N2at6native12_GLOBAL__N_110CustomProdEEEEE10hipError_tPvRmT0_T1_jT2_SS_T4_T3_P12ihipStream_tbEUlT_E_NS1_11comp_targetILNS1_3genE9ELNS1_11target_archE1100ELNS1_3gpuE3ELNS1_3repE0EEENS1_30default_config_static_selectorELNS0_4arch9wavefront6targetE1EEEvSR_,comdat
	.globl	_ZN7rocprim17ROCPRIM_400000_NS6detail17trampoline_kernelINS0_14default_configENS1_32segmented_reduce_config_selectorIN3c104HalfEEEZNS1_21segmented_reduce_implIS3_PKS6_PS6_PKiS6_N6hipcub16HIPCUB_304000_NS6detail27convert_result_type_wrapperISA_SB_N2at6native12_GLOBAL__N_110CustomProdEEEEE10hipError_tPvRmT0_T1_jT2_SS_T4_T3_P12ihipStream_tbEUlT_E_NS1_11comp_targetILNS1_3genE9ELNS1_11target_archE1100ELNS1_3gpuE3ELNS1_3repE0EEENS1_30default_config_static_selectorELNS0_4arch9wavefront6targetE1EEEvSR_ ; -- Begin function _ZN7rocprim17ROCPRIM_400000_NS6detail17trampoline_kernelINS0_14default_configENS1_32segmented_reduce_config_selectorIN3c104HalfEEEZNS1_21segmented_reduce_implIS3_PKS6_PS6_PKiS6_N6hipcub16HIPCUB_304000_NS6detail27convert_result_type_wrapperISA_SB_N2at6native12_GLOBAL__N_110CustomProdEEEEE10hipError_tPvRmT0_T1_jT2_SS_T4_T3_P12ihipStream_tbEUlT_E_NS1_11comp_targetILNS1_3genE9ELNS1_11target_archE1100ELNS1_3gpuE3ELNS1_3repE0EEENS1_30default_config_static_selectorELNS0_4arch9wavefront6targetE1EEEvSR_
	.p2align	8
	.type	_ZN7rocprim17ROCPRIM_400000_NS6detail17trampoline_kernelINS0_14default_configENS1_32segmented_reduce_config_selectorIN3c104HalfEEEZNS1_21segmented_reduce_implIS3_PKS6_PS6_PKiS6_N6hipcub16HIPCUB_304000_NS6detail27convert_result_type_wrapperISA_SB_N2at6native12_GLOBAL__N_110CustomProdEEEEE10hipError_tPvRmT0_T1_jT2_SS_T4_T3_P12ihipStream_tbEUlT_E_NS1_11comp_targetILNS1_3genE9ELNS1_11target_archE1100ELNS1_3gpuE3ELNS1_3repE0EEENS1_30default_config_static_selectorELNS0_4arch9wavefront6targetE1EEEvSR_,@function
_ZN7rocprim17ROCPRIM_400000_NS6detail17trampoline_kernelINS0_14default_configENS1_32segmented_reduce_config_selectorIN3c104HalfEEEZNS1_21segmented_reduce_implIS3_PKS6_PS6_PKiS6_N6hipcub16HIPCUB_304000_NS6detail27convert_result_type_wrapperISA_SB_N2at6native12_GLOBAL__N_110CustomProdEEEEE10hipError_tPvRmT0_T1_jT2_SS_T4_T3_P12ihipStream_tbEUlT_E_NS1_11comp_targetILNS1_3genE9ELNS1_11target_archE1100ELNS1_3gpuE3ELNS1_3repE0EEENS1_30default_config_static_selectorELNS0_4arch9wavefront6targetE1EEEvSR_: ; @_ZN7rocprim17ROCPRIM_400000_NS6detail17trampoline_kernelINS0_14default_configENS1_32segmented_reduce_config_selectorIN3c104HalfEEEZNS1_21segmented_reduce_implIS3_PKS6_PS6_PKiS6_N6hipcub16HIPCUB_304000_NS6detail27convert_result_type_wrapperISA_SB_N2at6native12_GLOBAL__N_110CustomProdEEEEE10hipError_tPvRmT0_T1_jT2_SS_T4_T3_P12ihipStream_tbEUlT_E_NS1_11comp_targetILNS1_3genE9ELNS1_11target_archE1100ELNS1_3gpuE3ELNS1_3repE0EEENS1_30default_config_static_selectorELNS0_4arch9wavefront6targetE1EEEvSR_
; %bb.0:
	.section	.rodata,"a",@progbits
	.p2align	6, 0x0
	.amdhsa_kernel _ZN7rocprim17ROCPRIM_400000_NS6detail17trampoline_kernelINS0_14default_configENS1_32segmented_reduce_config_selectorIN3c104HalfEEEZNS1_21segmented_reduce_implIS3_PKS6_PS6_PKiS6_N6hipcub16HIPCUB_304000_NS6detail27convert_result_type_wrapperISA_SB_N2at6native12_GLOBAL__N_110CustomProdEEEEE10hipError_tPvRmT0_T1_jT2_SS_T4_T3_P12ihipStream_tbEUlT_E_NS1_11comp_targetILNS1_3genE9ELNS1_11target_archE1100ELNS1_3gpuE3ELNS1_3repE0EEENS1_30default_config_static_selectorELNS0_4arch9wavefront6targetE1EEEvSR_
		.amdhsa_group_segment_fixed_size 0
		.amdhsa_private_segment_fixed_size 0
		.amdhsa_kernarg_size 48
		.amdhsa_user_sgpr_count 6
		.amdhsa_user_sgpr_private_segment_buffer 1
		.amdhsa_user_sgpr_dispatch_ptr 0
		.amdhsa_user_sgpr_queue_ptr 0
		.amdhsa_user_sgpr_kernarg_segment_ptr 1
		.amdhsa_user_sgpr_dispatch_id 0
		.amdhsa_user_sgpr_flat_scratch_init 0
		.amdhsa_user_sgpr_private_segment_size 0
		.amdhsa_uses_dynamic_stack 0
		.amdhsa_system_sgpr_private_segment_wavefront_offset 0
		.amdhsa_system_sgpr_workgroup_id_x 1
		.amdhsa_system_sgpr_workgroup_id_y 0
		.amdhsa_system_sgpr_workgroup_id_z 0
		.amdhsa_system_sgpr_workgroup_info 0
		.amdhsa_system_vgpr_workitem_id 0
		.amdhsa_next_free_vgpr 1
		.amdhsa_next_free_sgpr 0
		.amdhsa_reserve_vcc 0
		.amdhsa_reserve_flat_scratch 0
		.amdhsa_float_round_mode_32 0
		.amdhsa_float_round_mode_16_64 0
		.amdhsa_float_denorm_mode_32 3
		.amdhsa_float_denorm_mode_16_64 3
		.amdhsa_dx10_clamp 1
		.amdhsa_ieee_mode 1
		.amdhsa_fp16_overflow 0
		.amdhsa_exception_fp_ieee_invalid_op 0
		.amdhsa_exception_fp_denorm_src 0
		.amdhsa_exception_fp_ieee_div_zero 0
		.amdhsa_exception_fp_ieee_overflow 0
		.amdhsa_exception_fp_ieee_underflow 0
		.amdhsa_exception_fp_ieee_inexact 0
		.amdhsa_exception_int_div_zero 0
	.end_amdhsa_kernel
	.section	.text._ZN7rocprim17ROCPRIM_400000_NS6detail17trampoline_kernelINS0_14default_configENS1_32segmented_reduce_config_selectorIN3c104HalfEEEZNS1_21segmented_reduce_implIS3_PKS6_PS6_PKiS6_N6hipcub16HIPCUB_304000_NS6detail27convert_result_type_wrapperISA_SB_N2at6native12_GLOBAL__N_110CustomProdEEEEE10hipError_tPvRmT0_T1_jT2_SS_T4_T3_P12ihipStream_tbEUlT_E_NS1_11comp_targetILNS1_3genE9ELNS1_11target_archE1100ELNS1_3gpuE3ELNS1_3repE0EEENS1_30default_config_static_selectorELNS0_4arch9wavefront6targetE1EEEvSR_,"axG",@progbits,_ZN7rocprim17ROCPRIM_400000_NS6detail17trampoline_kernelINS0_14default_configENS1_32segmented_reduce_config_selectorIN3c104HalfEEEZNS1_21segmented_reduce_implIS3_PKS6_PS6_PKiS6_N6hipcub16HIPCUB_304000_NS6detail27convert_result_type_wrapperISA_SB_N2at6native12_GLOBAL__N_110CustomProdEEEEE10hipError_tPvRmT0_T1_jT2_SS_T4_T3_P12ihipStream_tbEUlT_E_NS1_11comp_targetILNS1_3genE9ELNS1_11target_archE1100ELNS1_3gpuE3ELNS1_3repE0EEENS1_30default_config_static_selectorELNS0_4arch9wavefront6targetE1EEEvSR_,comdat
.Lfunc_end108:
	.size	_ZN7rocprim17ROCPRIM_400000_NS6detail17trampoline_kernelINS0_14default_configENS1_32segmented_reduce_config_selectorIN3c104HalfEEEZNS1_21segmented_reduce_implIS3_PKS6_PS6_PKiS6_N6hipcub16HIPCUB_304000_NS6detail27convert_result_type_wrapperISA_SB_N2at6native12_GLOBAL__N_110CustomProdEEEEE10hipError_tPvRmT0_T1_jT2_SS_T4_T3_P12ihipStream_tbEUlT_E_NS1_11comp_targetILNS1_3genE9ELNS1_11target_archE1100ELNS1_3gpuE3ELNS1_3repE0EEENS1_30default_config_static_selectorELNS0_4arch9wavefront6targetE1EEEvSR_, .Lfunc_end108-_ZN7rocprim17ROCPRIM_400000_NS6detail17trampoline_kernelINS0_14default_configENS1_32segmented_reduce_config_selectorIN3c104HalfEEEZNS1_21segmented_reduce_implIS3_PKS6_PS6_PKiS6_N6hipcub16HIPCUB_304000_NS6detail27convert_result_type_wrapperISA_SB_N2at6native12_GLOBAL__N_110CustomProdEEEEE10hipError_tPvRmT0_T1_jT2_SS_T4_T3_P12ihipStream_tbEUlT_E_NS1_11comp_targetILNS1_3genE9ELNS1_11target_archE1100ELNS1_3gpuE3ELNS1_3repE0EEENS1_30default_config_static_selectorELNS0_4arch9wavefront6targetE1EEEvSR_
                                        ; -- End function
	.set _ZN7rocprim17ROCPRIM_400000_NS6detail17trampoline_kernelINS0_14default_configENS1_32segmented_reduce_config_selectorIN3c104HalfEEEZNS1_21segmented_reduce_implIS3_PKS6_PS6_PKiS6_N6hipcub16HIPCUB_304000_NS6detail27convert_result_type_wrapperISA_SB_N2at6native12_GLOBAL__N_110CustomProdEEEEE10hipError_tPvRmT0_T1_jT2_SS_T4_T3_P12ihipStream_tbEUlT_E_NS1_11comp_targetILNS1_3genE9ELNS1_11target_archE1100ELNS1_3gpuE3ELNS1_3repE0EEENS1_30default_config_static_selectorELNS0_4arch9wavefront6targetE1EEEvSR_.num_vgpr, 0
	.set _ZN7rocprim17ROCPRIM_400000_NS6detail17trampoline_kernelINS0_14default_configENS1_32segmented_reduce_config_selectorIN3c104HalfEEEZNS1_21segmented_reduce_implIS3_PKS6_PS6_PKiS6_N6hipcub16HIPCUB_304000_NS6detail27convert_result_type_wrapperISA_SB_N2at6native12_GLOBAL__N_110CustomProdEEEEE10hipError_tPvRmT0_T1_jT2_SS_T4_T3_P12ihipStream_tbEUlT_E_NS1_11comp_targetILNS1_3genE9ELNS1_11target_archE1100ELNS1_3gpuE3ELNS1_3repE0EEENS1_30default_config_static_selectorELNS0_4arch9wavefront6targetE1EEEvSR_.num_agpr, 0
	.set _ZN7rocprim17ROCPRIM_400000_NS6detail17trampoline_kernelINS0_14default_configENS1_32segmented_reduce_config_selectorIN3c104HalfEEEZNS1_21segmented_reduce_implIS3_PKS6_PS6_PKiS6_N6hipcub16HIPCUB_304000_NS6detail27convert_result_type_wrapperISA_SB_N2at6native12_GLOBAL__N_110CustomProdEEEEE10hipError_tPvRmT0_T1_jT2_SS_T4_T3_P12ihipStream_tbEUlT_E_NS1_11comp_targetILNS1_3genE9ELNS1_11target_archE1100ELNS1_3gpuE3ELNS1_3repE0EEENS1_30default_config_static_selectorELNS0_4arch9wavefront6targetE1EEEvSR_.numbered_sgpr, 0
	.set _ZN7rocprim17ROCPRIM_400000_NS6detail17trampoline_kernelINS0_14default_configENS1_32segmented_reduce_config_selectorIN3c104HalfEEEZNS1_21segmented_reduce_implIS3_PKS6_PS6_PKiS6_N6hipcub16HIPCUB_304000_NS6detail27convert_result_type_wrapperISA_SB_N2at6native12_GLOBAL__N_110CustomProdEEEEE10hipError_tPvRmT0_T1_jT2_SS_T4_T3_P12ihipStream_tbEUlT_E_NS1_11comp_targetILNS1_3genE9ELNS1_11target_archE1100ELNS1_3gpuE3ELNS1_3repE0EEENS1_30default_config_static_selectorELNS0_4arch9wavefront6targetE1EEEvSR_.num_named_barrier, 0
	.set _ZN7rocprim17ROCPRIM_400000_NS6detail17trampoline_kernelINS0_14default_configENS1_32segmented_reduce_config_selectorIN3c104HalfEEEZNS1_21segmented_reduce_implIS3_PKS6_PS6_PKiS6_N6hipcub16HIPCUB_304000_NS6detail27convert_result_type_wrapperISA_SB_N2at6native12_GLOBAL__N_110CustomProdEEEEE10hipError_tPvRmT0_T1_jT2_SS_T4_T3_P12ihipStream_tbEUlT_E_NS1_11comp_targetILNS1_3genE9ELNS1_11target_archE1100ELNS1_3gpuE3ELNS1_3repE0EEENS1_30default_config_static_selectorELNS0_4arch9wavefront6targetE1EEEvSR_.private_seg_size, 0
	.set _ZN7rocprim17ROCPRIM_400000_NS6detail17trampoline_kernelINS0_14default_configENS1_32segmented_reduce_config_selectorIN3c104HalfEEEZNS1_21segmented_reduce_implIS3_PKS6_PS6_PKiS6_N6hipcub16HIPCUB_304000_NS6detail27convert_result_type_wrapperISA_SB_N2at6native12_GLOBAL__N_110CustomProdEEEEE10hipError_tPvRmT0_T1_jT2_SS_T4_T3_P12ihipStream_tbEUlT_E_NS1_11comp_targetILNS1_3genE9ELNS1_11target_archE1100ELNS1_3gpuE3ELNS1_3repE0EEENS1_30default_config_static_selectorELNS0_4arch9wavefront6targetE1EEEvSR_.uses_vcc, 0
	.set _ZN7rocprim17ROCPRIM_400000_NS6detail17trampoline_kernelINS0_14default_configENS1_32segmented_reduce_config_selectorIN3c104HalfEEEZNS1_21segmented_reduce_implIS3_PKS6_PS6_PKiS6_N6hipcub16HIPCUB_304000_NS6detail27convert_result_type_wrapperISA_SB_N2at6native12_GLOBAL__N_110CustomProdEEEEE10hipError_tPvRmT0_T1_jT2_SS_T4_T3_P12ihipStream_tbEUlT_E_NS1_11comp_targetILNS1_3genE9ELNS1_11target_archE1100ELNS1_3gpuE3ELNS1_3repE0EEENS1_30default_config_static_selectorELNS0_4arch9wavefront6targetE1EEEvSR_.uses_flat_scratch, 0
	.set _ZN7rocprim17ROCPRIM_400000_NS6detail17trampoline_kernelINS0_14default_configENS1_32segmented_reduce_config_selectorIN3c104HalfEEEZNS1_21segmented_reduce_implIS3_PKS6_PS6_PKiS6_N6hipcub16HIPCUB_304000_NS6detail27convert_result_type_wrapperISA_SB_N2at6native12_GLOBAL__N_110CustomProdEEEEE10hipError_tPvRmT0_T1_jT2_SS_T4_T3_P12ihipStream_tbEUlT_E_NS1_11comp_targetILNS1_3genE9ELNS1_11target_archE1100ELNS1_3gpuE3ELNS1_3repE0EEENS1_30default_config_static_selectorELNS0_4arch9wavefront6targetE1EEEvSR_.has_dyn_sized_stack, 0
	.set _ZN7rocprim17ROCPRIM_400000_NS6detail17trampoline_kernelINS0_14default_configENS1_32segmented_reduce_config_selectorIN3c104HalfEEEZNS1_21segmented_reduce_implIS3_PKS6_PS6_PKiS6_N6hipcub16HIPCUB_304000_NS6detail27convert_result_type_wrapperISA_SB_N2at6native12_GLOBAL__N_110CustomProdEEEEE10hipError_tPvRmT0_T1_jT2_SS_T4_T3_P12ihipStream_tbEUlT_E_NS1_11comp_targetILNS1_3genE9ELNS1_11target_archE1100ELNS1_3gpuE3ELNS1_3repE0EEENS1_30default_config_static_selectorELNS0_4arch9wavefront6targetE1EEEvSR_.has_recursion, 0
	.set _ZN7rocprim17ROCPRIM_400000_NS6detail17trampoline_kernelINS0_14default_configENS1_32segmented_reduce_config_selectorIN3c104HalfEEEZNS1_21segmented_reduce_implIS3_PKS6_PS6_PKiS6_N6hipcub16HIPCUB_304000_NS6detail27convert_result_type_wrapperISA_SB_N2at6native12_GLOBAL__N_110CustomProdEEEEE10hipError_tPvRmT0_T1_jT2_SS_T4_T3_P12ihipStream_tbEUlT_E_NS1_11comp_targetILNS1_3genE9ELNS1_11target_archE1100ELNS1_3gpuE3ELNS1_3repE0EEENS1_30default_config_static_selectorELNS0_4arch9wavefront6targetE1EEEvSR_.has_indirect_call, 0
	.section	.AMDGPU.csdata,"",@progbits
; Kernel info:
; codeLenInByte = 0
; TotalNumSgprs: 4
; NumVgprs: 0
; ScratchSize: 0
; MemoryBound: 0
; FloatMode: 240
; IeeeMode: 1
; LDSByteSize: 0 bytes/workgroup (compile time only)
; SGPRBlocks: 0
; VGPRBlocks: 0
; NumSGPRsForWavesPerEU: 4
; NumVGPRsForWavesPerEU: 1
; Occupancy: 10
; WaveLimiterHint : 0
; COMPUTE_PGM_RSRC2:SCRATCH_EN: 0
; COMPUTE_PGM_RSRC2:USER_SGPR: 6
; COMPUTE_PGM_RSRC2:TRAP_HANDLER: 0
; COMPUTE_PGM_RSRC2:TGID_X_EN: 1
; COMPUTE_PGM_RSRC2:TGID_Y_EN: 0
; COMPUTE_PGM_RSRC2:TGID_Z_EN: 0
; COMPUTE_PGM_RSRC2:TIDIG_COMP_CNT: 0
	.section	.text._ZN7rocprim17ROCPRIM_400000_NS6detail17trampoline_kernelINS0_14default_configENS1_32segmented_reduce_config_selectorIN3c104HalfEEEZNS1_21segmented_reduce_implIS3_PKS6_PS6_PKiS6_N6hipcub16HIPCUB_304000_NS6detail27convert_result_type_wrapperISA_SB_N2at6native12_GLOBAL__N_110CustomProdEEEEE10hipError_tPvRmT0_T1_jT2_SS_T4_T3_P12ihipStream_tbEUlT_E_NS1_11comp_targetILNS1_3genE8ELNS1_11target_archE1030ELNS1_3gpuE2ELNS1_3repE0EEENS1_30default_config_static_selectorELNS0_4arch9wavefront6targetE1EEEvSR_,"axG",@progbits,_ZN7rocprim17ROCPRIM_400000_NS6detail17trampoline_kernelINS0_14default_configENS1_32segmented_reduce_config_selectorIN3c104HalfEEEZNS1_21segmented_reduce_implIS3_PKS6_PS6_PKiS6_N6hipcub16HIPCUB_304000_NS6detail27convert_result_type_wrapperISA_SB_N2at6native12_GLOBAL__N_110CustomProdEEEEE10hipError_tPvRmT0_T1_jT2_SS_T4_T3_P12ihipStream_tbEUlT_E_NS1_11comp_targetILNS1_3genE8ELNS1_11target_archE1030ELNS1_3gpuE2ELNS1_3repE0EEENS1_30default_config_static_selectorELNS0_4arch9wavefront6targetE1EEEvSR_,comdat
	.globl	_ZN7rocprim17ROCPRIM_400000_NS6detail17trampoline_kernelINS0_14default_configENS1_32segmented_reduce_config_selectorIN3c104HalfEEEZNS1_21segmented_reduce_implIS3_PKS6_PS6_PKiS6_N6hipcub16HIPCUB_304000_NS6detail27convert_result_type_wrapperISA_SB_N2at6native12_GLOBAL__N_110CustomProdEEEEE10hipError_tPvRmT0_T1_jT2_SS_T4_T3_P12ihipStream_tbEUlT_E_NS1_11comp_targetILNS1_3genE8ELNS1_11target_archE1030ELNS1_3gpuE2ELNS1_3repE0EEENS1_30default_config_static_selectorELNS0_4arch9wavefront6targetE1EEEvSR_ ; -- Begin function _ZN7rocprim17ROCPRIM_400000_NS6detail17trampoline_kernelINS0_14default_configENS1_32segmented_reduce_config_selectorIN3c104HalfEEEZNS1_21segmented_reduce_implIS3_PKS6_PS6_PKiS6_N6hipcub16HIPCUB_304000_NS6detail27convert_result_type_wrapperISA_SB_N2at6native12_GLOBAL__N_110CustomProdEEEEE10hipError_tPvRmT0_T1_jT2_SS_T4_T3_P12ihipStream_tbEUlT_E_NS1_11comp_targetILNS1_3genE8ELNS1_11target_archE1030ELNS1_3gpuE2ELNS1_3repE0EEENS1_30default_config_static_selectorELNS0_4arch9wavefront6targetE1EEEvSR_
	.p2align	8
	.type	_ZN7rocprim17ROCPRIM_400000_NS6detail17trampoline_kernelINS0_14default_configENS1_32segmented_reduce_config_selectorIN3c104HalfEEEZNS1_21segmented_reduce_implIS3_PKS6_PS6_PKiS6_N6hipcub16HIPCUB_304000_NS6detail27convert_result_type_wrapperISA_SB_N2at6native12_GLOBAL__N_110CustomProdEEEEE10hipError_tPvRmT0_T1_jT2_SS_T4_T3_P12ihipStream_tbEUlT_E_NS1_11comp_targetILNS1_3genE8ELNS1_11target_archE1030ELNS1_3gpuE2ELNS1_3repE0EEENS1_30default_config_static_selectorELNS0_4arch9wavefront6targetE1EEEvSR_,@function
_ZN7rocprim17ROCPRIM_400000_NS6detail17trampoline_kernelINS0_14default_configENS1_32segmented_reduce_config_selectorIN3c104HalfEEEZNS1_21segmented_reduce_implIS3_PKS6_PS6_PKiS6_N6hipcub16HIPCUB_304000_NS6detail27convert_result_type_wrapperISA_SB_N2at6native12_GLOBAL__N_110CustomProdEEEEE10hipError_tPvRmT0_T1_jT2_SS_T4_T3_P12ihipStream_tbEUlT_E_NS1_11comp_targetILNS1_3genE8ELNS1_11target_archE1030ELNS1_3gpuE2ELNS1_3repE0EEENS1_30default_config_static_selectorELNS0_4arch9wavefront6targetE1EEEvSR_: ; @_ZN7rocprim17ROCPRIM_400000_NS6detail17trampoline_kernelINS0_14default_configENS1_32segmented_reduce_config_selectorIN3c104HalfEEEZNS1_21segmented_reduce_implIS3_PKS6_PS6_PKiS6_N6hipcub16HIPCUB_304000_NS6detail27convert_result_type_wrapperISA_SB_N2at6native12_GLOBAL__N_110CustomProdEEEEE10hipError_tPvRmT0_T1_jT2_SS_T4_T3_P12ihipStream_tbEUlT_E_NS1_11comp_targetILNS1_3genE8ELNS1_11target_archE1030ELNS1_3gpuE2ELNS1_3repE0EEENS1_30default_config_static_selectorELNS0_4arch9wavefront6targetE1EEEvSR_
; %bb.0:
	.section	.rodata,"a",@progbits
	.p2align	6, 0x0
	.amdhsa_kernel _ZN7rocprim17ROCPRIM_400000_NS6detail17trampoline_kernelINS0_14default_configENS1_32segmented_reduce_config_selectorIN3c104HalfEEEZNS1_21segmented_reduce_implIS3_PKS6_PS6_PKiS6_N6hipcub16HIPCUB_304000_NS6detail27convert_result_type_wrapperISA_SB_N2at6native12_GLOBAL__N_110CustomProdEEEEE10hipError_tPvRmT0_T1_jT2_SS_T4_T3_P12ihipStream_tbEUlT_E_NS1_11comp_targetILNS1_3genE8ELNS1_11target_archE1030ELNS1_3gpuE2ELNS1_3repE0EEENS1_30default_config_static_selectorELNS0_4arch9wavefront6targetE1EEEvSR_
		.amdhsa_group_segment_fixed_size 0
		.amdhsa_private_segment_fixed_size 0
		.amdhsa_kernarg_size 48
		.amdhsa_user_sgpr_count 6
		.amdhsa_user_sgpr_private_segment_buffer 1
		.amdhsa_user_sgpr_dispatch_ptr 0
		.amdhsa_user_sgpr_queue_ptr 0
		.amdhsa_user_sgpr_kernarg_segment_ptr 1
		.amdhsa_user_sgpr_dispatch_id 0
		.amdhsa_user_sgpr_flat_scratch_init 0
		.amdhsa_user_sgpr_private_segment_size 0
		.amdhsa_uses_dynamic_stack 0
		.amdhsa_system_sgpr_private_segment_wavefront_offset 0
		.amdhsa_system_sgpr_workgroup_id_x 1
		.amdhsa_system_sgpr_workgroup_id_y 0
		.amdhsa_system_sgpr_workgroup_id_z 0
		.amdhsa_system_sgpr_workgroup_info 0
		.amdhsa_system_vgpr_workitem_id 0
		.amdhsa_next_free_vgpr 1
		.amdhsa_next_free_sgpr 0
		.amdhsa_reserve_vcc 0
		.amdhsa_reserve_flat_scratch 0
		.amdhsa_float_round_mode_32 0
		.amdhsa_float_round_mode_16_64 0
		.amdhsa_float_denorm_mode_32 3
		.amdhsa_float_denorm_mode_16_64 3
		.amdhsa_dx10_clamp 1
		.amdhsa_ieee_mode 1
		.amdhsa_fp16_overflow 0
		.amdhsa_exception_fp_ieee_invalid_op 0
		.amdhsa_exception_fp_denorm_src 0
		.amdhsa_exception_fp_ieee_div_zero 0
		.amdhsa_exception_fp_ieee_overflow 0
		.amdhsa_exception_fp_ieee_underflow 0
		.amdhsa_exception_fp_ieee_inexact 0
		.amdhsa_exception_int_div_zero 0
	.end_amdhsa_kernel
	.section	.text._ZN7rocprim17ROCPRIM_400000_NS6detail17trampoline_kernelINS0_14default_configENS1_32segmented_reduce_config_selectorIN3c104HalfEEEZNS1_21segmented_reduce_implIS3_PKS6_PS6_PKiS6_N6hipcub16HIPCUB_304000_NS6detail27convert_result_type_wrapperISA_SB_N2at6native12_GLOBAL__N_110CustomProdEEEEE10hipError_tPvRmT0_T1_jT2_SS_T4_T3_P12ihipStream_tbEUlT_E_NS1_11comp_targetILNS1_3genE8ELNS1_11target_archE1030ELNS1_3gpuE2ELNS1_3repE0EEENS1_30default_config_static_selectorELNS0_4arch9wavefront6targetE1EEEvSR_,"axG",@progbits,_ZN7rocprim17ROCPRIM_400000_NS6detail17trampoline_kernelINS0_14default_configENS1_32segmented_reduce_config_selectorIN3c104HalfEEEZNS1_21segmented_reduce_implIS3_PKS6_PS6_PKiS6_N6hipcub16HIPCUB_304000_NS6detail27convert_result_type_wrapperISA_SB_N2at6native12_GLOBAL__N_110CustomProdEEEEE10hipError_tPvRmT0_T1_jT2_SS_T4_T3_P12ihipStream_tbEUlT_E_NS1_11comp_targetILNS1_3genE8ELNS1_11target_archE1030ELNS1_3gpuE2ELNS1_3repE0EEENS1_30default_config_static_selectorELNS0_4arch9wavefront6targetE1EEEvSR_,comdat
.Lfunc_end109:
	.size	_ZN7rocprim17ROCPRIM_400000_NS6detail17trampoline_kernelINS0_14default_configENS1_32segmented_reduce_config_selectorIN3c104HalfEEEZNS1_21segmented_reduce_implIS3_PKS6_PS6_PKiS6_N6hipcub16HIPCUB_304000_NS6detail27convert_result_type_wrapperISA_SB_N2at6native12_GLOBAL__N_110CustomProdEEEEE10hipError_tPvRmT0_T1_jT2_SS_T4_T3_P12ihipStream_tbEUlT_E_NS1_11comp_targetILNS1_3genE8ELNS1_11target_archE1030ELNS1_3gpuE2ELNS1_3repE0EEENS1_30default_config_static_selectorELNS0_4arch9wavefront6targetE1EEEvSR_, .Lfunc_end109-_ZN7rocprim17ROCPRIM_400000_NS6detail17trampoline_kernelINS0_14default_configENS1_32segmented_reduce_config_selectorIN3c104HalfEEEZNS1_21segmented_reduce_implIS3_PKS6_PS6_PKiS6_N6hipcub16HIPCUB_304000_NS6detail27convert_result_type_wrapperISA_SB_N2at6native12_GLOBAL__N_110CustomProdEEEEE10hipError_tPvRmT0_T1_jT2_SS_T4_T3_P12ihipStream_tbEUlT_E_NS1_11comp_targetILNS1_3genE8ELNS1_11target_archE1030ELNS1_3gpuE2ELNS1_3repE0EEENS1_30default_config_static_selectorELNS0_4arch9wavefront6targetE1EEEvSR_
                                        ; -- End function
	.set _ZN7rocprim17ROCPRIM_400000_NS6detail17trampoline_kernelINS0_14default_configENS1_32segmented_reduce_config_selectorIN3c104HalfEEEZNS1_21segmented_reduce_implIS3_PKS6_PS6_PKiS6_N6hipcub16HIPCUB_304000_NS6detail27convert_result_type_wrapperISA_SB_N2at6native12_GLOBAL__N_110CustomProdEEEEE10hipError_tPvRmT0_T1_jT2_SS_T4_T3_P12ihipStream_tbEUlT_E_NS1_11comp_targetILNS1_3genE8ELNS1_11target_archE1030ELNS1_3gpuE2ELNS1_3repE0EEENS1_30default_config_static_selectorELNS0_4arch9wavefront6targetE1EEEvSR_.num_vgpr, 0
	.set _ZN7rocprim17ROCPRIM_400000_NS6detail17trampoline_kernelINS0_14default_configENS1_32segmented_reduce_config_selectorIN3c104HalfEEEZNS1_21segmented_reduce_implIS3_PKS6_PS6_PKiS6_N6hipcub16HIPCUB_304000_NS6detail27convert_result_type_wrapperISA_SB_N2at6native12_GLOBAL__N_110CustomProdEEEEE10hipError_tPvRmT0_T1_jT2_SS_T4_T3_P12ihipStream_tbEUlT_E_NS1_11comp_targetILNS1_3genE8ELNS1_11target_archE1030ELNS1_3gpuE2ELNS1_3repE0EEENS1_30default_config_static_selectorELNS0_4arch9wavefront6targetE1EEEvSR_.num_agpr, 0
	.set _ZN7rocprim17ROCPRIM_400000_NS6detail17trampoline_kernelINS0_14default_configENS1_32segmented_reduce_config_selectorIN3c104HalfEEEZNS1_21segmented_reduce_implIS3_PKS6_PS6_PKiS6_N6hipcub16HIPCUB_304000_NS6detail27convert_result_type_wrapperISA_SB_N2at6native12_GLOBAL__N_110CustomProdEEEEE10hipError_tPvRmT0_T1_jT2_SS_T4_T3_P12ihipStream_tbEUlT_E_NS1_11comp_targetILNS1_3genE8ELNS1_11target_archE1030ELNS1_3gpuE2ELNS1_3repE0EEENS1_30default_config_static_selectorELNS0_4arch9wavefront6targetE1EEEvSR_.numbered_sgpr, 0
	.set _ZN7rocprim17ROCPRIM_400000_NS6detail17trampoline_kernelINS0_14default_configENS1_32segmented_reduce_config_selectorIN3c104HalfEEEZNS1_21segmented_reduce_implIS3_PKS6_PS6_PKiS6_N6hipcub16HIPCUB_304000_NS6detail27convert_result_type_wrapperISA_SB_N2at6native12_GLOBAL__N_110CustomProdEEEEE10hipError_tPvRmT0_T1_jT2_SS_T4_T3_P12ihipStream_tbEUlT_E_NS1_11comp_targetILNS1_3genE8ELNS1_11target_archE1030ELNS1_3gpuE2ELNS1_3repE0EEENS1_30default_config_static_selectorELNS0_4arch9wavefront6targetE1EEEvSR_.num_named_barrier, 0
	.set _ZN7rocprim17ROCPRIM_400000_NS6detail17trampoline_kernelINS0_14default_configENS1_32segmented_reduce_config_selectorIN3c104HalfEEEZNS1_21segmented_reduce_implIS3_PKS6_PS6_PKiS6_N6hipcub16HIPCUB_304000_NS6detail27convert_result_type_wrapperISA_SB_N2at6native12_GLOBAL__N_110CustomProdEEEEE10hipError_tPvRmT0_T1_jT2_SS_T4_T3_P12ihipStream_tbEUlT_E_NS1_11comp_targetILNS1_3genE8ELNS1_11target_archE1030ELNS1_3gpuE2ELNS1_3repE0EEENS1_30default_config_static_selectorELNS0_4arch9wavefront6targetE1EEEvSR_.private_seg_size, 0
	.set _ZN7rocprim17ROCPRIM_400000_NS6detail17trampoline_kernelINS0_14default_configENS1_32segmented_reduce_config_selectorIN3c104HalfEEEZNS1_21segmented_reduce_implIS3_PKS6_PS6_PKiS6_N6hipcub16HIPCUB_304000_NS6detail27convert_result_type_wrapperISA_SB_N2at6native12_GLOBAL__N_110CustomProdEEEEE10hipError_tPvRmT0_T1_jT2_SS_T4_T3_P12ihipStream_tbEUlT_E_NS1_11comp_targetILNS1_3genE8ELNS1_11target_archE1030ELNS1_3gpuE2ELNS1_3repE0EEENS1_30default_config_static_selectorELNS0_4arch9wavefront6targetE1EEEvSR_.uses_vcc, 0
	.set _ZN7rocprim17ROCPRIM_400000_NS6detail17trampoline_kernelINS0_14default_configENS1_32segmented_reduce_config_selectorIN3c104HalfEEEZNS1_21segmented_reduce_implIS3_PKS6_PS6_PKiS6_N6hipcub16HIPCUB_304000_NS6detail27convert_result_type_wrapperISA_SB_N2at6native12_GLOBAL__N_110CustomProdEEEEE10hipError_tPvRmT0_T1_jT2_SS_T4_T3_P12ihipStream_tbEUlT_E_NS1_11comp_targetILNS1_3genE8ELNS1_11target_archE1030ELNS1_3gpuE2ELNS1_3repE0EEENS1_30default_config_static_selectorELNS0_4arch9wavefront6targetE1EEEvSR_.uses_flat_scratch, 0
	.set _ZN7rocprim17ROCPRIM_400000_NS6detail17trampoline_kernelINS0_14default_configENS1_32segmented_reduce_config_selectorIN3c104HalfEEEZNS1_21segmented_reduce_implIS3_PKS6_PS6_PKiS6_N6hipcub16HIPCUB_304000_NS6detail27convert_result_type_wrapperISA_SB_N2at6native12_GLOBAL__N_110CustomProdEEEEE10hipError_tPvRmT0_T1_jT2_SS_T4_T3_P12ihipStream_tbEUlT_E_NS1_11comp_targetILNS1_3genE8ELNS1_11target_archE1030ELNS1_3gpuE2ELNS1_3repE0EEENS1_30default_config_static_selectorELNS0_4arch9wavefront6targetE1EEEvSR_.has_dyn_sized_stack, 0
	.set _ZN7rocprim17ROCPRIM_400000_NS6detail17trampoline_kernelINS0_14default_configENS1_32segmented_reduce_config_selectorIN3c104HalfEEEZNS1_21segmented_reduce_implIS3_PKS6_PS6_PKiS6_N6hipcub16HIPCUB_304000_NS6detail27convert_result_type_wrapperISA_SB_N2at6native12_GLOBAL__N_110CustomProdEEEEE10hipError_tPvRmT0_T1_jT2_SS_T4_T3_P12ihipStream_tbEUlT_E_NS1_11comp_targetILNS1_3genE8ELNS1_11target_archE1030ELNS1_3gpuE2ELNS1_3repE0EEENS1_30default_config_static_selectorELNS0_4arch9wavefront6targetE1EEEvSR_.has_recursion, 0
	.set _ZN7rocprim17ROCPRIM_400000_NS6detail17trampoline_kernelINS0_14default_configENS1_32segmented_reduce_config_selectorIN3c104HalfEEEZNS1_21segmented_reduce_implIS3_PKS6_PS6_PKiS6_N6hipcub16HIPCUB_304000_NS6detail27convert_result_type_wrapperISA_SB_N2at6native12_GLOBAL__N_110CustomProdEEEEE10hipError_tPvRmT0_T1_jT2_SS_T4_T3_P12ihipStream_tbEUlT_E_NS1_11comp_targetILNS1_3genE8ELNS1_11target_archE1030ELNS1_3gpuE2ELNS1_3repE0EEENS1_30default_config_static_selectorELNS0_4arch9wavefront6targetE1EEEvSR_.has_indirect_call, 0
	.section	.AMDGPU.csdata,"",@progbits
; Kernel info:
; codeLenInByte = 0
; TotalNumSgprs: 4
; NumVgprs: 0
; ScratchSize: 0
; MemoryBound: 0
; FloatMode: 240
; IeeeMode: 1
; LDSByteSize: 0 bytes/workgroup (compile time only)
; SGPRBlocks: 0
; VGPRBlocks: 0
; NumSGPRsForWavesPerEU: 4
; NumVGPRsForWavesPerEU: 1
; Occupancy: 10
; WaveLimiterHint : 0
; COMPUTE_PGM_RSRC2:SCRATCH_EN: 0
; COMPUTE_PGM_RSRC2:USER_SGPR: 6
; COMPUTE_PGM_RSRC2:TRAP_HANDLER: 0
; COMPUTE_PGM_RSRC2:TGID_X_EN: 1
; COMPUTE_PGM_RSRC2:TGID_Y_EN: 0
; COMPUTE_PGM_RSRC2:TGID_Z_EN: 0
; COMPUTE_PGM_RSRC2:TIDIG_COMP_CNT: 0
	.section	.text._ZN2at6native12_GLOBAL__N_129segment_reduce_forward_kernelIN3c108BFloat16EiEEvNS0_13ReductionTypeEPT_PKS6_PKT0_SC_llbS6_lllllll,"axG",@progbits,_ZN2at6native12_GLOBAL__N_129segment_reduce_forward_kernelIN3c108BFloat16EiEEvNS0_13ReductionTypeEPT_PKS6_PKT0_SC_llbS6_lllllll,comdat
	.globl	_ZN2at6native12_GLOBAL__N_129segment_reduce_forward_kernelIN3c108BFloat16EiEEvNS0_13ReductionTypeEPT_PKS6_PKT0_SC_llbS6_lllllll ; -- Begin function _ZN2at6native12_GLOBAL__N_129segment_reduce_forward_kernelIN3c108BFloat16EiEEvNS0_13ReductionTypeEPT_PKS6_PKT0_SC_llbS6_lllllll
	.p2align	8
	.type	_ZN2at6native12_GLOBAL__N_129segment_reduce_forward_kernelIN3c108BFloat16EiEEvNS0_13ReductionTypeEPT_PKS6_PKT0_SC_llbS6_lllllll,@function
_ZN2at6native12_GLOBAL__N_129segment_reduce_forward_kernelIN3c108BFloat16EiEEvNS0_13ReductionTypeEPT_PKS6_PKT0_SC_llbS6_lllllll: ; @_ZN2at6native12_GLOBAL__N_129segment_reduce_forward_kernelIN3c108BFloat16EiEEvNS0_13ReductionTypeEPT_PKS6_PKT0_SC_llbS6_lllllll
; %bb.0:
	s_load_dword s0, s[4:5], 0x84
	s_load_dwordx4 s[36:39], s[4:5], 0x28
	s_load_dwordx8 s[24:31], s[4:5], 0x40
	v_mov_b32_e32 v2, 0
	v_mov_b32_e32 v1, v2
	s_waitcnt lgkmcnt(0)
	s_and_b32 s0, s0, 0xffff
	v_mov_b32_e32 v3, s6
	v_mad_u64_u32 v[0:1], s[0:1], s0, v3, v[0:1]
	s_mul_i32 s0, s24, s37
	s_mul_hi_u32 s1, s24, s36
	s_add_i32 s0, s1, s0
	s_mul_i32 s1, s25, s36
	s_mul_i32 s2, s24, s36
	s_add_i32 s0, s0, s1
	s_mul_i32 s1, s2, s27
	s_mul_hi_u32 s3, s2, s26
	s_add_i32 s1, s3, s1
	s_mul_i32 s0, s0, s26
	s_add_i32 s1, s1, s0
	s_mul_i32 s0, s2, s26
	v_cmp_gt_i64_e32 vcc, s[0:1], v[0:1]
	s_and_saveexec_b64 s[0:1], vcc
	s_cbranch_execz .LBB110_37
; %bb.1:
	v_or_b32_e32 v3, s27, v1
	v_cmp_ne_u64_e32 vcc, 0, v[2:3]
                                        ; implicit-def: $vgpr6_vgpr7
	s_and_saveexec_b64 s[0:1], vcc
	s_xor_b64 s[2:3], exec, s[0:1]
	s_cbranch_execz .LBB110_3
; %bb.2:
	s_ashr_i32 s6, s27, 31
	s_add_u32 s0, s26, s6
	s_mov_b32 s7, s6
	s_addc_u32 s1, s27, s6
	s_xor_b64 s[8:9], s[0:1], s[6:7]
	v_cvt_f32_u32_e32 v2, s8
	v_cvt_f32_u32_e32 v3, s9
	s_sub_u32 s7, 0, s8
	s_subb_u32 s10, 0, s9
	v_ashrrev_i32_e32 v6, 31, v1
	v_madmk_f32 v2, v3, 0x4f800000, v2
	v_rcp_f32_e32 v2, v2
	v_mul_f32_e32 v2, 0x5f7ffffc, v2
	v_mul_f32_e32 v3, 0x2f800000, v2
	v_trunc_f32_e32 v3, v3
	v_madmk_f32 v2, v3, 0xcf800000, v2
	v_cvt_u32_f32_e32 v3, v3
	v_cvt_u32_f32_e32 v2, v2
	v_readfirstlane_b32 s11, v3
	v_readfirstlane_b32 s0, v2
	s_mul_i32 s1, s7, s11
	s_mul_hi_u32 s13, s7, s0
	s_mul_i32 s12, s10, s0
	s_add_i32 s1, s13, s1
	s_add_i32 s1, s1, s12
	s_mul_i32 s14, s7, s0
	s_mul_i32 s13, s0, s1
	s_mul_hi_u32 s15, s0, s14
	s_mul_hi_u32 s12, s0, s1
	s_add_u32 s13, s15, s13
	s_addc_u32 s12, 0, s12
	s_mul_hi_u32 s16, s11, s14
	s_mul_i32 s14, s11, s14
	s_add_u32 s13, s13, s14
	s_mul_hi_u32 s15, s11, s1
	s_addc_u32 s12, s12, s16
	s_addc_u32 s13, s15, 0
	s_mul_i32 s1, s11, s1
	s_add_u32 s1, s12, s1
	s_addc_u32 s12, 0, s13
	s_add_u32 s13, s0, s1
	s_cselect_b64 s[0:1], -1, 0
	s_cmp_lg_u64 s[0:1], 0
	s_addc_u32 s11, s11, s12
	s_mul_i32 s0, s7, s11
	s_mul_hi_u32 s1, s7, s13
	s_add_i32 s0, s1, s0
	s_mul_i32 s10, s10, s13
	s_add_i32 s0, s0, s10
	s_mul_i32 s7, s7, s13
	s_mul_hi_u32 s10, s11, s7
	s_mul_i32 s12, s11, s7
	s_mul_i32 s15, s13, s0
	s_mul_hi_u32 s7, s13, s7
	s_mul_hi_u32 s14, s13, s0
	s_add_u32 s7, s7, s15
	s_addc_u32 s14, 0, s14
	s_add_u32 s7, s7, s12
	s_mul_hi_u32 s1, s11, s0
	s_addc_u32 s7, s14, s10
	s_addc_u32 s1, s1, 0
	s_mul_i32 s0, s11, s0
	s_add_u32 s0, s7, s0
	s_addc_u32 s7, 0, s1
	s_add_u32 s10, s13, s0
	s_cselect_b64 s[0:1], -1, 0
	s_cmp_lg_u64 s[0:1], 0
	v_add_co_u32_e32 v2, vcc, v0, v6
	s_addc_u32 s7, s11, s7
	v_xor_b32_e32 v7, v2, v6
	v_mad_u64_u32 v[2:3], s[0:1], v7, s7, 0
	v_mul_hi_u32 v5, v7, s10
	v_addc_co_u32_e32 v4, vcc, v1, v6, vcc
	v_xor_b32_e32 v8, v4, v6
	v_add_co_u32_e32 v9, vcc, v5, v2
	v_addc_co_u32_e32 v10, vcc, 0, v3, vcc
	v_mad_u64_u32 v[2:3], s[0:1], v8, s10, 0
	v_mad_u64_u32 v[4:5], s[0:1], v8, s7, 0
	v_add_co_u32_e32 v2, vcc, v9, v2
	v_addc_co_u32_e32 v2, vcc, v10, v3, vcc
	v_addc_co_u32_e32 v3, vcc, 0, v5, vcc
	v_add_co_u32_e32 v4, vcc, v2, v4
	v_addc_co_u32_e32 v5, vcc, 0, v3, vcc
	v_mul_lo_u32 v9, s9, v4
	v_mul_lo_u32 v10, s8, v5
	v_mad_u64_u32 v[2:3], s[0:1], s8, v4, 0
	v_add3_u32 v3, v3, v10, v9
	v_sub_u32_e32 v9, v8, v3
	v_mov_b32_e32 v10, s9
	v_sub_co_u32_e32 v2, vcc, v7, v2
	v_subb_co_u32_e64 v7, s[0:1], v9, v10, vcc
	v_subrev_co_u32_e64 v9, s[0:1], s8, v2
	v_subbrev_co_u32_e64 v7, s[0:1], 0, v7, s[0:1]
	v_cmp_le_u32_e64 s[0:1], s9, v7
	v_cndmask_b32_e64 v10, 0, -1, s[0:1]
	v_cmp_le_u32_e64 s[0:1], s8, v9
	v_cndmask_b32_e64 v9, 0, -1, s[0:1]
	v_cmp_eq_u32_e64 s[0:1], s9, v7
	v_cndmask_b32_e64 v7, v10, v9, s[0:1]
	v_add_co_u32_e64 v9, s[0:1], 2, v4
	v_subb_co_u32_e32 v3, vcc, v8, v3, vcc
	v_addc_co_u32_e64 v10, s[0:1], 0, v5, s[0:1]
	v_cmp_le_u32_e32 vcc, s9, v3
	v_add_co_u32_e64 v11, s[0:1], 1, v4
	v_cndmask_b32_e64 v8, 0, -1, vcc
	v_cmp_le_u32_e32 vcc, s8, v2
	v_addc_co_u32_e64 v12, s[0:1], 0, v5, s[0:1]
	v_cndmask_b32_e64 v2, 0, -1, vcc
	v_cmp_eq_u32_e32 vcc, s9, v3
	v_cmp_ne_u32_e64 s[0:1], 0, v7
	v_cndmask_b32_e32 v2, v8, v2, vcc
	v_cmp_ne_u32_e32 vcc, 0, v2
	v_cndmask_b32_e64 v3, v11, v9, s[0:1]
	v_cndmask_b32_e64 v7, v12, v10, s[0:1]
	v_cndmask_b32_e32 v3, v4, v3, vcc
	v_xor_b32_e32 v4, s6, v6
	v_cndmask_b32_e32 v2, v5, v7, vcc
	v_xor_b32_e32 v3, v3, v4
	v_xor_b32_e32 v2, v2, v4
	v_sub_co_u32_e32 v6, vcc, v3, v4
	v_subb_co_u32_e32 v7, vcc, v2, v4, vcc
.LBB110_3:
	s_or_saveexec_b64 s[0:1], s[2:3]
	s_load_dwordx8 s[8:15], s[4:5], 0x8
	s_load_dwordx8 s[16:23], s[4:5], 0x60
	s_xor_b64 exec, exec, s[0:1]
	s_cbranch_execz .LBB110_5
; %bb.4:
	v_cvt_f32_u32_e32 v2, s26
	s_sub_i32 s2, 0, s26
	v_mov_b32_e32 v7, 0
	v_rcp_iflag_f32_e32 v2, v2
	v_mul_f32_e32 v2, 0x4f7ffffe, v2
	v_cvt_u32_f32_e32 v2, v2
	v_mul_lo_u32 v3, s2, v2
	v_mul_hi_u32 v3, v2, v3
	v_add_u32_e32 v2, v2, v3
	v_mul_hi_u32 v2, v0, v2
	v_mul_lo_u32 v3, v2, s26
	v_add_u32_e32 v4, 1, v2
	v_sub_u32_e32 v3, v0, v3
	v_subrev_u32_e32 v5, s26, v3
	v_cmp_le_u32_e32 vcc, s26, v3
	v_cndmask_b32_e32 v3, v3, v5, vcc
	v_cndmask_b32_e32 v2, v2, v4, vcc
	v_add_u32_e32 v4, 1, v2
	v_cmp_le_u32_e32 vcc, s26, v3
	v_cndmask_b32_e32 v6, v2, v4, vcc
.LBB110_5:
	s_or_b64 exec, exec, s[0:1]
	v_or_b32_e32 v3, s37, v7
	v_mov_b32_e32 v2, 0
	v_cmp_ne_u64_e32 vcc, 0, v[2:3]
                                        ; implicit-def: $vgpr2_vgpr3
	s_and_saveexec_b64 s[0:1], vcc
	s_xor_b64 s[2:3], exec, s[0:1]
	s_cbranch_execz .LBB110_7
; %bb.6:
	s_ashr_i32 s6, s37, 31
	s_add_u32 s0, s36, s6
	s_mov_b32 s7, s6
	s_addc_u32 s1, s37, s6
	s_waitcnt lgkmcnt(0)
	s_xor_b64 s[22:23], s[0:1], s[6:7]
	v_cvt_f32_u32_e32 v2, s22
	v_cvt_f32_u32_e32 v3, s23
	s_sub_u32 s7, 0, s22
	s_subb_u32 s24, 0, s23
	v_ashrrev_i32_e32 v8, 31, v7
	v_madmk_f32 v2, v3, 0x4f800000, v2
	v_rcp_f32_e32 v2, v2
	v_mul_f32_e32 v2, 0x5f7ffffc, v2
	v_mul_f32_e32 v3, 0x2f800000, v2
	v_trunc_f32_e32 v3, v3
	v_madmk_f32 v2, v3, 0xcf800000, v2
	v_cvt_u32_f32_e32 v3, v3
	v_cvt_u32_f32_e32 v2, v2
	v_readfirstlane_b32 s25, v3
	v_readfirstlane_b32 s0, v2
	s_mul_i32 s1, s7, s25
	s_mul_hi_u32 s34, s7, s0
	s_mul_i32 s33, s24, s0
	s_add_i32 s1, s34, s1
	s_add_i32 s1, s1, s33
	s_mul_i32 s35, s7, s0
	s_mul_i32 s34, s0, s1
	s_mul_hi_u32 s40, s0, s35
	s_mul_hi_u32 s33, s0, s1
	s_add_u32 s34, s40, s34
	s_addc_u32 s33, 0, s33
	s_mul_hi_u32 s41, s25, s35
	s_mul_i32 s35, s25, s35
	s_add_u32 s34, s34, s35
	s_mul_hi_u32 s40, s25, s1
	s_addc_u32 s33, s33, s41
	s_addc_u32 s34, s40, 0
	s_mul_i32 s1, s25, s1
	s_add_u32 s1, s33, s1
	s_addc_u32 s33, 0, s34
	s_add_u32 s34, s0, s1
	s_cselect_b64 s[0:1], -1, 0
	s_cmp_lg_u64 s[0:1], 0
	s_addc_u32 s25, s25, s33
	s_mul_i32 s0, s7, s25
	s_mul_hi_u32 s1, s7, s34
	s_add_i32 s0, s1, s0
	s_mul_i32 s24, s24, s34
	s_add_i32 s0, s0, s24
	s_mul_i32 s7, s7, s34
	s_mul_hi_u32 s24, s25, s7
	s_mul_i32 s33, s25, s7
	s_mul_i32 s40, s34, s0
	s_mul_hi_u32 s7, s34, s7
	s_mul_hi_u32 s35, s34, s0
	s_add_u32 s7, s7, s40
	s_addc_u32 s35, 0, s35
	s_add_u32 s7, s7, s33
	s_mul_hi_u32 s1, s25, s0
	s_addc_u32 s7, s35, s24
	s_addc_u32 s1, s1, 0
	s_mul_i32 s0, s25, s0
	s_add_u32 s0, s7, s0
	s_addc_u32 s7, 0, s1
	s_add_u32 s24, s34, s0
	s_cselect_b64 s[0:1], -1, 0
	s_cmp_lg_u64 s[0:1], 0
	v_add_co_u32_e32 v2, vcc, v6, v8
	s_addc_u32 s7, s25, s7
	v_xor_b32_e32 v9, v2, v8
	v_mad_u64_u32 v[2:3], s[0:1], v9, s7, 0
	v_mul_hi_u32 v5, v9, s24
	v_addc_co_u32_e32 v4, vcc, v7, v8, vcc
	v_xor_b32_e32 v10, v4, v8
	v_add_co_u32_e32 v11, vcc, v5, v2
	v_addc_co_u32_e32 v12, vcc, 0, v3, vcc
	v_mad_u64_u32 v[2:3], s[0:1], v10, s24, 0
	v_mad_u64_u32 v[4:5], s[0:1], v10, s7, 0
	v_add_co_u32_e32 v2, vcc, v11, v2
	v_addc_co_u32_e32 v2, vcc, v12, v3, vcc
	v_addc_co_u32_e32 v3, vcc, 0, v5, vcc
	v_add_co_u32_e32 v4, vcc, v2, v4
	v_addc_co_u32_e32 v5, vcc, 0, v3, vcc
	v_mul_lo_u32 v11, s23, v4
	v_mul_lo_u32 v12, s22, v5
	v_mad_u64_u32 v[2:3], s[0:1], s22, v4, 0
	v_add3_u32 v3, v3, v12, v11
	v_sub_u32_e32 v11, v10, v3
	v_mov_b32_e32 v12, s23
	v_sub_co_u32_e32 v2, vcc, v9, v2
	v_subb_co_u32_e64 v9, s[0:1], v11, v12, vcc
	v_subrev_co_u32_e64 v11, s[0:1], s22, v2
	v_subbrev_co_u32_e64 v9, s[0:1], 0, v9, s[0:1]
	v_cmp_le_u32_e64 s[0:1], s23, v9
	v_cndmask_b32_e64 v12, 0, -1, s[0:1]
	v_cmp_le_u32_e64 s[0:1], s22, v11
	v_cndmask_b32_e64 v11, 0, -1, s[0:1]
	v_cmp_eq_u32_e64 s[0:1], s23, v9
	v_cndmask_b32_e64 v9, v12, v11, s[0:1]
	v_add_co_u32_e64 v11, s[0:1], 2, v4
	v_subb_co_u32_e32 v3, vcc, v10, v3, vcc
	v_addc_co_u32_e64 v12, s[0:1], 0, v5, s[0:1]
	v_cmp_le_u32_e32 vcc, s23, v3
	v_add_co_u32_e64 v13, s[0:1], 1, v4
	v_cndmask_b32_e64 v10, 0, -1, vcc
	v_cmp_le_u32_e32 vcc, s22, v2
	v_addc_co_u32_e64 v14, s[0:1], 0, v5, s[0:1]
	v_cndmask_b32_e64 v2, 0, -1, vcc
	v_cmp_eq_u32_e32 vcc, s23, v3
	v_cmp_ne_u32_e64 s[0:1], 0, v9
	v_cndmask_b32_e32 v2, v10, v2, vcc
	v_cndmask_b32_e64 v9, v14, v12, s[0:1]
	v_cmp_ne_u32_e32 vcc, 0, v2
	v_cndmask_b32_e64 v3, v13, v11, s[0:1]
	v_cndmask_b32_e32 v2, v5, v9, vcc
	v_cndmask_b32_e32 v3, v4, v3, vcc
	v_xor_b32_e32 v4, s6, v8
	v_xor_b32_e32 v5, v2, v4
	v_xor_b32_e32 v2, v3, v4
	v_sub_co_u32_e32 v2, vcc, v2, v4
	v_subb_co_u32_e32 v3, vcc, v5, v4, vcc
.LBB110_7:
	s_andn2_saveexec_b64 s[0:1], s[2:3]
	s_cbranch_execz .LBB110_9
; %bb.8:
	v_cvt_f32_u32_e32 v2, s36
	s_sub_i32 s2, 0, s36
	v_rcp_iflag_f32_e32 v2, v2
	v_mul_f32_e32 v2, 0x4f7ffffe, v2
	v_cvt_u32_f32_e32 v2, v2
	v_mul_lo_u32 v3, s2, v2
	v_mul_hi_u32 v3, v2, v3
	v_add_u32_e32 v2, v2, v3
	v_mul_hi_u32 v2, v6, v2
	v_mul_lo_u32 v3, v2, s36
	v_add_u32_e32 v4, 1, v2
	v_sub_u32_e32 v3, v6, v3
	v_subrev_u32_e32 v5, s36, v3
	v_cmp_le_u32_e32 vcc, s36, v3
	v_cndmask_b32_e32 v3, v3, v5, vcc
	v_cndmask_b32_e32 v2, v2, v4, vcc
	v_add_u32_e32 v4, 1, v2
	v_cmp_le_u32_e32 vcc, s36, v3
	v_cndmask_b32_e32 v2, v2, v4, vcc
	v_mov_b32_e32 v3, 0
.LBB110_9:
	s_or_b64 exec, exec, s[0:1]
	s_waitcnt lgkmcnt(0)
	s_load_dword s22, s[4:5], 0x38
	v_mad_u64_u32 v[8:9], s[0:1], v2, s36, 0
	v_mul_lo_u32 v4, v3, s36
	v_mul_lo_u32 v5, v2, s37
	s_waitcnt lgkmcnt(0)
	s_lshr_b32 s0, s22, 16
	s_add_u32 s1, s36, 1
	s_addc_u32 s2, s37, 0
	s_mul_i32 s2, s20, s2
	s_mul_hi_u32 s3, s20, s1
	s_add_i32 s2, s3, s2
	s_mul_i32 s3, s21, s1
	s_add_i32 s2, s2, s3
	s_mul_i32 s1, s20, s1
	v_mul_lo_u32 v12, s2, v2
	v_mul_lo_u32 v13, s1, v3
	v_mad_u64_u32 v[10:11], s[2:3], s1, v2, 0
	v_add3_u32 v9, v9, v5, v4
	v_sub_co_u32_e32 v4, vcc, v6, v8
	v_add3_u32 v11, v11, v13, v12
	v_lshlrev_b64 v[10:11], 2, v[10:11]
	v_subb_co_u32_e32 v5, vcc, v7, v9, vcc
	v_mov_b32_e32 v12, s15
	v_add_co_u32_e32 v13, vcc, s14, v10
	v_addc_co_u32_e32 v14, vcc, v12, v11, vcc
	v_lshlrev_b64 v[10:11], 2, v[4:5]
	v_mul_lo_u32 v15, v6, s27
	v_add_co_u32_e32 v12, vcc, v13, v10
	v_addc_co_u32_e32 v13, vcc, v14, v11, vcc
	global_load_dwordx2 v[12:13], v[12:13], off
	v_mul_lo_u32 v14, v7, s26
	v_mad_u64_u32 v[6:7], s[2:3], v6, s26, 0
	s_load_dword s20, s[4:5], 0x0
	v_mov_b32_e32 v16, s0
	v_add3_u32 v7, v7, v15, v14
	s_waitcnt vmcnt(0)
	v_cmp_lt_i32_e32 vcc, v12, v13
	s_and_saveexec_b64 s[2:3], vcc
	s_cbranch_execz .LBB110_28
; %bb.10:
	v_mul_lo_u32 v16, v3, s30
	v_mul_lo_u32 v17, v2, s31
	v_mad_u64_u32 v[14:15], s[4:5], v2, s30, 0
	s_waitcnt lgkmcnt(0)
	s_cmp_lg_u32 s20, 0
	s_cselect_b64 s[4:5], -1, 0
	v_add3_u32 v15, v15, v17, v16
	v_ashrrev_i32_e32 v17, 31, v12
	v_mov_b32_e32 v16, v12
	v_lshlrev_b64 v[14:15], 1, v[14:15]
	v_lshlrev_b64 v[16:17], 1, v[16:17]
	s_and_b32 s1, s20, -3
	v_add_co_u32_e32 v16, vcc, v14, v16
	v_addc_co_u32_e32 v17, vcc, v15, v17, vcc
	v_lshlrev_b64 v[14:15], 1, v[0:1]
	v_mul_lo_u32 v17, s28, v17
	v_mul_lo_u32 v18, s29, v16
	v_mad_u64_u32 v[14:15], s[6:7], s28, v16, v[14:15]
	s_cmp_lg_u32 s1, 1
	s_cselect_b64 s[6:7], -1, 0
	v_add3_u32 v17, v18, v15, v17
	v_lshlrev_b64 v[15:16], 1, v[6:7]
	s_lshl_b64 s[14:15], s[28:29], 1
	v_sub_co_u32_e32 v14, vcc, v14, v15
	v_subb_co_u32_e32 v15, vcc, v17, v16, vcc
	v_mov_b32_e32 v16, s11
	v_add_co_u32_e32 v14, vcc, s10, v14
	v_addc_co_u32_e32 v15, vcc, v16, v15, vcc
	s_mov_b64 s[10:11], 0
	v_mov_b32_e32 v18, s0
	s_movk_i32 s21, 0x7fff
	v_mov_b32_e32 v17, 0x7fc0
	v_mov_b32_e32 v19, s0
	s_branch .LBB110_12
.LBB110_11:                             ;   in Loop: Header=BB110_12 Depth=1
	v_mov_b32_e32 v18, s15
	v_add_co_u32_e32 v14, vcc, s14, v14
	v_add_u32_e32 v12, 1, v12
	v_addc_co_u32_e32 v15, vcc, v15, v18, vcc
	v_cmp_ge_i32_e32 vcc, v12, v13
	s_or_b64 s[10:11], vcc, s[10:11]
	v_mov_b32_e32 v18, v16
	v_mov_b32_e32 v19, v21
	s_andn2_b64 exec, exec, s[10:11]
	s_cbranch_execz .LBB110_27
.LBB110_12:                             ; =>This Inner Loop Header: Depth=1
	global_load_ushort v16, v[14:15], off
	s_and_b64 vcc, exec, s[4:5]
	s_mov_b64 s[0:1], -1
	s_waitcnt vmcnt(0)
	v_and_b32_e32 v20, 0xffff, v16
	s_cbranch_vccz .LBB110_25
; %bb.13:                               ;   in Loop: Header=BB110_12 Depth=1
	s_and_b64 vcc, exec, s[6:7]
                                        ; implicit-def: $vgpr21
                                        ; implicit-def: $vgpr16
	s_cbranch_vccz .LBB110_22
; %bb.14:                               ;   in Loop: Header=BB110_12 Depth=1
	s_cmp_lt_i32 s20, 4
                                        ; implicit-def: $vgpr21
                                        ; implicit-def: $vgpr16
	s_cbranch_scc1 .LBB110_18
; %bb.15:                               ;   in Loop: Header=BB110_12 Depth=1
	s_cmp_eq_u32 s20, 4
	v_mov_b32_e32 v21, v19
	v_mov_b32_e32 v16, v18
	s_cbranch_scc0 .LBB110_17
; %bb.16:                               ;   in Loop: Header=BB110_12 Depth=1
	v_lshlrev_b32_e32 v16, 16, v19
	v_lshlrev_b32_e32 v21, 16, v20
	v_mul_f32_e32 v16, v21, v16
	v_bfe_u32 v21, v16, 16, 1
	v_add3_u32 v21, v16, v21, s21
	v_cmp_o_f32_e32 vcc, v16, v16
	v_cndmask_b32_sdwa v21, v17, v21, vcc dst_sel:DWORD dst_unused:UNUSED_PAD src0_sel:DWORD src1_sel:WORD_1
	v_mov_b32_e32 v16, v21
.LBB110_17:                             ;   in Loop: Header=BB110_12 Depth=1
	s_mov_b64 s[0:1], 0
.LBB110_18:                             ;   in Loop: Header=BB110_12 Depth=1
	s_andn2_b64 vcc, exec, s[0:1]
	s_cbranch_vccnz .LBB110_21
; %bb.19:                               ;   in Loop: Header=BB110_12 Depth=1
	s_cmp_lg_u32 s20, 2
	v_mov_b32_e32 v21, v19
	v_mov_b32_e32 v16, v18
	s_cbranch_scc1 .LBB110_21
; %bb.20:                               ;   in Loop: Header=BB110_12 Depth=1
	v_lshlrev_b32_e32 v16, 16, v20
	v_lshlrev_b32_e32 v21, 16, v19
	v_cmp_u_f32_e32 vcc, v16, v16
	v_cmp_lt_f32_e64 s[0:1], v16, v21
	s_or_b64 vcc, vcc, s[0:1]
	v_cndmask_b32_e32 v21, v18, v20, vcc
	v_mov_b32_e32 v16, v21
.LBB110_21:                             ;   in Loop: Header=BB110_12 Depth=1
	s_mov_b64 s[0:1], 0
.LBB110_22:                             ;   in Loop: Header=BB110_12 Depth=1
	s_and_b64 vcc, exec, s[0:1]
	s_cbranch_vccz .LBB110_24
; %bb.23:                               ;   in Loop: Header=BB110_12 Depth=1
	v_lshlrev_b32_e32 v16, 16, v19
	v_lshlrev_b32_e32 v21, 16, v20
	v_add_f32_e32 v16, v21, v16
	v_bfe_u32 v21, v16, 16, 1
	v_add3_u32 v21, v16, v21, s21
	v_cmp_o_f32_e32 vcc, v16, v16
	v_cndmask_b32_sdwa v21, v17, v21, vcc dst_sel:DWORD dst_unused:UNUSED_PAD src0_sel:DWORD src1_sel:WORD_1
	v_mov_b32_e32 v16, v21
.LBB110_24:                             ;   in Loop: Header=BB110_12 Depth=1
	s_cbranch_execnz .LBB110_11
	s_branch .LBB110_26
.LBB110_25:                             ;   in Loop: Header=BB110_12 Depth=1
                                        ; implicit-def: $vgpr21
                                        ; implicit-def: $vgpr16
	s_andn2_b64 vcc, exec, s[0:1]
	s_cbranch_vccnz .LBB110_11
.LBB110_26:                             ;   in Loop: Header=BB110_12 Depth=1
	v_lshlrev_b32_e32 v16, 16, v20
	v_lshlrev_b32_e32 v19, 16, v19
	v_cmp_u_f32_e32 vcc, v16, v16
	v_cmp_lt_f32_e64 s[0:1], v19, v16
	s_or_b64 vcc, vcc, s[0:1]
	v_cndmask_b32_e32 v16, v18, v20, vcc
	v_mov_b32_e32 v21, v16
	s_branch .LBB110_11
.LBB110_27:
	s_or_b64 exec, exec, s[10:11]
.LBB110_28:
	s_or_b64 exec, exec, s[2:3]
	v_mul_lo_u32 v12, v9, s38
	v_mul_lo_u32 v13, v8, s39
	v_mad_u64_u32 v[8:9], s[0:1], v8, s38, 0
	v_add3_u32 v9, v9, v13, v12
	v_lshlrev_b64 v[8:9], 2, v[8:9]
	v_mov_b32_e32 v12, s13
	v_add_co_u32_e32 v8, vcc, s12, v8
	v_addc_co_u32_e32 v9, vcc, v12, v9, vcc
	v_add_co_u32_e32 v8, vcc, v8, v10
	v_addc_co_u32_e32 v9, vcc, v9, v11, vcc
	global_load_dword v9, v[8:9], off
	s_waitcnt vmcnt(0)
	v_cmp_lt_i32_e32 vcc, -1, v9
	s_and_saveexec_b64 s[0:1], vcc
	s_xor_b64 s[0:1], exec, s[0:1]
	s_cbranch_execz .LBB110_36
; %bb.29:
	s_bitcmp1_b32 s22, 0
	s_cselect_b64 s[2:3], -1, 0
	v_cmp_ne_u32_e32 vcc, 0, v9
	s_or_b64 s[2:3], s[2:3], vcc
	s_waitcnt lgkmcnt(0)
	s_cmp_lg_u32 s20, 1
	s_cselect_b64 s[4:5], -1, 0
	s_or_b64 s[6:7], s[4:5], s[2:3]
	v_mov_b32_e32 v8, 0x7fc0
	s_and_saveexec_b64 s[2:3], s[6:7]
	s_cbranch_execz .LBB110_35
; %bb.30:
	v_cmp_ne_u32_e32 vcc, 0, v9
	s_xor_b64 s[4:5], s[4:5], -1
	s_and_b64 s[6:7], s[4:5], vcc
	s_and_saveexec_b64 s[4:5], s[6:7]
	s_cbranch_execz .LBB110_34
; %bb.31:
	v_lshlrev_b32_e32 v8, 16, v16
	v_cmp_o_f32_e32 vcc, v8, v8
	s_and_saveexec_b64 s[6:7], vcc
	s_cbranch_execz .LBB110_33
; %bb.32:
	v_cvt_f32_u32_e32 v9, v9
	s_movk_i32 s12, 0x7fff
	v_bfe_u32 v10, v9, 16, 1
	v_add3_u32 v9, v9, v10, s12
	v_and_b32_e32 v9, 0xffff0000, v9
	v_div_scale_f32 v10, s[10:11], v9, v9, v8
	v_div_scale_f32 v11, vcc, v8, v9, v8
	v_rcp_f32_e32 v12, v10
	v_fma_f32 v13, -v10, v12, 1.0
	v_fmac_f32_e32 v12, v13, v12
	v_mul_f32_e32 v13, v11, v12
	v_fma_f32 v14, -v10, v13, v11
	v_fmac_f32_e32 v13, v14, v12
	v_fma_f32 v10, -v10, v13, v11
	v_div_fmas_f32 v10, v10, v12, v13
	v_mov_b32_e32 v11, 0x7fc0
	v_div_fixup_f32 v8, v10, v9, v8
	v_bfe_u32 v9, v8, 16, 1
	v_cmp_o_f32_e32 vcc, v8, v8
	v_add3_u32 v8, v8, v9, s12
	v_cndmask_b32_sdwa v16, v11, v8, vcc dst_sel:DWORD dst_unused:UNUSED_PAD src0_sel:DWORD src1_sel:WORD_1
.LBB110_33:
	s_or_b64 exec, exec, s[6:7]
.LBB110_34:
	s_or_b64 exec, exec, s[4:5]
	v_mov_b32_e32 v8, v16
.LBB110_35:
	s_or_b64 exec, exec, s[2:3]
	s_mul_i32 s2, s18, s17
	s_mul_hi_u32 s3, s18, s16
	s_add_i32 s2, s3, s2
	s_mul_i32 s3, s19, s16
	s_add_i32 s2, s2, s3
	s_mul_i32 s3, s18, s16
	v_mul_lo_u32 v9, s2, v2
	v_mul_lo_u32 v10, s3, v3
	v_mad_u64_u32 v[2:3], s[2:3], s3, v2, 0
	v_mul_lo_u32 v11, v5, s16
	v_mul_lo_u32 v12, v4, s17
	v_mad_u64_u32 v[4:5], s[2:3], v4, s16, 0
	v_add3_u32 v3, v3, v10, v9
	v_sub_co_u32_e32 v0, vcc, v0, v6
	v_lshlrev_b64 v[2:3], 1, v[2:3]
	v_subb_co_u32_e32 v1, vcc, v1, v7, vcc
	v_add3_u32 v5, v5, v12, v11
	v_mov_b32_e32 v6, s9
	v_add_co_u32_e32 v7, vcc, s8, v2
	v_addc_co_u32_e32 v6, vcc, v6, v3, vcc
	v_lshlrev_b64 v[2:3], 1, v[4:5]
	v_lshlrev_b64 v[0:1], 1, v[0:1]
	v_add_co_u32_e32 v2, vcc, v7, v2
	v_addc_co_u32_e32 v3, vcc, v6, v3, vcc
	v_add_co_u32_e32 v0, vcc, v2, v0
	v_addc_co_u32_e32 v1, vcc, v3, v1, vcc
	global_store_short v[0:1], v8, off
.LBB110_36:
	s_andn2_saveexec_b64 s[0:1], s[0:1]
	s_cbranch_execnz .LBB110_38
.LBB110_37:
	s_endpgm
.LBB110_38:
	s_trap 2
	; divergent unreachable
	s_endpgm
	.section	.rodata,"a",@progbits
	.p2align	6, 0x0
	.amdhsa_kernel _ZN2at6native12_GLOBAL__N_129segment_reduce_forward_kernelIN3c108BFloat16EiEEvNS0_13ReductionTypeEPT_PKS6_PKT0_SC_llbS6_lllllll
		.amdhsa_group_segment_fixed_size 0
		.amdhsa_private_segment_fixed_size 0
		.amdhsa_kernarg_size 376
		.amdhsa_user_sgpr_count 6
		.amdhsa_user_sgpr_private_segment_buffer 1
		.amdhsa_user_sgpr_dispatch_ptr 0
		.amdhsa_user_sgpr_queue_ptr 0
		.amdhsa_user_sgpr_kernarg_segment_ptr 1
		.amdhsa_user_sgpr_dispatch_id 0
		.amdhsa_user_sgpr_flat_scratch_init 0
		.amdhsa_user_sgpr_private_segment_size 0
		.amdhsa_uses_dynamic_stack 0
		.amdhsa_system_sgpr_private_segment_wavefront_offset 0
		.amdhsa_system_sgpr_workgroup_id_x 1
		.amdhsa_system_sgpr_workgroup_id_y 0
		.amdhsa_system_sgpr_workgroup_id_z 0
		.amdhsa_system_sgpr_workgroup_info 0
		.amdhsa_system_vgpr_workitem_id 0
		.amdhsa_next_free_vgpr 22
		.amdhsa_next_free_sgpr 42
		.amdhsa_reserve_vcc 1
		.amdhsa_reserve_flat_scratch 0
		.amdhsa_float_round_mode_32 0
		.amdhsa_float_round_mode_16_64 0
		.amdhsa_float_denorm_mode_32 3
		.amdhsa_float_denorm_mode_16_64 3
		.amdhsa_dx10_clamp 1
		.amdhsa_ieee_mode 1
		.amdhsa_fp16_overflow 0
		.amdhsa_exception_fp_ieee_invalid_op 0
		.amdhsa_exception_fp_denorm_src 0
		.amdhsa_exception_fp_ieee_div_zero 0
		.amdhsa_exception_fp_ieee_overflow 0
		.amdhsa_exception_fp_ieee_underflow 0
		.amdhsa_exception_fp_ieee_inexact 0
		.amdhsa_exception_int_div_zero 0
	.end_amdhsa_kernel
	.section	.text._ZN2at6native12_GLOBAL__N_129segment_reduce_forward_kernelIN3c108BFloat16EiEEvNS0_13ReductionTypeEPT_PKS6_PKT0_SC_llbS6_lllllll,"axG",@progbits,_ZN2at6native12_GLOBAL__N_129segment_reduce_forward_kernelIN3c108BFloat16EiEEvNS0_13ReductionTypeEPT_PKS6_PKT0_SC_llbS6_lllllll,comdat
.Lfunc_end110:
	.size	_ZN2at6native12_GLOBAL__N_129segment_reduce_forward_kernelIN3c108BFloat16EiEEvNS0_13ReductionTypeEPT_PKS6_PKT0_SC_llbS6_lllllll, .Lfunc_end110-_ZN2at6native12_GLOBAL__N_129segment_reduce_forward_kernelIN3c108BFloat16EiEEvNS0_13ReductionTypeEPT_PKS6_PKT0_SC_llbS6_lllllll
                                        ; -- End function
	.set _ZN2at6native12_GLOBAL__N_129segment_reduce_forward_kernelIN3c108BFloat16EiEEvNS0_13ReductionTypeEPT_PKS6_PKT0_SC_llbS6_lllllll.num_vgpr, 22
	.set _ZN2at6native12_GLOBAL__N_129segment_reduce_forward_kernelIN3c108BFloat16EiEEvNS0_13ReductionTypeEPT_PKS6_PKT0_SC_llbS6_lllllll.num_agpr, 0
	.set _ZN2at6native12_GLOBAL__N_129segment_reduce_forward_kernelIN3c108BFloat16EiEEvNS0_13ReductionTypeEPT_PKS6_PKT0_SC_llbS6_lllllll.numbered_sgpr, 42
	.set _ZN2at6native12_GLOBAL__N_129segment_reduce_forward_kernelIN3c108BFloat16EiEEvNS0_13ReductionTypeEPT_PKS6_PKT0_SC_llbS6_lllllll.num_named_barrier, 0
	.set _ZN2at6native12_GLOBAL__N_129segment_reduce_forward_kernelIN3c108BFloat16EiEEvNS0_13ReductionTypeEPT_PKS6_PKT0_SC_llbS6_lllllll.private_seg_size, 0
	.set _ZN2at6native12_GLOBAL__N_129segment_reduce_forward_kernelIN3c108BFloat16EiEEvNS0_13ReductionTypeEPT_PKS6_PKT0_SC_llbS6_lllllll.uses_vcc, 1
	.set _ZN2at6native12_GLOBAL__N_129segment_reduce_forward_kernelIN3c108BFloat16EiEEvNS0_13ReductionTypeEPT_PKS6_PKT0_SC_llbS6_lllllll.uses_flat_scratch, 0
	.set _ZN2at6native12_GLOBAL__N_129segment_reduce_forward_kernelIN3c108BFloat16EiEEvNS0_13ReductionTypeEPT_PKS6_PKT0_SC_llbS6_lllllll.has_dyn_sized_stack, 0
	.set _ZN2at6native12_GLOBAL__N_129segment_reduce_forward_kernelIN3c108BFloat16EiEEvNS0_13ReductionTypeEPT_PKS6_PKT0_SC_llbS6_lllllll.has_recursion, 0
	.set _ZN2at6native12_GLOBAL__N_129segment_reduce_forward_kernelIN3c108BFloat16EiEEvNS0_13ReductionTypeEPT_PKS6_PKT0_SC_llbS6_lllllll.has_indirect_call, 0
	.section	.AMDGPU.csdata,"",@progbits
; Kernel info:
; codeLenInByte = 2876
; TotalNumSgprs: 46
; NumVgprs: 22
; ScratchSize: 0
; MemoryBound: 0
; FloatMode: 240
; IeeeMode: 1
; LDSByteSize: 0 bytes/workgroup (compile time only)
; SGPRBlocks: 5
; VGPRBlocks: 5
; NumSGPRsForWavesPerEU: 46
; NumVGPRsForWavesPerEU: 22
; Occupancy: 10
; WaveLimiterHint : 0
; COMPUTE_PGM_RSRC2:SCRATCH_EN: 0
; COMPUTE_PGM_RSRC2:USER_SGPR: 6
; COMPUTE_PGM_RSRC2:TRAP_HANDLER: 0
; COMPUTE_PGM_RSRC2:TGID_X_EN: 1
; COMPUTE_PGM_RSRC2:TGID_Y_EN: 0
; COMPUTE_PGM_RSRC2:TGID_Z_EN: 0
; COMPUTE_PGM_RSRC2:TIDIG_COMP_CNT: 0
	.section	.text._ZN7rocprim17ROCPRIM_400000_NS6detail17trampoline_kernelINS0_14default_configENS1_32segmented_reduce_config_selectorIN3c108BFloat16EEEZNS1_21segmented_reduce_implIS3_PKS6_PS6_PKiS6_N6hipcub16HIPCUB_304000_NS6detail27convert_result_type_wrapperISA_SB_N2at6native12_GLOBAL__N_19CustomMaxEEEEE10hipError_tPvRmT0_T1_jT2_SS_T4_T3_P12ihipStream_tbEUlT_E_NS1_11comp_targetILNS1_3genE0ELNS1_11target_archE4294967295ELNS1_3gpuE0ELNS1_3repE0EEENS1_30default_config_static_selectorELNS0_4arch9wavefront6targetE1EEEvSR_,"axG",@progbits,_ZN7rocprim17ROCPRIM_400000_NS6detail17trampoline_kernelINS0_14default_configENS1_32segmented_reduce_config_selectorIN3c108BFloat16EEEZNS1_21segmented_reduce_implIS3_PKS6_PS6_PKiS6_N6hipcub16HIPCUB_304000_NS6detail27convert_result_type_wrapperISA_SB_N2at6native12_GLOBAL__N_19CustomMaxEEEEE10hipError_tPvRmT0_T1_jT2_SS_T4_T3_P12ihipStream_tbEUlT_E_NS1_11comp_targetILNS1_3genE0ELNS1_11target_archE4294967295ELNS1_3gpuE0ELNS1_3repE0EEENS1_30default_config_static_selectorELNS0_4arch9wavefront6targetE1EEEvSR_,comdat
	.globl	_ZN7rocprim17ROCPRIM_400000_NS6detail17trampoline_kernelINS0_14default_configENS1_32segmented_reduce_config_selectorIN3c108BFloat16EEEZNS1_21segmented_reduce_implIS3_PKS6_PS6_PKiS6_N6hipcub16HIPCUB_304000_NS6detail27convert_result_type_wrapperISA_SB_N2at6native12_GLOBAL__N_19CustomMaxEEEEE10hipError_tPvRmT0_T1_jT2_SS_T4_T3_P12ihipStream_tbEUlT_E_NS1_11comp_targetILNS1_3genE0ELNS1_11target_archE4294967295ELNS1_3gpuE0ELNS1_3repE0EEENS1_30default_config_static_selectorELNS0_4arch9wavefront6targetE1EEEvSR_ ; -- Begin function _ZN7rocprim17ROCPRIM_400000_NS6detail17trampoline_kernelINS0_14default_configENS1_32segmented_reduce_config_selectorIN3c108BFloat16EEEZNS1_21segmented_reduce_implIS3_PKS6_PS6_PKiS6_N6hipcub16HIPCUB_304000_NS6detail27convert_result_type_wrapperISA_SB_N2at6native12_GLOBAL__N_19CustomMaxEEEEE10hipError_tPvRmT0_T1_jT2_SS_T4_T3_P12ihipStream_tbEUlT_E_NS1_11comp_targetILNS1_3genE0ELNS1_11target_archE4294967295ELNS1_3gpuE0ELNS1_3repE0EEENS1_30default_config_static_selectorELNS0_4arch9wavefront6targetE1EEEvSR_
	.p2align	8
	.type	_ZN7rocprim17ROCPRIM_400000_NS6detail17trampoline_kernelINS0_14default_configENS1_32segmented_reduce_config_selectorIN3c108BFloat16EEEZNS1_21segmented_reduce_implIS3_PKS6_PS6_PKiS6_N6hipcub16HIPCUB_304000_NS6detail27convert_result_type_wrapperISA_SB_N2at6native12_GLOBAL__N_19CustomMaxEEEEE10hipError_tPvRmT0_T1_jT2_SS_T4_T3_P12ihipStream_tbEUlT_E_NS1_11comp_targetILNS1_3genE0ELNS1_11target_archE4294967295ELNS1_3gpuE0ELNS1_3repE0EEENS1_30default_config_static_selectorELNS0_4arch9wavefront6targetE1EEEvSR_,@function
_ZN7rocprim17ROCPRIM_400000_NS6detail17trampoline_kernelINS0_14default_configENS1_32segmented_reduce_config_selectorIN3c108BFloat16EEEZNS1_21segmented_reduce_implIS3_PKS6_PS6_PKiS6_N6hipcub16HIPCUB_304000_NS6detail27convert_result_type_wrapperISA_SB_N2at6native12_GLOBAL__N_19CustomMaxEEEEE10hipError_tPvRmT0_T1_jT2_SS_T4_T3_P12ihipStream_tbEUlT_E_NS1_11comp_targetILNS1_3genE0ELNS1_11target_archE4294967295ELNS1_3gpuE0ELNS1_3repE0EEENS1_30default_config_static_selectorELNS0_4arch9wavefront6targetE1EEEvSR_: ; @_ZN7rocprim17ROCPRIM_400000_NS6detail17trampoline_kernelINS0_14default_configENS1_32segmented_reduce_config_selectorIN3c108BFloat16EEEZNS1_21segmented_reduce_implIS3_PKS6_PS6_PKiS6_N6hipcub16HIPCUB_304000_NS6detail27convert_result_type_wrapperISA_SB_N2at6native12_GLOBAL__N_19CustomMaxEEEEE10hipError_tPvRmT0_T1_jT2_SS_T4_T3_P12ihipStream_tbEUlT_E_NS1_11comp_targetILNS1_3genE0ELNS1_11target_archE4294967295ELNS1_3gpuE0ELNS1_3repE0EEENS1_30default_config_static_selectorELNS0_4arch9wavefront6targetE1EEEvSR_
; %bb.0:
	.section	.rodata,"a",@progbits
	.p2align	6, 0x0
	.amdhsa_kernel _ZN7rocprim17ROCPRIM_400000_NS6detail17trampoline_kernelINS0_14default_configENS1_32segmented_reduce_config_selectorIN3c108BFloat16EEEZNS1_21segmented_reduce_implIS3_PKS6_PS6_PKiS6_N6hipcub16HIPCUB_304000_NS6detail27convert_result_type_wrapperISA_SB_N2at6native12_GLOBAL__N_19CustomMaxEEEEE10hipError_tPvRmT0_T1_jT2_SS_T4_T3_P12ihipStream_tbEUlT_E_NS1_11comp_targetILNS1_3genE0ELNS1_11target_archE4294967295ELNS1_3gpuE0ELNS1_3repE0EEENS1_30default_config_static_selectorELNS0_4arch9wavefront6targetE1EEEvSR_
		.amdhsa_group_segment_fixed_size 0
		.amdhsa_private_segment_fixed_size 0
		.amdhsa_kernarg_size 48
		.amdhsa_user_sgpr_count 6
		.amdhsa_user_sgpr_private_segment_buffer 1
		.amdhsa_user_sgpr_dispatch_ptr 0
		.amdhsa_user_sgpr_queue_ptr 0
		.amdhsa_user_sgpr_kernarg_segment_ptr 1
		.amdhsa_user_sgpr_dispatch_id 0
		.amdhsa_user_sgpr_flat_scratch_init 0
		.amdhsa_user_sgpr_private_segment_size 0
		.amdhsa_uses_dynamic_stack 0
		.amdhsa_system_sgpr_private_segment_wavefront_offset 0
		.amdhsa_system_sgpr_workgroup_id_x 1
		.amdhsa_system_sgpr_workgroup_id_y 0
		.amdhsa_system_sgpr_workgroup_id_z 0
		.amdhsa_system_sgpr_workgroup_info 0
		.amdhsa_system_vgpr_workitem_id 0
		.amdhsa_next_free_vgpr 1
		.amdhsa_next_free_sgpr 0
		.amdhsa_reserve_vcc 0
		.amdhsa_reserve_flat_scratch 0
		.amdhsa_float_round_mode_32 0
		.amdhsa_float_round_mode_16_64 0
		.amdhsa_float_denorm_mode_32 3
		.amdhsa_float_denorm_mode_16_64 3
		.amdhsa_dx10_clamp 1
		.amdhsa_ieee_mode 1
		.amdhsa_fp16_overflow 0
		.amdhsa_exception_fp_ieee_invalid_op 0
		.amdhsa_exception_fp_denorm_src 0
		.amdhsa_exception_fp_ieee_div_zero 0
		.amdhsa_exception_fp_ieee_overflow 0
		.amdhsa_exception_fp_ieee_underflow 0
		.amdhsa_exception_fp_ieee_inexact 0
		.amdhsa_exception_int_div_zero 0
	.end_amdhsa_kernel
	.section	.text._ZN7rocprim17ROCPRIM_400000_NS6detail17trampoline_kernelINS0_14default_configENS1_32segmented_reduce_config_selectorIN3c108BFloat16EEEZNS1_21segmented_reduce_implIS3_PKS6_PS6_PKiS6_N6hipcub16HIPCUB_304000_NS6detail27convert_result_type_wrapperISA_SB_N2at6native12_GLOBAL__N_19CustomMaxEEEEE10hipError_tPvRmT0_T1_jT2_SS_T4_T3_P12ihipStream_tbEUlT_E_NS1_11comp_targetILNS1_3genE0ELNS1_11target_archE4294967295ELNS1_3gpuE0ELNS1_3repE0EEENS1_30default_config_static_selectorELNS0_4arch9wavefront6targetE1EEEvSR_,"axG",@progbits,_ZN7rocprim17ROCPRIM_400000_NS6detail17trampoline_kernelINS0_14default_configENS1_32segmented_reduce_config_selectorIN3c108BFloat16EEEZNS1_21segmented_reduce_implIS3_PKS6_PS6_PKiS6_N6hipcub16HIPCUB_304000_NS6detail27convert_result_type_wrapperISA_SB_N2at6native12_GLOBAL__N_19CustomMaxEEEEE10hipError_tPvRmT0_T1_jT2_SS_T4_T3_P12ihipStream_tbEUlT_E_NS1_11comp_targetILNS1_3genE0ELNS1_11target_archE4294967295ELNS1_3gpuE0ELNS1_3repE0EEENS1_30default_config_static_selectorELNS0_4arch9wavefront6targetE1EEEvSR_,comdat
.Lfunc_end111:
	.size	_ZN7rocprim17ROCPRIM_400000_NS6detail17trampoline_kernelINS0_14default_configENS1_32segmented_reduce_config_selectorIN3c108BFloat16EEEZNS1_21segmented_reduce_implIS3_PKS6_PS6_PKiS6_N6hipcub16HIPCUB_304000_NS6detail27convert_result_type_wrapperISA_SB_N2at6native12_GLOBAL__N_19CustomMaxEEEEE10hipError_tPvRmT0_T1_jT2_SS_T4_T3_P12ihipStream_tbEUlT_E_NS1_11comp_targetILNS1_3genE0ELNS1_11target_archE4294967295ELNS1_3gpuE0ELNS1_3repE0EEENS1_30default_config_static_selectorELNS0_4arch9wavefront6targetE1EEEvSR_, .Lfunc_end111-_ZN7rocprim17ROCPRIM_400000_NS6detail17trampoline_kernelINS0_14default_configENS1_32segmented_reduce_config_selectorIN3c108BFloat16EEEZNS1_21segmented_reduce_implIS3_PKS6_PS6_PKiS6_N6hipcub16HIPCUB_304000_NS6detail27convert_result_type_wrapperISA_SB_N2at6native12_GLOBAL__N_19CustomMaxEEEEE10hipError_tPvRmT0_T1_jT2_SS_T4_T3_P12ihipStream_tbEUlT_E_NS1_11comp_targetILNS1_3genE0ELNS1_11target_archE4294967295ELNS1_3gpuE0ELNS1_3repE0EEENS1_30default_config_static_selectorELNS0_4arch9wavefront6targetE1EEEvSR_
                                        ; -- End function
	.set _ZN7rocprim17ROCPRIM_400000_NS6detail17trampoline_kernelINS0_14default_configENS1_32segmented_reduce_config_selectorIN3c108BFloat16EEEZNS1_21segmented_reduce_implIS3_PKS6_PS6_PKiS6_N6hipcub16HIPCUB_304000_NS6detail27convert_result_type_wrapperISA_SB_N2at6native12_GLOBAL__N_19CustomMaxEEEEE10hipError_tPvRmT0_T1_jT2_SS_T4_T3_P12ihipStream_tbEUlT_E_NS1_11comp_targetILNS1_3genE0ELNS1_11target_archE4294967295ELNS1_3gpuE0ELNS1_3repE0EEENS1_30default_config_static_selectorELNS0_4arch9wavefront6targetE1EEEvSR_.num_vgpr, 0
	.set _ZN7rocprim17ROCPRIM_400000_NS6detail17trampoline_kernelINS0_14default_configENS1_32segmented_reduce_config_selectorIN3c108BFloat16EEEZNS1_21segmented_reduce_implIS3_PKS6_PS6_PKiS6_N6hipcub16HIPCUB_304000_NS6detail27convert_result_type_wrapperISA_SB_N2at6native12_GLOBAL__N_19CustomMaxEEEEE10hipError_tPvRmT0_T1_jT2_SS_T4_T3_P12ihipStream_tbEUlT_E_NS1_11comp_targetILNS1_3genE0ELNS1_11target_archE4294967295ELNS1_3gpuE0ELNS1_3repE0EEENS1_30default_config_static_selectorELNS0_4arch9wavefront6targetE1EEEvSR_.num_agpr, 0
	.set _ZN7rocprim17ROCPRIM_400000_NS6detail17trampoline_kernelINS0_14default_configENS1_32segmented_reduce_config_selectorIN3c108BFloat16EEEZNS1_21segmented_reduce_implIS3_PKS6_PS6_PKiS6_N6hipcub16HIPCUB_304000_NS6detail27convert_result_type_wrapperISA_SB_N2at6native12_GLOBAL__N_19CustomMaxEEEEE10hipError_tPvRmT0_T1_jT2_SS_T4_T3_P12ihipStream_tbEUlT_E_NS1_11comp_targetILNS1_3genE0ELNS1_11target_archE4294967295ELNS1_3gpuE0ELNS1_3repE0EEENS1_30default_config_static_selectorELNS0_4arch9wavefront6targetE1EEEvSR_.numbered_sgpr, 0
	.set _ZN7rocprim17ROCPRIM_400000_NS6detail17trampoline_kernelINS0_14default_configENS1_32segmented_reduce_config_selectorIN3c108BFloat16EEEZNS1_21segmented_reduce_implIS3_PKS6_PS6_PKiS6_N6hipcub16HIPCUB_304000_NS6detail27convert_result_type_wrapperISA_SB_N2at6native12_GLOBAL__N_19CustomMaxEEEEE10hipError_tPvRmT0_T1_jT2_SS_T4_T3_P12ihipStream_tbEUlT_E_NS1_11comp_targetILNS1_3genE0ELNS1_11target_archE4294967295ELNS1_3gpuE0ELNS1_3repE0EEENS1_30default_config_static_selectorELNS0_4arch9wavefront6targetE1EEEvSR_.num_named_barrier, 0
	.set _ZN7rocprim17ROCPRIM_400000_NS6detail17trampoline_kernelINS0_14default_configENS1_32segmented_reduce_config_selectorIN3c108BFloat16EEEZNS1_21segmented_reduce_implIS3_PKS6_PS6_PKiS6_N6hipcub16HIPCUB_304000_NS6detail27convert_result_type_wrapperISA_SB_N2at6native12_GLOBAL__N_19CustomMaxEEEEE10hipError_tPvRmT0_T1_jT2_SS_T4_T3_P12ihipStream_tbEUlT_E_NS1_11comp_targetILNS1_3genE0ELNS1_11target_archE4294967295ELNS1_3gpuE0ELNS1_3repE0EEENS1_30default_config_static_selectorELNS0_4arch9wavefront6targetE1EEEvSR_.private_seg_size, 0
	.set _ZN7rocprim17ROCPRIM_400000_NS6detail17trampoline_kernelINS0_14default_configENS1_32segmented_reduce_config_selectorIN3c108BFloat16EEEZNS1_21segmented_reduce_implIS3_PKS6_PS6_PKiS6_N6hipcub16HIPCUB_304000_NS6detail27convert_result_type_wrapperISA_SB_N2at6native12_GLOBAL__N_19CustomMaxEEEEE10hipError_tPvRmT0_T1_jT2_SS_T4_T3_P12ihipStream_tbEUlT_E_NS1_11comp_targetILNS1_3genE0ELNS1_11target_archE4294967295ELNS1_3gpuE0ELNS1_3repE0EEENS1_30default_config_static_selectorELNS0_4arch9wavefront6targetE1EEEvSR_.uses_vcc, 0
	.set _ZN7rocprim17ROCPRIM_400000_NS6detail17trampoline_kernelINS0_14default_configENS1_32segmented_reduce_config_selectorIN3c108BFloat16EEEZNS1_21segmented_reduce_implIS3_PKS6_PS6_PKiS6_N6hipcub16HIPCUB_304000_NS6detail27convert_result_type_wrapperISA_SB_N2at6native12_GLOBAL__N_19CustomMaxEEEEE10hipError_tPvRmT0_T1_jT2_SS_T4_T3_P12ihipStream_tbEUlT_E_NS1_11comp_targetILNS1_3genE0ELNS1_11target_archE4294967295ELNS1_3gpuE0ELNS1_3repE0EEENS1_30default_config_static_selectorELNS0_4arch9wavefront6targetE1EEEvSR_.uses_flat_scratch, 0
	.set _ZN7rocprim17ROCPRIM_400000_NS6detail17trampoline_kernelINS0_14default_configENS1_32segmented_reduce_config_selectorIN3c108BFloat16EEEZNS1_21segmented_reduce_implIS3_PKS6_PS6_PKiS6_N6hipcub16HIPCUB_304000_NS6detail27convert_result_type_wrapperISA_SB_N2at6native12_GLOBAL__N_19CustomMaxEEEEE10hipError_tPvRmT0_T1_jT2_SS_T4_T3_P12ihipStream_tbEUlT_E_NS1_11comp_targetILNS1_3genE0ELNS1_11target_archE4294967295ELNS1_3gpuE0ELNS1_3repE0EEENS1_30default_config_static_selectorELNS0_4arch9wavefront6targetE1EEEvSR_.has_dyn_sized_stack, 0
	.set _ZN7rocprim17ROCPRIM_400000_NS6detail17trampoline_kernelINS0_14default_configENS1_32segmented_reduce_config_selectorIN3c108BFloat16EEEZNS1_21segmented_reduce_implIS3_PKS6_PS6_PKiS6_N6hipcub16HIPCUB_304000_NS6detail27convert_result_type_wrapperISA_SB_N2at6native12_GLOBAL__N_19CustomMaxEEEEE10hipError_tPvRmT0_T1_jT2_SS_T4_T3_P12ihipStream_tbEUlT_E_NS1_11comp_targetILNS1_3genE0ELNS1_11target_archE4294967295ELNS1_3gpuE0ELNS1_3repE0EEENS1_30default_config_static_selectorELNS0_4arch9wavefront6targetE1EEEvSR_.has_recursion, 0
	.set _ZN7rocprim17ROCPRIM_400000_NS6detail17trampoline_kernelINS0_14default_configENS1_32segmented_reduce_config_selectorIN3c108BFloat16EEEZNS1_21segmented_reduce_implIS3_PKS6_PS6_PKiS6_N6hipcub16HIPCUB_304000_NS6detail27convert_result_type_wrapperISA_SB_N2at6native12_GLOBAL__N_19CustomMaxEEEEE10hipError_tPvRmT0_T1_jT2_SS_T4_T3_P12ihipStream_tbEUlT_E_NS1_11comp_targetILNS1_3genE0ELNS1_11target_archE4294967295ELNS1_3gpuE0ELNS1_3repE0EEENS1_30default_config_static_selectorELNS0_4arch9wavefront6targetE1EEEvSR_.has_indirect_call, 0
	.section	.AMDGPU.csdata,"",@progbits
; Kernel info:
; codeLenInByte = 0
; TotalNumSgprs: 4
; NumVgprs: 0
; ScratchSize: 0
; MemoryBound: 0
; FloatMode: 240
; IeeeMode: 1
; LDSByteSize: 0 bytes/workgroup (compile time only)
; SGPRBlocks: 0
; VGPRBlocks: 0
; NumSGPRsForWavesPerEU: 4
; NumVGPRsForWavesPerEU: 1
; Occupancy: 10
; WaveLimiterHint : 0
; COMPUTE_PGM_RSRC2:SCRATCH_EN: 0
; COMPUTE_PGM_RSRC2:USER_SGPR: 6
; COMPUTE_PGM_RSRC2:TRAP_HANDLER: 0
; COMPUTE_PGM_RSRC2:TGID_X_EN: 1
; COMPUTE_PGM_RSRC2:TGID_Y_EN: 0
; COMPUTE_PGM_RSRC2:TGID_Z_EN: 0
; COMPUTE_PGM_RSRC2:TIDIG_COMP_CNT: 0
	.section	.text._ZN7rocprim17ROCPRIM_400000_NS6detail17trampoline_kernelINS0_14default_configENS1_32segmented_reduce_config_selectorIN3c108BFloat16EEEZNS1_21segmented_reduce_implIS3_PKS6_PS6_PKiS6_N6hipcub16HIPCUB_304000_NS6detail27convert_result_type_wrapperISA_SB_N2at6native12_GLOBAL__N_19CustomMaxEEEEE10hipError_tPvRmT0_T1_jT2_SS_T4_T3_P12ihipStream_tbEUlT_E_NS1_11comp_targetILNS1_3genE5ELNS1_11target_archE942ELNS1_3gpuE9ELNS1_3repE0EEENS1_30default_config_static_selectorELNS0_4arch9wavefront6targetE1EEEvSR_,"axG",@progbits,_ZN7rocprim17ROCPRIM_400000_NS6detail17trampoline_kernelINS0_14default_configENS1_32segmented_reduce_config_selectorIN3c108BFloat16EEEZNS1_21segmented_reduce_implIS3_PKS6_PS6_PKiS6_N6hipcub16HIPCUB_304000_NS6detail27convert_result_type_wrapperISA_SB_N2at6native12_GLOBAL__N_19CustomMaxEEEEE10hipError_tPvRmT0_T1_jT2_SS_T4_T3_P12ihipStream_tbEUlT_E_NS1_11comp_targetILNS1_3genE5ELNS1_11target_archE942ELNS1_3gpuE9ELNS1_3repE0EEENS1_30default_config_static_selectorELNS0_4arch9wavefront6targetE1EEEvSR_,comdat
	.globl	_ZN7rocprim17ROCPRIM_400000_NS6detail17trampoline_kernelINS0_14default_configENS1_32segmented_reduce_config_selectorIN3c108BFloat16EEEZNS1_21segmented_reduce_implIS3_PKS6_PS6_PKiS6_N6hipcub16HIPCUB_304000_NS6detail27convert_result_type_wrapperISA_SB_N2at6native12_GLOBAL__N_19CustomMaxEEEEE10hipError_tPvRmT0_T1_jT2_SS_T4_T3_P12ihipStream_tbEUlT_E_NS1_11comp_targetILNS1_3genE5ELNS1_11target_archE942ELNS1_3gpuE9ELNS1_3repE0EEENS1_30default_config_static_selectorELNS0_4arch9wavefront6targetE1EEEvSR_ ; -- Begin function _ZN7rocprim17ROCPRIM_400000_NS6detail17trampoline_kernelINS0_14default_configENS1_32segmented_reduce_config_selectorIN3c108BFloat16EEEZNS1_21segmented_reduce_implIS3_PKS6_PS6_PKiS6_N6hipcub16HIPCUB_304000_NS6detail27convert_result_type_wrapperISA_SB_N2at6native12_GLOBAL__N_19CustomMaxEEEEE10hipError_tPvRmT0_T1_jT2_SS_T4_T3_P12ihipStream_tbEUlT_E_NS1_11comp_targetILNS1_3genE5ELNS1_11target_archE942ELNS1_3gpuE9ELNS1_3repE0EEENS1_30default_config_static_selectorELNS0_4arch9wavefront6targetE1EEEvSR_
	.p2align	8
	.type	_ZN7rocprim17ROCPRIM_400000_NS6detail17trampoline_kernelINS0_14default_configENS1_32segmented_reduce_config_selectorIN3c108BFloat16EEEZNS1_21segmented_reduce_implIS3_PKS6_PS6_PKiS6_N6hipcub16HIPCUB_304000_NS6detail27convert_result_type_wrapperISA_SB_N2at6native12_GLOBAL__N_19CustomMaxEEEEE10hipError_tPvRmT0_T1_jT2_SS_T4_T3_P12ihipStream_tbEUlT_E_NS1_11comp_targetILNS1_3genE5ELNS1_11target_archE942ELNS1_3gpuE9ELNS1_3repE0EEENS1_30default_config_static_selectorELNS0_4arch9wavefront6targetE1EEEvSR_,@function
_ZN7rocprim17ROCPRIM_400000_NS6detail17trampoline_kernelINS0_14default_configENS1_32segmented_reduce_config_selectorIN3c108BFloat16EEEZNS1_21segmented_reduce_implIS3_PKS6_PS6_PKiS6_N6hipcub16HIPCUB_304000_NS6detail27convert_result_type_wrapperISA_SB_N2at6native12_GLOBAL__N_19CustomMaxEEEEE10hipError_tPvRmT0_T1_jT2_SS_T4_T3_P12ihipStream_tbEUlT_E_NS1_11comp_targetILNS1_3genE5ELNS1_11target_archE942ELNS1_3gpuE9ELNS1_3repE0EEENS1_30default_config_static_selectorELNS0_4arch9wavefront6targetE1EEEvSR_: ; @_ZN7rocprim17ROCPRIM_400000_NS6detail17trampoline_kernelINS0_14default_configENS1_32segmented_reduce_config_selectorIN3c108BFloat16EEEZNS1_21segmented_reduce_implIS3_PKS6_PS6_PKiS6_N6hipcub16HIPCUB_304000_NS6detail27convert_result_type_wrapperISA_SB_N2at6native12_GLOBAL__N_19CustomMaxEEEEE10hipError_tPvRmT0_T1_jT2_SS_T4_T3_P12ihipStream_tbEUlT_E_NS1_11comp_targetILNS1_3genE5ELNS1_11target_archE942ELNS1_3gpuE9ELNS1_3repE0EEENS1_30default_config_static_selectorELNS0_4arch9wavefront6targetE1EEEvSR_
; %bb.0:
	.section	.rodata,"a",@progbits
	.p2align	6, 0x0
	.amdhsa_kernel _ZN7rocprim17ROCPRIM_400000_NS6detail17trampoline_kernelINS0_14default_configENS1_32segmented_reduce_config_selectorIN3c108BFloat16EEEZNS1_21segmented_reduce_implIS3_PKS6_PS6_PKiS6_N6hipcub16HIPCUB_304000_NS6detail27convert_result_type_wrapperISA_SB_N2at6native12_GLOBAL__N_19CustomMaxEEEEE10hipError_tPvRmT0_T1_jT2_SS_T4_T3_P12ihipStream_tbEUlT_E_NS1_11comp_targetILNS1_3genE5ELNS1_11target_archE942ELNS1_3gpuE9ELNS1_3repE0EEENS1_30default_config_static_selectorELNS0_4arch9wavefront6targetE1EEEvSR_
		.amdhsa_group_segment_fixed_size 0
		.amdhsa_private_segment_fixed_size 0
		.amdhsa_kernarg_size 48
		.amdhsa_user_sgpr_count 6
		.amdhsa_user_sgpr_private_segment_buffer 1
		.amdhsa_user_sgpr_dispatch_ptr 0
		.amdhsa_user_sgpr_queue_ptr 0
		.amdhsa_user_sgpr_kernarg_segment_ptr 1
		.amdhsa_user_sgpr_dispatch_id 0
		.amdhsa_user_sgpr_flat_scratch_init 0
		.amdhsa_user_sgpr_private_segment_size 0
		.amdhsa_uses_dynamic_stack 0
		.amdhsa_system_sgpr_private_segment_wavefront_offset 0
		.amdhsa_system_sgpr_workgroup_id_x 1
		.amdhsa_system_sgpr_workgroup_id_y 0
		.amdhsa_system_sgpr_workgroup_id_z 0
		.amdhsa_system_sgpr_workgroup_info 0
		.amdhsa_system_vgpr_workitem_id 0
		.amdhsa_next_free_vgpr 1
		.amdhsa_next_free_sgpr 0
		.amdhsa_reserve_vcc 0
		.amdhsa_reserve_flat_scratch 0
		.amdhsa_float_round_mode_32 0
		.amdhsa_float_round_mode_16_64 0
		.amdhsa_float_denorm_mode_32 3
		.amdhsa_float_denorm_mode_16_64 3
		.amdhsa_dx10_clamp 1
		.amdhsa_ieee_mode 1
		.amdhsa_fp16_overflow 0
		.amdhsa_exception_fp_ieee_invalid_op 0
		.amdhsa_exception_fp_denorm_src 0
		.amdhsa_exception_fp_ieee_div_zero 0
		.amdhsa_exception_fp_ieee_overflow 0
		.amdhsa_exception_fp_ieee_underflow 0
		.amdhsa_exception_fp_ieee_inexact 0
		.amdhsa_exception_int_div_zero 0
	.end_amdhsa_kernel
	.section	.text._ZN7rocprim17ROCPRIM_400000_NS6detail17trampoline_kernelINS0_14default_configENS1_32segmented_reduce_config_selectorIN3c108BFloat16EEEZNS1_21segmented_reduce_implIS3_PKS6_PS6_PKiS6_N6hipcub16HIPCUB_304000_NS6detail27convert_result_type_wrapperISA_SB_N2at6native12_GLOBAL__N_19CustomMaxEEEEE10hipError_tPvRmT0_T1_jT2_SS_T4_T3_P12ihipStream_tbEUlT_E_NS1_11comp_targetILNS1_3genE5ELNS1_11target_archE942ELNS1_3gpuE9ELNS1_3repE0EEENS1_30default_config_static_selectorELNS0_4arch9wavefront6targetE1EEEvSR_,"axG",@progbits,_ZN7rocprim17ROCPRIM_400000_NS6detail17trampoline_kernelINS0_14default_configENS1_32segmented_reduce_config_selectorIN3c108BFloat16EEEZNS1_21segmented_reduce_implIS3_PKS6_PS6_PKiS6_N6hipcub16HIPCUB_304000_NS6detail27convert_result_type_wrapperISA_SB_N2at6native12_GLOBAL__N_19CustomMaxEEEEE10hipError_tPvRmT0_T1_jT2_SS_T4_T3_P12ihipStream_tbEUlT_E_NS1_11comp_targetILNS1_3genE5ELNS1_11target_archE942ELNS1_3gpuE9ELNS1_3repE0EEENS1_30default_config_static_selectorELNS0_4arch9wavefront6targetE1EEEvSR_,comdat
.Lfunc_end112:
	.size	_ZN7rocprim17ROCPRIM_400000_NS6detail17trampoline_kernelINS0_14default_configENS1_32segmented_reduce_config_selectorIN3c108BFloat16EEEZNS1_21segmented_reduce_implIS3_PKS6_PS6_PKiS6_N6hipcub16HIPCUB_304000_NS6detail27convert_result_type_wrapperISA_SB_N2at6native12_GLOBAL__N_19CustomMaxEEEEE10hipError_tPvRmT0_T1_jT2_SS_T4_T3_P12ihipStream_tbEUlT_E_NS1_11comp_targetILNS1_3genE5ELNS1_11target_archE942ELNS1_3gpuE9ELNS1_3repE0EEENS1_30default_config_static_selectorELNS0_4arch9wavefront6targetE1EEEvSR_, .Lfunc_end112-_ZN7rocprim17ROCPRIM_400000_NS6detail17trampoline_kernelINS0_14default_configENS1_32segmented_reduce_config_selectorIN3c108BFloat16EEEZNS1_21segmented_reduce_implIS3_PKS6_PS6_PKiS6_N6hipcub16HIPCUB_304000_NS6detail27convert_result_type_wrapperISA_SB_N2at6native12_GLOBAL__N_19CustomMaxEEEEE10hipError_tPvRmT0_T1_jT2_SS_T4_T3_P12ihipStream_tbEUlT_E_NS1_11comp_targetILNS1_3genE5ELNS1_11target_archE942ELNS1_3gpuE9ELNS1_3repE0EEENS1_30default_config_static_selectorELNS0_4arch9wavefront6targetE1EEEvSR_
                                        ; -- End function
	.set _ZN7rocprim17ROCPRIM_400000_NS6detail17trampoline_kernelINS0_14default_configENS1_32segmented_reduce_config_selectorIN3c108BFloat16EEEZNS1_21segmented_reduce_implIS3_PKS6_PS6_PKiS6_N6hipcub16HIPCUB_304000_NS6detail27convert_result_type_wrapperISA_SB_N2at6native12_GLOBAL__N_19CustomMaxEEEEE10hipError_tPvRmT0_T1_jT2_SS_T4_T3_P12ihipStream_tbEUlT_E_NS1_11comp_targetILNS1_3genE5ELNS1_11target_archE942ELNS1_3gpuE9ELNS1_3repE0EEENS1_30default_config_static_selectorELNS0_4arch9wavefront6targetE1EEEvSR_.num_vgpr, 0
	.set _ZN7rocprim17ROCPRIM_400000_NS6detail17trampoline_kernelINS0_14default_configENS1_32segmented_reduce_config_selectorIN3c108BFloat16EEEZNS1_21segmented_reduce_implIS3_PKS6_PS6_PKiS6_N6hipcub16HIPCUB_304000_NS6detail27convert_result_type_wrapperISA_SB_N2at6native12_GLOBAL__N_19CustomMaxEEEEE10hipError_tPvRmT0_T1_jT2_SS_T4_T3_P12ihipStream_tbEUlT_E_NS1_11comp_targetILNS1_3genE5ELNS1_11target_archE942ELNS1_3gpuE9ELNS1_3repE0EEENS1_30default_config_static_selectorELNS0_4arch9wavefront6targetE1EEEvSR_.num_agpr, 0
	.set _ZN7rocprim17ROCPRIM_400000_NS6detail17trampoline_kernelINS0_14default_configENS1_32segmented_reduce_config_selectorIN3c108BFloat16EEEZNS1_21segmented_reduce_implIS3_PKS6_PS6_PKiS6_N6hipcub16HIPCUB_304000_NS6detail27convert_result_type_wrapperISA_SB_N2at6native12_GLOBAL__N_19CustomMaxEEEEE10hipError_tPvRmT0_T1_jT2_SS_T4_T3_P12ihipStream_tbEUlT_E_NS1_11comp_targetILNS1_3genE5ELNS1_11target_archE942ELNS1_3gpuE9ELNS1_3repE0EEENS1_30default_config_static_selectorELNS0_4arch9wavefront6targetE1EEEvSR_.numbered_sgpr, 0
	.set _ZN7rocprim17ROCPRIM_400000_NS6detail17trampoline_kernelINS0_14default_configENS1_32segmented_reduce_config_selectorIN3c108BFloat16EEEZNS1_21segmented_reduce_implIS3_PKS6_PS6_PKiS6_N6hipcub16HIPCUB_304000_NS6detail27convert_result_type_wrapperISA_SB_N2at6native12_GLOBAL__N_19CustomMaxEEEEE10hipError_tPvRmT0_T1_jT2_SS_T4_T3_P12ihipStream_tbEUlT_E_NS1_11comp_targetILNS1_3genE5ELNS1_11target_archE942ELNS1_3gpuE9ELNS1_3repE0EEENS1_30default_config_static_selectorELNS0_4arch9wavefront6targetE1EEEvSR_.num_named_barrier, 0
	.set _ZN7rocprim17ROCPRIM_400000_NS6detail17trampoline_kernelINS0_14default_configENS1_32segmented_reduce_config_selectorIN3c108BFloat16EEEZNS1_21segmented_reduce_implIS3_PKS6_PS6_PKiS6_N6hipcub16HIPCUB_304000_NS6detail27convert_result_type_wrapperISA_SB_N2at6native12_GLOBAL__N_19CustomMaxEEEEE10hipError_tPvRmT0_T1_jT2_SS_T4_T3_P12ihipStream_tbEUlT_E_NS1_11comp_targetILNS1_3genE5ELNS1_11target_archE942ELNS1_3gpuE9ELNS1_3repE0EEENS1_30default_config_static_selectorELNS0_4arch9wavefront6targetE1EEEvSR_.private_seg_size, 0
	.set _ZN7rocprim17ROCPRIM_400000_NS6detail17trampoline_kernelINS0_14default_configENS1_32segmented_reduce_config_selectorIN3c108BFloat16EEEZNS1_21segmented_reduce_implIS3_PKS6_PS6_PKiS6_N6hipcub16HIPCUB_304000_NS6detail27convert_result_type_wrapperISA_SB_N2at6native12_GLOBAL__N_19CustomMaxEEEEE10hipError_tPvRmT0_T1_jT2_SS_T4_T3_P12ihipStream_tbEUlT_E_NS1_11comp_targetILNS1_3genE5ELNS1_11target_archE942ELNS1_3gpuE9ELNS1_3repE0EEENS1_30default_config_static_selectorELNS0_4arch9wavefront6targetE1EEEvSR_.uses_vcc, 0
	.set _ZN7rocprim17ROCPRIM_400000_NS6detail17trampoline_kernelINS0_14default_configENS1_32segmented_reduce_config_selectorIN3c108BFloat16EEEZNS1_21segmented_reduce_implIS3_PKS6_PS6_PKiS6_N6hipcub16HIPCUB_304000_NS6detail27convert_result_type_wrapperISA_SB_N2at6native12_GLOBAL__N_19CustomMaxEEEEE10hipError_tPvRmT0_T1_jT2_SS_T4_T3_P12ihipStream_tbEUlT_E_NS1_11comp_targetILNS1_3genE5ELNS1_11target_archE942ELNS1_3gpuE9ELNS1_3repE0EEENS1_30default_config_static_selectorELNS0_4arch9wavefront6targetE1EEEvSR_.uses_flat_scratch, 0
	.set _ZN7rocprim17ROCPRIM_400000_NS6detail17trampoline_kernelINS0_14default_configENS1_32segmented_reduce_config_selectorIN3c108BFloat16EEEZNS1_21segmented_reduce_implIS3_PKS6_PS6_PKiS6_N6hipcub16HIPCUB_304000_NS6detail27convert_result_type_wrapperISA_SB_N2at6native12_GLOBAL__N_19CustomMaxEEEEE10hipError_tPvRmT0_T1_jT2_SS_T4_T3_P12ihipStream_tbEUlT_E_NS1_11comp_targetILNS1_3genE5ELNS1_11target_archE942ELNS1_3gpuE9ELNS1_3repE0EEENS1_30default_config_static_selectorELNS0_4arch9wavefront6targetE1EEEvSR_.has_dyn_sized_stack, 0
	.set _ZN7rocprim17ROCPRIM_400000_NS6detail17trampoline_kernelINS0_14default_configENS1_32segmented_reduce_config_selectorIN3c108BFloat16EEEZNS1_21segmented_reduce_implIS3_PKS6_PS6_PKiS6_N6hipcub16HIPCUB_304000_NS6detail27convert_result_type_wrapperISA_SB_N2at6native12_GLOBAL__N_19CustomMaxEEEEE10hipError_tPvRmT0_T1_jT2_SS_T4_T3_P12ihipStream_tbEUlT_E_NS1_11comp_targetILNS1_3genE5ELNS1_11target_archE942ELNS1_3gpuE9ELNS1_3repE0EEENS1_30default_config_static_selectorELNS0_4arch9wavefront6targetE1EEEvSR_.has_recursion, 0
	.set _ZN7rocprim17ROCPRIM_400000_NS6detail17trampoline_kernelINS0_14default_configENS1_32segmented_reduce_config_selectorIN3c108BFloat16EEEZNS1_21segmented_reduce_implIS3_PKS6_PS6_PKiS6_N6hipcub16HIPCUB_304000_NS6detail27convert_result_type_wrapperISA_SB_N2at6native12_GLOBAL__N_19CustomMaxEEEEE10hipError_tPvRmT0_T1_jT2_SS_T4_T3_P12ihipStream_tbEUlT_E_NS1_11comp_targetILNS1_3genE5ELNS1_11target_archE942ELNS1_3gpuE9ELNS1_3repE0EEENS1_30default_config_static_selectorELNS0_4arch9wavefront6targetE1EEEvSR_.has_indirect_call, 0
	.section	.AMDGPU.csdata,"",@progbits
; Kernel info:
; codeLenInByte = 0
; TotalNumSgprs: 4
; NumVgprs: 0
; ScratchSize: 0
; MemoryBound: 0
; FloatMode: 240
; IeeeMode: 1
; LDSByteSize: 0 bytes/workgroup (compile time only)
; SGPRBlocks: 0
; VGPRBlocks: 0
; NumSGPRsForWavesPerEU: 4
; NumVGPRsForWavesPerEU: 1
; Occupancy: 10
; WaveLimiterHint : 0
; COMPUTE_PGM_RSRC2:SCRATCH_EN: 0
; COMPUTE_PGM_RSRC2:USER_SGPR: 6
; COMPUTE_PGM_RSRC2:TRAP_HANDLER: 0
; COMPUTE_PGM_RSRC2:TGID_X_EN: 1
; COMPUTE_PGM_RSRC2:TGID_Y_EN: 0
; COMPUTE_PGM_RSRC2:TGID_Z_EN: 0
; COMPUTE_PGM_RSRC2:TIDIG_COMP_CNT: 0
	.section	.text._ZN7rocprim17ROCPRIM_400000_NS6detail17trampoline_kernelINS0_14default_configENS1_32segmented_reduce_config_selectorIN3c108BFloat16EEEZNS1_21segmented_reduce_implIS3_PKS6_PS6_PKiS6_N6hipcub16HIPCUB_304000_NS6detail27convert_result_type_wrapperISA_SB_N2at6native12_GLOBAL__N_19CustomMaxEEEEE10hipError_tPvRmT0_T1_jT2_SS_T4_T3_P12ihipStream_tbEUlT_E_NS1_11comp_targetILNS1_3genE10ELNS1_11target_archE1201ELNS1_3gpuE5ELNS1_3repE0EEENS1_30default_config_static_selectorELNS0_4arch9wavefront6targetE1EEEvSR_,"axG",@progbits,_ZN7rocprim17ROCPRIM_400000_NS6detail17trampoline_kernelINS0_14default_configENS1_32segmented_reduce_config_selectorIN3c108BFloat16EEEZNS1_21segmented_reduce_implIS3_PKS6_PS6_PKiS6_N6hipcub16HIPCUB_304000_NS6detail27convert_result_type_wrapperISA_SB_N2at6native12_GLOBAL__N_19CustomMaxEEEEE10hipError_tPvRmT0_T1_jT2_SS_T4_T3_P12ihipStream_tbEUlT_E_NS1_11comp_targetILNS1_3genE10ELNS1_11target_archE1201ELNS1_3gpuE5ELNS1_3repE0EEENS1_30default_config_static_selectorELNS0_4arch9wavefront6targetE1EEEvSR_,comdat
	.globl	_ZN7rocprim17ROCPRIM_400000_NS6detail17trampoline_kernelINS0_14default_configENS1_32segmented_reduce_config_selectorIN3c108BFloat16EEEZNS1_21segmented_reduce_implIS3_PKS6_PS6_PKiS6_N6hipcub16HIPCUB_304000_NS6detail27convert_result_type_wrapperISA_SB_N2at6native12_GLOBAL__N_19CustomMaxEEEEE10hipError_tPvRmT0_T1_jT2_SS_T4_T3_P12ihipStream_tbEUlT_E_NS1_11comp_targetILNS1_3genE10ELNS1_11target_archE1201ELNS1_3gpuE5ELNS1_3repE0EEENS1_30default_config_static_selectorELNS0_4arch9wavefront6targetE1EEEvSR_ ; -- Begin function _ZN7rocprim17ROCPRIM_400000_NS6detail17trampoline_kernelINS0_14default_configENS1_32segmented_reduce_config_selectorIN3c108BFloat16EEEZNS1_21segmented_reduce_implIS3_PKS6_PS6_PKiS6_N6hipcub16HIPCUB_304000_NS6detail27convert_result_type_wrapperISA_SB_N2at6native12_GLOBAL__N_19CustomMaxEEEEE10hipError_tPvRmT0_T1_jT2_SS_T4_T3_P12ihipStream_tbEUlT_E_NS1_11comp_targetILNS1_3genE10ELNS1_11target_archE1201ELNS1_3gpuE5ELNS1_3repE0EEENS1_30default_config_static_selectorELNS0_4arch9wavefront6targetE1EEEvSR_
	.p2align	8
	.type	_ZN7rocprim17ROCPRIM_400000_NS6detail17trampoline_kernelINS0_14default_configENS1_32segmented_reduce_config_selectorIN3c108BFloat16EEEZNS1_21segmented_reduce_implIS3_PKS6_PS6_PKiS6_N6hipcub16HIPCUB_304000_NS6detail27convert_result_type_wrapperISA_SB_N2at6native12_GLOBAL__N_19CustomMaxEEEEE10hipError_tPvRmT0_T1_jT2_SS_T4_T3_P12ihipStream_tbEUlT_E_NS1_11comp_targetILNS1_3genE10ELNS1_11target_archE1201ELNS1_3gpuE5ELNS1_3repE0EEENS1_30default_config_static_selectorELNS0_4arch9wavefront6targetE1EEEvSR_,@function
_ZN7rocprim17ROCPRIM_400000_NS6detail17trampoline_kernelINS0_14default_configENS1_32segmented_reduce_config_selectorIN3c108BFloat16EEEZNS1_21segmented_reduce_implIS3_PKS6_PS6_PKiS6_N6hipcub16HIPCUB_304000_NS6detail27convert_result_type_wrapperISA_SB_N2at6native12_GLOBAL__N_19CustomMaxEEEEE10hipError_tPvRmT0_T1_jT2_SS_T4_T3_P12ihipStream_tbEUlT_E_NS1_11comp_targetILNS1_3genE10ELNS1_11target_archE1201ELNS1_3gpuE5ELNS1_3repE0EEENS1_30default_config_static_selectorELNS0_4arch9wavefront6targetE1EEEvSR_: ; @_ZN7rocprim17ROCPRIM_400000_NS6detail17trampoline_kernelINS0_14default_configENS1_32segmented_reduce_config_selectorIN3c108BFloat16EEEZNS1_21segmented_reduce_implIS3_PKS6_PS6_PKiS6_N6hipcub16HIPCUB_304000_NS6detail27convert_result_type_wrapperISA_SB_N2at6native12_GLOBAL__N_19CustomMaxEEEEE10hipError_tPvRmT0_T1_jT2_SS_T4_T3_P12ihipStream_tbEUlT_E_NS1_11comp_targetILNS1_3genE10ELNS1_11target_archE1201ELNS1_3gpuE5ELNS1_3repE0EEENS1_30default_config_static_selectorELNS0_4arch9wavefront6targetE1EEEvSR_
; %bb.0:
	.section	.rodata,"a",@progbits
	.p2align	6, 0x0
	.amdhsa_kernel _ZN7rocprim17ROCPRIM_400000_NS6detail17trampoline_kernelINS0_14default_configENS1_32segmented_reduce_config_selectorIN3c108BFloat16EEEZNS1_21segmented_reduce_implIS3_PKS6_PS6_PKiS6_N6hipcub16HIPCUB_304000_NS6detail27convert_result_type_wrapperISA_SB_N2at6native12_GLOBAL__N_19CustomMaxEEEEE10hipError_tPvRmT0_T1_jT2_SS_T4_T3_P12ihipStream_tbEUlT_E_NS1_11comp_targetILNS1_3genE10ELNS1_11target_archE1201ELNS1_3gpuE5ELNS1_3repE0EEENS1_30default_config_static_selectorELNS0_4arch9wavefront6targetE1EEEvSR_
		.amdhsa_group_segment_fixed_size 0
		.amdhsa_private_segment_fixed_size 0
		.amdhsa_kernarg_size 48
		.amdhsa_user_sgpr_count 6
		.amdhsa_user_sgpr_private_segment_buffer 1
		.amdhsa_user_sgpr_dispatch_ptr 0
		.amdhsa_user_sgpr_queue_ptr 0
		.amdhsa_user_sgpr_kernarg_segment_ptr 1
		.amdhsa_user_sgpr_dispatch_id 0
		.amdhsa_user_sgpr_flat_scratch_init 0
		.amdhsa_user_sgpr_private_segment_size 0
		.amdhsa_uses_dynamic_stack 0
		.amdhsa_system_sgpr_private_segment_wavefront_offset 0
		.amdhsa_system_sgpr_workgroup_id_x 1
		.amdhsa_system_sgpr_workgroup_id_y 0
		.amdhsa_system_sgpr_workgroup_id_z 0
		.amdhsa_system_sgpr_workgroup_info 0
		.amdhsa_system_vgpr_workitem_id 0
		.amdhsa_next_free_vgpr 1
		.amdhsa_next_free_sgpr 0
		.amdhsa_reserve_vcc 0
		.amdhsa_reserve_flat_scratch 0
		.amdhsa_float_round_mode_32 0
		.amdhsa_float_round_mode_16_64 0
		.amdhsa_float_denorm_mode_32 3
		.amdhsa_float_denorm_mode_16_64 3
		.amdhsa_dx10_clamp 1
		.amdhsa_ieee_mode 1
		.amdhsa_fp16_overflow 0
		.amdhsa_exception_fp_ieee_invalid_op 0
		.amdhsa_exception_fp_denorm_src 0
		.amdhsa_exception_fp_ieee_div_zero 0
		.amdhsa_exception_fp_ieee_overflow 0
		.amdhsa_exception_fp_ieee_underflow 0
		.amdhsa_exception_fp_ieee_inexact 0
		.amdhsa_exception_int_div_zero 0
	.end_amdhsa_kernel
	.section	.text._ZN7rocprim17ROCPRIM_400000_NS6detail17trampoline_kernelINS0_14default_configENS1_32segmented_reduce_config_selectorIN3c108BFloat16EEEZNS1_21segmented_reduce_implIS3_PKS6_PS6_PKiS6_N6hipcub16HIPCUB_304000_NS6detail27convert_result_type_wrapperISA_SB_N2at6native12_GLOBAL__N_19CustomMaxEEEEE10hipError_tPvRmT0_T1_jT2_SS_T4_T3_P12ihipStream_tbEUlT_E_NS1_11comp_targetILNS1_3genE10ELNS1_11target_archE1201ELNS1_3gpuE5ELNS1_3repE0EEENS1_30default_config_static_selectorELNS0_4arch9wavefront6targetE1EEEvSR_,"axG",@progbits,_ZN7rocprim17ROCPRIM_400000_NS6detail17trampoline_kernelINS0_14default_configENS1_32segmented_reduce_config_selectorIN3c108BFloat16EEEZNS1_21segmented_reduce_implIS3_PKS6_PS6_PKiS6_N6hipcub16HIPCUB_304000_NS6detail27convert_result_type_wrapperISA_SB_N2at6native12_GLOBAL__N_19CustomMaxEEEEE10hipError_tPvRmT0_T1_jT2_SS_T4_T3_P12ihipStream_tbEUlT_E_NS1_11comp_targetILNS1_3genE10ELNS1_11target_archE1201ELNS1_3gpuE5ELNS1_3repE0EEENS1_30default_config_static_selectorELNS0_4arch9wavefront6targetE1EEEvSR_,comdat
.Lfunc_end113:
	.size	_ZN7rocprim17ROCPRIM_400000_NS6detail17trampoline_kernelINS0_14default_configENS1_32segmented_reduce_config_selectorIN3c108BFloat16EEEZNS1_21segmented_reduce_implIS3_PKS6_PS6_PKiS6_N6hipcub16HIPCUB_304000_NS6detail27convert_result_type_wrapperISA_SB_N2at6native12_GLOBAL__N_19CustomMaxEEEEE10hipError_tPvRmT0_T1_jT2_SS_T4_T3_P12ihipStream_tbEUlT_E_NS1_11comp_targetILNS1_3genE10ELNS1_11target_archE1201ELNS1_3gpuE5ELNS1_3repE0EEENS1_30default_config_static_selectorELNS0_4arch9wavefront6targetE1EEEvSR_, .Lfunc_end113-_ZN7rocprim17ROCPRIM_400000_NS6detail17trampoline_kernelINS0_14default_configENS1_32segmented_reduce_config_selectorIN3c108BFloat16EEEZNS1_21segmented_reduce_implIS3_PKS6_PS6_PKiS6_N6hipcub16HIPCUB_304000_NS6detail27convert_result_type_wrapperISA_SB_N2at6native12_GLOBAL__N_19CustomMaxEEEEE10hipError_tPvRmT0_T1_jT2_SS_T4_T3_P12ihipStream_tbEUlT_E_NS1_11comp_targetILNS1_3genE10ELNS1_11target_archE1201ELNS1_3gpuE5ELNS1_3repE0EEENS1_30default_config_static_selectorELNS0_4arch9wavefront6targetE1EEEvSR_
                                        ; -- End function
	.set _ZN7rocprim17ROCPRIM_400000_NS6detail17trampoline_kernelINS0_14default_configENS1_32segmented_reduce_config_selectorIN3c108BFloat16EEEZNS1_21segmented_reduce_implIS3_PKS6_PS6_PKiS6_N6hipcub16HIPCUB_304000_NS6detail27convert_result_type_wrapperISA_SB_N2at6native12_GLOBAL__N_19CustomMaxEEEEE10hipError_tPvRmT0_T1_jT2_SS_T4_T3_P12ihipStream_tbEUlT_E_NS1_11comp_targetILNS1_3genE10ELNS1_11target_archE1201ELNS1_3gpuE5ELNS1_3repE0EEENS1_30default_config_static_selectorELNS0_4arch9wavefront6targetE1EEEvSR_.num_vgpr, 0
	.set _ZN7rocprim17ROCPRIM_400000_NS6detail17trampoline_kernelINS0_14default_configENS1_32segmented_reduce_config_selectorIN3c108BFloat16EEEZNS1_21segmented_reduce_implIS3_PKS6_PS6_PKiS6_N6hipcub16HIPCUB_304000_NS6detail27convert_result_type_wrapperISA_SB_N2at6native12_GLOBAL__N_19CustomMaxEEEEE10hipError_tPvRmT0_T1_jT2_SS_T4_T3_P12ihipStream_tbEUlT_E_NS1_11comp_targetILNS1_3genE10ELNS1_11target_archE1201ELNS1_3gpuE5ELNS1_3repE0EEENS1_30default_config_static_selectorELNS0_4arch9wavefront6targetE1EEEvSR_.num_agpr, 0
	.set _ZN7rocprim17ROCPRIM_400000_NS6detail17trampoline_kernelINS0_14default_configENS1_32segmented_reduce_config_selectorIN3c108BFloat16EEEZNS1_21segmented_reduce_implIS3_PKS6_PS6_PKiS6_N6hipcub16HIPCUB_304000_NS6detail27convert_result_type_wrapperISA_SB_N2at6native12_GLOBAL__N_19CustomMaxEEEEE10hipError_tPvRmT0_T1_jT2_SS_T4_T3_P12ihipStream_tbEUlT_E_NS1_11comp_targetILNS1_3genE10ELNS1_11target_archE1201ELNS1_3gpuE5ELNS1_3repE0EEENS1_30default_config_static_selectorELNS0_4arch9wavefront6targetE1EEEvSR_.numbered_sgpr, 0
	.set _ZN7rocprim17ROCPRIM_400000_NS6detail17trampoline_kernelINS0_14default_configENS1_32segmented_reduce_config_selectorIN3c108BFloat16EEEZNS1_21segmented_reduce_implIS3_PKS6_PS6_PKiS6_N6hipcub16HIPCUB_304000_NS6detail27convert_result_type_wrapperISA_SB_N2at6native12_GLOBAL__N_19CustomMaxEEEEE10hipError_tPvRmT0_T1_jT2_SS_T4_T3_P12ihipStream_tbEUlT_E_NS1_11comp_targetILNS1_3genE10ELNS1_11target_archE1201ELNS1_3gpuE5ELNS1_3repE0EEENS1_30default_config_static_selectorELNS0_4arch9wavefront6targetE1EEEvSR_.num_named_barrier, 0
	.set _ZN7rocprim17ROCPRIM_400000_NS6detail17trampoline_kernelINS0_14default_configENS1_32segmented_reduce_config_selectorIN3c108BFloat16EEEZNS1_21segmented_reduce_implIS3_PKS6_PS6_PKiS6_N6hipcub16HIPCUB_304000_NS6detail27convert_result_type_wrapperISA_SB_N2at6native12_GLOBAL__N_19CustomMaxEEEEE10hipError_tPvRmT0_T1_jT2_SS_T4_T3_P12ihipStream_tbEUlT_E_NS1_11comp_targetILNS1_3genE10ELNS1_11target_archE1201ELNS1_3gpuE5ELNS1_3repE0EEENS1_30default_config_static_selectorELNS0_4arch9wavefront6targetE1EEEvSR_.private_seg_size, 0
	.set _ZN7rocprim17ROCPRIM_400000_NS6detail17trampoline_kernelINS0_14default_configENS1_32segmented_reduce_config_selectorIN3c108BFloat16EEEZNS1_21segmented_reduce_implIS3_PKS6_PS6_PKiS6_N6hipcub16HIPCUB_304000_NS6detail27convert_result_type_wrapperISA_SB_N2at6native12_GLOBAL__N_19CustomMaxEEEEE10hipError_tPvRmT0_T1_jT2_SS_T4_T3_P12ihipStream_tbEUlT_E_NS1_11comp_targetILNS1_3genE10ELNS1_11target_archE1201ELNS1_3gpuE5ELNS1_3repE0EEENS1_30default_config_static_selectorELNS0_4arch9wavefront6targetE1EEEvSR_.uses_vcc, 0
	.set _ZN7rocprim17ROCPRIM_400000_NS6detail17trampoline_kernelINS0_14default_configENS1_32segmented_reduce_config_selectorIN3c108BFloat16EEEZNS1_21segmented_reduce_implIS3_PKS6_PS6_PKiS6_N6hipcub16HIPCUB_304000_NS6detail27convert_result_type_wrapperISA_SB_N2at6native12_GLOBAL__N_19CustomMaxEEEEE10hipError_tPvRmT0_T1_jT2_SS_T4_T3_P12ihipStream_tbEUlT_E_NS1_11comp_targetILNS1_3genE10ELNS1_11target_archE1201ELNS1_3gpuE5ELNS1_3repE0EEENS1_30default_config_static_selectorELNS0_4arch9wavefront6targetE1EEEvSR_.uses_flat_scratch, 0
	.set _ZN7rocprim17ROCPRIM_400000_NS6detail17trampoline_kernelINS0_14default_configENS1_32segmented_reduce_config_selectorIN3c108BFloat16EEEZNS1_21segmented_reduce_implIS3_PKS6_PS6_PKiS6_N6hipcub16HIPCUB_304000_NS6detail27convert_result_type_wrapperISA_SB_N2at6native12_GLOBAL__N_19CustomMaxEEEEE10hipError_tPvRmT0_T1_jT2_SS_T4_T3_P12ihipStream_tbEUlT_E_NS1_11comp_targetILNS1_3genE10ELNS1_11target_archE1201ELNS1_3gpuE5ELNS1_3repE0EEENS1_30default_config_static_selectorELNS0_4arch9wavefront6targetE1EEEvSR_.has_dyn_sized_stack, 0
	.set _ZN7rocprim17ROCPRIM_400000_NS6detail17trampoline_kernelINS0_14default_configENS1_32segmented_reduce_config_selectorIN3c108BFloat16EEEZNS1_21segmented_reduce_implIS3_PKS6_PS6_PKiS6_N6hipcub16HIPCUB_304000_NS6detail27convert_result_type_wrapperISA_SB_N2at6native12_GLOBAL__N_19CustomMaxEEEEE10hipError_tPvRmT0_T1_jT2_SS_T4_T3_P12ihipStream_tbEUlT_E_NS1_11comp_targetILNS1_3genE10ELNS1_11target_archE1201ELNS1_3gpuE5ELNS1_3repE0EEENS1_30default_config_static_selectorELNS0_4arch9wavefront6targetE1EEEvSR_.has_recursion, 0
	.set _ZN7rocprim17ROCPRIM_400000_NS6detail17trampoline_kernelINS0_14default_configENS1_32segmented_reduce_config_selectorIN3c108BFloat16EEEZNS1_21segmented_reduce_implIS3_PKS6_PS6_PKiS6_N6hipcub16HIPCUB_304000_NS6detail27convert_result_type_wrapperISA_SB_N2at6native12_GLOBAL__N_19CustomMaxEEEEE10hipError_tPvRmT0_T1_jT2_SS_T4_T3_P12ihipStream_tbEUlT_E_NS1_11comp_targetILNS1_3genE10ELNS1_11target_archE1201ELNS1_3gpuE5ELNS1_3repE0EEENS1_30default_config_static_selectorELNS0_4arch9wavefront6targetE1EEEvSR_.has_indirect_call, 0
	.section	.AMDGPU.csdata,"",@progbits
; Kernel info:
; codeLenInByte = 0
; TotalNumSgprs: 4
; NumVgprs: 0
; ScratchSize: 0
; MemoryBound: 0
; FloatMode: 240
; IeeeMode: 1
; LDSByteSize: 0 bytes/workgroup (compile time only)
; SGPRBlocks: 0
; VGPRBlocks: 0
; NumSGPRsForWavesPerEU: 4
; NumVGPRsForWavesPerEU: 1
; Occupancy: 10
; WaveLimiterHint : 0
; COMPUTE_PGM_RSRC2:SCRATCH_EN: 0
; COMPUTE_PGM_RSRC2:USER_SGPR: 6
; COMPUTE_PGM_RSRC2:TRAP_HANDLER: 0
; COMPUTE_PGM_RSRC2:TGID_X_EN: 1
; COMPUTE_PGM_RSRC2:TGID_Y_EN: 0
; COMPUTE_PGM_RSRC2:TGID_Z_EN: 0
; COMPUTE_PGM_RSRC2:TIDIG_COMP_CNT: 0
	.section	.text._ZN7rocprim17ROCPRIM_400000_NS6detail17trampoline_kernelINS0_14default_configENS1_32segmented_reduce_config_selectorIN3c108BFloat16EEEZNS1_21segmented_reduce_implIS3_PKS6_PS6_PKiS6_N6hipcub16HIPCUB_304000_NS6detail27convert_result_type_wrapperISA_SB_N2at6native12_GLOBAL__N_19CustomMaxEEEEE10hipError_tPvRmT0_T1_jT2_SS_T4_T3_P12ihipStream_tbEUlT_E_NS1_11comp_targetILNS1_3genE4ELNS1_11target_archE910ELNS1_3gpuE8ELNS1_3repE0EEENS1_30default_config_static_selectorELNS0_4arch9wavefront6targetE1EEEvSR_,"axG",@progbits,_ZN7rocprim17ROCPRIM_400000_NS6detail17trampoline_kernelINS0_14default_configENS1_32segmented_reduce_config_selectorIN3c108BFloat16EEEZNS1_21segmented_reduce_implIS3_PKS6_PS6_PKiS6_N6hipcub16HIPCUB_304000_NS6detail27convert_result_type_wrapperISA_SB_N2at6native12_GLOBAL__N_19CustomMaxEEEEE10hipError_tPvRmT0_T1_jT2_SS_T4_T3_P12ihipStream_tbEUlT_E_NS1_11comp_targetILNS1_3genE4ELNS1_11target_archE910ELNS1_3gpuE8ELNS1_3repE0EEENS1_30default_config_static_selectorELNS0_4arch9wavefront6targetE1EEEvSR_,comdat
	.globl	_ZN7rocprim17ROCPRIM_400000_NS6detail17trampoline_kernelINS0_14default_configENS1_32segmented_reduce_config_selectorIN3c108BFloat16EEEZNS1_21segmented_reduce_implIS3_PKS6_PS6_PKiS6_N6hipcub16HIPCUB_304000_NS6detail27convert_result_type_wrapperISA_SB_N2at6native12_GLOBAL__N_19CustomMaxEEEEE10hipError_tPvRmT0_T1_jT2_SS_T4_T3_P12ihipStream_tbEUlT_E_NS1_11comp_targetILNS1_3genE4ELNS1_11target_archE910ELNS1_3gpuE8ELNS1_3repE0EEENS1_30default_config_static_selectorELNS0_4arch9wavefront6targetE1EEEvSR_ ; -- Begin function _ZN7rocprim17ROCPRIM_400000_NS6detail17trampoline_kernelINS0_14default_configENS1_32segmented_reduce_config_selectorIN3c108BFloat16EEEZNS1_21segmented_reduce_implIS3_PKS6_PS6_PKiS6_N6hipcub16HIPCUB_304000_NS6detail27convert_result_type_wrapperISA_SB_N2at6native12_GLOBAL__N_19CustomMaxEEEEE10hipError_tPvRmT0_T1_jT2_SS_T4_T3_P12ihipStream_tbEUlT_E_NS1_11comp_targetILNS1_3genE4ELNS1_11target_archE910ELNS1_3gpuE8ELNS1_3repE0EEENS1_30default_config_static_selectorELNS0_4arch9wavefront6targetE1EEEvSR_
	.p2align	8
	.type	_ZN7rocprim17ROCPRIM_400000_NS6detail17trampoline_kernelINS0_14default_configENS1_32segmented_reduce_config_selectorIN3c108BFloat16EEEZNS1_21segmented_reduce_implIS3_PKS6_PS6_PKiS6_N6hipcub16HIPCUB_304000_NS6detail27convert_result_type_wrapperISA_SB_N2at6native12_GLOBAL__N_19CustomMaxEEEEE10hipError_tPvRmT0_T1_jT2_SS_T4_T3_P12ihipStream_tbEUlT_E_NS1_11comp_targetILNS1_3genE4ELNS1_11target_archE910ELNS1_3gpuE8ELNS1_3repE0EEENS1_30default_config_static_selectorELNS0_4arch9wavefront6targetE1EEEvSR_,@function
_ZN7rocprim17ROCPRIM_400000_NS6detail17trampoline_kernelINS0_14default_configENS1_32segmented_reduce_config_selectorIN3c108BFloat16EEEZNS1_21segmented_reduce_implIS3_PKS6_PS6_PKiS6_N6hipcub16HIPCUB_304000_NS6detail27convert_result_type_wrapperISA_SB_N2at6native12_GLOBAL__N_19CustomMaxEEEEE10hipError_tPvRmT0_T1_jT2_SS_T4_T3_P12ihipStream_tbEUlT_E_NS1_11comp_targetILNS1_3genE4ELNS1_11target_archE910ELNS1_3gpuE8ELNS1_3repE0EEENS1_30default_config_static_selectorELNS0_4arch9wavefront6targetE1EEEvSR_: ; @_ZN7rocprim17ROCPRIM_400000_NS6detail17trampoline_kernelINS0_14default_configENS1_32segmented_reduce_config_selectorIN3c108BFloat16EEEZNS1_21segmented_reduce_implIS3_PKS6_PS6_PKiS6_N6hipcub16HIPCUB_304000_NS6detail27convert_result_type_wrapperISA_SB_N2at6native12_GLOBAL__N_19CustomMaxEEEEE10hipError_tPvRmT0_T1_jT2_SS_T4_T3_P12ihipStream_tbEUlT_E_NS1_11comp_targetILNS1_3genE4ELNS1_11target_archE910ELNS1_3gpuE8ELNS1_3repE0EEENS1_30default_config_static_selectorELNS0_4arch9wavefront6targetE1EEEvSR_
; %bb.0:
	.section	.rodata,"a",@progbits
	.p2align	6, 0x0
	.amdhsa_kernel _ZN7rocprim17ROCPRIM_400000_NS6detail17trampoline_kernelINS0_14default_configENS1_32segmented_reduce_config_selectorIN3c108BFloat16EEEZNS1_21segmented_reduce_implIS3_PKS6_PS6_PKiS6_N6hipcub16HIPCUB_304000_NS6detail27convert_result_type_wrapperISA_SB_N2at6native12_GLOBAL__N_19CustomMaxEEEEE10hipError_tPvRmT0_T1_jT2_SS_T4_T3_P12ihipStream_tbEUlT_E_NS1_11comp_targetILNS1_3genE4ELNS1_11target_archE910ELNS1_3gpuE8ELNS1_3repE0EEENS1_30default_config_static_selectorELNS0_4arch9wavefront6targetE1EEEvSR_
		.amdhsa_group_segment_fixed_size 0
		.amdhsa_private_segment_fixed_size 0
		.amdhsa_kernarg_size 48
		.amdhsa_user_sgpr_count 6
		.amdhsa_user_sgpr_private_segment_buffer 1
		.amdhsa_user_sgpr_dispatch_ptr 0
		.amdhsa_user_sgpr_queue_ptr 0
		.amdhsa_user_sgpr_kernarg_segment_ptr 1
		.amdhsa_user_sgpr_dispatch_id 0
		.amdhsa_user_sgpr_flat_scratch_init 0
		.amdhsa_user_sgpr_private_segment_size 0
		.amdhsa_uses_dynamic_stack 0
		.amdhsa_system_sgpr_private_segment_wavefront_offset 0
		.amdhsa_system_sgpr_workgroup_id_x 1
		.amdhsa_system_sgpr_workgroup_id_y 0
		.amdhsa_system_sgpr_workgroup_id_z 0
		.amdhsa_system_sgpr_workgroup_info 0
		.amdhsa_system_vgpr_workitem_id 0
		.amdhsa_next_free_vgpr 1
		.amdhsa_next_free_sgpr 0
		.amdhsa_reserve_vcc 0
		.amdhsa_reserve_flat_scratch 0
		.amdhsa_float_round_mode_32 0
		.amdhsa_float_round_mode_16_64 0
		.amdhsa_float_denorm_mode_32 3
		.amdhsa_float_denorm_mode_16_64 3
		.amdhsa_dx10_clamp 1
		.amdhsa_ieee_mode 1
		.amdhsa_fp16_overflow 0
		.amdhsa_exception_fp_ieee_invalid_op 0
		.amdhsa_exception_fp_denorm_src 0
		.amdhsa_exception_fp_ieee_div_zero 0
		.amdhsa_exception_fp_ieee_overflow 0
		.amdhsa_exception_fp_ieee_underflow 0
		.amdhsa_exception_fp_ieee_inexact 0
		.amdhsa_exception_int_div_zero 0
	.end_amdhsa_kernel
	.section	.text._ZN7rocprim17ROCPRIM_400000_NS6detail17trampoline_kernelINS0_14default_configENS1_32segmented_reduce_config_selectorIN3c108BFloat16EEEZNS1_21segmented_reduce_implIS3_PKS6_PS6_PKiS6_N6hipcub16HIPCUB_304000_NS6detail27convert_result_type_wrapperISA_SB_N2at6native12_GLOBAL__N_19CustomMaxEEEEE10hipError_tPvRmT0_T1_jT2_SS_T4_T3_P12ihipStream_tbEUlT_E_NS1_11comp_targetILNS1_3genE4ELNS1_11target_archE910ELNS1_3gpuE8ELNS1_3repE0EEENS1_30default_config_static_selectorELNS0_4arch9wavefront6targetE1EEEvSR_,"axG",@progbits,_ZN7rocprim17ROCPRIM_400000_NS6detail17trampoline_kernelINS0_14default_configENS1_32segmented_reduce_config_selectorIN3c108BFloat16EEEZNS1_21segmented_reduce_implIS3_PKS6_PS6_PKiS6_N6hipcub16HIPCUB_304000_NS6detail27convert_result_type_wrapperISA_SB_N2at6native12_GLOBAL__N_19CustomMaxEEEEE10hipError_tPvRmT0_T1_jT2_SS_T4_T3_P12ihipStream_tbEUlT_E_NS1_11comp_targetILNS1_3genE4ELNS1_11target_archE910ELNS1_3gpuE8ELNS1_3repE0EEENS1_30default_config_static_selectorELNS0_4arch9wavefront6targetE1EEEvSR_,comdat
.Lfunc_end114:
	.size	_ZN7rocprim17ROCPRIM_400000_NS6detail17trampoline_kernelINS0_14default_configENS1_32segmented_reduce_config_selectorIN3c108BFloat16EEEZNS1_21segmented_reduce_implIS3_PKS6_PS6_PKiS6_N6hipcub16HIPCUB_304000_NS6detail27convert_result_type_wrapperISA_SB_N2at6native12_GLOBAL__N_19CustomMaxEEEEE10hipError_tPvRmT0_T1_jT2_SS_T4_T3_P12ihipStream_tbEUlT_E_NS1_11comp_targetILNS1_3genE4ELNS1_11target_archE910ELNS1_3gpuE8ELNS1_3repE0EEENS1_30default_config_static_selectorELNS0_4arch9wavefront6targetE1EEEvSR_, .Lfunc_end114-_ZN7rocprim17ROCPRIM_400000_NS6detail17trampoline_kernelINS0_14default_configENS1_32segmented_reduce_config_selectorIN3c108BFloat16EEEZNS1_21segmented_reduce_implIS3_PKS6_PS6_PKiS6_N6hipcub16HIPCUB_304000_NS6detail27convert_result_type_wrapperISA_SB_N2at6native12_GLOBAL__N_19CustomMaxEEEEE10hipError_tPvRmT0_T1_jT2_SS_T4_T3_P12ihipStream_tbEUlT_E_NS1_11comp_targetILNS1_3genE4ELNS1_11target_archE910ELNS1_3gpuE8ELNS1_3repE0EEENS1_30default_config_static_selectorELNS0_4arch9wavefront6targetE1EEEvSR_
                                        ; -- End function
	.set _ZN7rocprim17ROCPRIM_400000_NS6detail17trampoline_kernelINS0_14default_configENS1_32segmented_reduce_config_selectorIN3c108BFloat16EEEZNS1_21segmented_reduce_implIS3_PKS6_PS6_PKiS6_N6hipcub16HIPCUB_304000_NS6detail27convert_result_type_wrapperISA_SB_N2at6native12_GLOBAL__N_19CustomMaxEEEEE10hipError_tPvRmT0_T1_jT2_SS_T4_T3_P12ihipStream_tbEUlT_E_NS1_11comp_targetILNS1_3genE4ELNS1_11target_archE910ELNS1_3gpuE8ELNS1_3repE0EEENS1_30default_config_static_selectorELNS0_4arch9wavefront6targetE1EEEvSR_.num_vgpr, 0
	.set _ZN7rocprim17ROCPRIM_400000_NS6detail17trampoline_kernelINS0_14default_configENS1_32segmented_reduce_config_selectorIN3c108BFloat16EEEZNS1_21segmented_reduce_implIS3_PKS6_PS6_PKiS6_N6hipcub16HIPCUB_304000_NS6detail27convert_result_type_wrapperISA_SB_N2at6native12_GLOBAL__N_19CustomMaxEEEEE10hipError_tPvRmT0_T1_jT2_SS_T4_T3_P12ihipStream_tbEUlT_E_NS1_11comp_targetILNS1_3genE4ELNS1_11target_archE910ELNS1_3gpuE8ELNS1_3repE0EEENS1_30default_config_static_selectorELNS0_4arch9wavefront6targetE1EEEvSR_.num_agpr, 0
	.set _ZN7rocprim17ROCPRIM_400000_NS6detail17trampoline_kernelINS0_14default_configENS1_32segmented_reduce_config_selectorIN3c108BFloat16EEEZNS1_21segmented_reduce_implIS3_PKS6_PS6_PKiS6_N6hipcub16HIPCUB_304000_NS6detail27convert_result_type_wrapperISA_SB_N2at6native12_GLOBAL__N_19CustomMaxEEEEE10hipError_tPvRmT0_T1_jT2_SS_T4_T3_P12ihipStream_tbEUlT_E_NS1_11comp_targetILNS1_3genE4ELNS1_11target_archE910ELNS1_3gpuE8ELNS1_3repE0EEENS1_30default_config_static_selectorELNS0_4arch9wavefront6targetE1EEEvSR_.numbered_sgpr, 0
	.set _ZN7rocprim17ROCPRIM_400000_NS6detail17trampoline_kernelINS0_14default_configENS1_32segmented_reduce_config_selectorIN3c108BFloat16EEEZNS1_21segmented_reduce_implIS3_PKS6_PS6_PKiS6_N6hipcub16HIPCUB_304000_NS6detail27convert_result_type_wrapperISA_SB_N2at6native12_GLOBAL__N_19CustomMaxEEEEE10hipError_tPvRmT0_T1_jT2_SS_T4_T3_P12ihipStream_tbEUlT_E_NS1_11comp_targetILNS1_3genE4ELNS1_11target_archE910ELNS1_3gpuE8ELNS1_3repE0EEENS1_30default_config_static_selectorELNS0_4arch9wavefront6targetE1EEEvSR_.num_named_barrier, 0
	.set _ZN7rocprim17ROCPRIM_400000_NS6detail17trampoline_kernelINS0_14default_configENS1_32segmented_reduce_config_selectorIN3c108BFloat16EEEZNS1_21segmented_reduce_implIS3_PKS6_PS6_PKiS6_N6hipcub16HIPCUB_304000_NS6detail27convert_result_type_wrapperISA_SB_N2at6native12_GLOBAL__N_19CustomMaxEEEEE10hipError_tPvRmT0_T1_jT2_SS_T4_T3_P12ihipStream_tbEUlT_E_NS1_11comp_targetILNS1_3genE4ELNS1_11target_archE910ELNS1_3gpuE8ELNS1_3repE0EEENS1_30default_config_static_selectorELNS0_4arch9wavefront6targetE1EEEvSR_.private_seg_size, 0
	.set _ZN7rocprim17ROCPRIM_400000_NS6detail17trampoline_kernelINS0_14default_configENS1_32segmented_reduce_config_selectorIN3c108BFloat16EEEZNS1_21segmented_reduce_implIS3_PKS6_PS6_PKiS6_N6hipcub16HIPCUB_304000_NS6detail27convert_result_type_wrapperISA_SB_N2at6native12_GLOBAL__N_19CustomMaxEEEEE10hipError_tPvRmT0_T1_jT2_SS_T4_T3_P12ihipStream_tbEUlT_E_NS1_11comp_targetILNS1_3genE4ELNS1_11target_archE910ELNS1_3gpuE8ELNS1_3repE0EEENS1_30default_config_static_selectorELNS0_4arch9wavefront6targetE1EEEvSR_.uses_vcc, 0
	.set _ZN7rocprim17ROCPRIM_400000_NS6detail17trampoline_kernelINS0_14default_configENS1_32segmented_reduce_config_selectorIN3c108BFloat16EEEZNS1_21segmented_reduce_implIS3_PKS6_PS6_PKiS6_N6hipcub16HIPCUB_304000_NS6detail27convert_result_type_wrapperISA_SB_N2at6native12_GLOBAL__N_19CustomMaxEEEEE10hipError_tPvRmT0_T1_jT2_SS_T4_T3_P12ihipStream_tbEUlT_E_NS1_11comp_targetILNS1_3genE4ELNS1_11target_archE910ELNS1_3gpuE8ELNS1_3repE0EEENS1_30default_config_static_selectorELNS0_4arch9wavefront6targetE1EEEvSR_.uses_flat_scratch, 0
	.set _ZN7rocprim17ROCPRIM_400000_NS6detail17trampoline_kernelINS0_14default_configENS1_32segmented_reduce_config_selectorIN3c108BFloat16EEEZNS1_21segmented_reduce_implIS3_PKS6_PS6_PKiS6_N6hipcub16HIPCUB_304000_NS6detail27convert_result_type_wrapperISA_SB_N2at6native12_GLOBAL__N_19CustomMaxEEEEE10hipError_tPvRmT0_T1_jT2_SS_T4_T3_P12ihipStream_tbEUlT_E_NS1_11comp_targetILNS1_3genE4ELNS1_11target_archE910ELNS1_3gpuE8ELNS1_3repE0EEENS1_30default_config_static_selectorELNS0_4arch9wavefront6targetE1EEEvSR_.has_dyn_sized_stack, 0
	.set _ZN7rocprim17ROCPRIM_400000_NS6detail17trampoline_kernelINS0_14default_configENS1_32segmented_reduce_config_selectorIN3c108BFloat16EEEZNS1_21segmented_reduce_implIS3_PKS6_PS6_PKiS6_N6hipcub16HIPCUB_304000_NS6detail27convert_result_type_wrapperISA_SB_N2at6native12_GLOBAL__N_19CustomMaxEEEEE10hipError_tPvRmT0_T1_jT2_SS_T4_T3_P12ihipStream_tbEUlT_E_NS1_11comp_targetILNS1_3genE4ELNS1_11target_archE910ELNS1_3gpuE8ELNS1_3repE0EEENS1_30default_config_static_selectorELNS0_4arch9wavefront6targetE1EEEvSR_.has_recursion, 0
	.set _ZN7rocprim17ROCPRIM_400000_NS6detail17trampoline_kernelINS0_14default_configENS1_32segmented_reduce_config_selectorIN3c108BFloat16EEEZNS1_21segmented_reduce_implIS3_PKS6_PS6_PKiS6_N6hipcub16HIPCUB_304000_NS6detail27convert_result_type_wrapperISA_SB_N2at6native12_GLOBAL__N_19CustomMaxEEEEE10hipError_tPvRmT0_T1_jT2_SS_T4_T3_P12ihipStream_tbEUlT_E_NS1_11comp_targetILNS1_3genE4ELNS1_11target_archE910ELNS1_3gpuE8ELNS1_3repE0EEENS1_30default_config_static_selectorELNS0_4arch9wavefront6targetE1EEEvSR_.has_indirect_call, 0
	.section	.AMDGPU.csdata,"",@progbits
; Kernel info:
; codeLenInByte = 0
; TotalNumSgprs: 4
; NumVgprs: 0
; ScratchSize: 0
; MemoryBound: 0
; FloatMode: 240
; IeeeMode: 1
; LDSByteSize: 0 bytes/workgroup (compile time only)
; SGPRBlocks: 0
; VGPRBlocks: 0
; NumSGPRsForWavesPerEU: 4
; NumVGPRsForWavesPerEU: 1
; Occupancy: 10
; WaveLimiterHint : 0
; COMPUTE_PGM_RSRC2:SCRATCH_EN: 0
; COMPUTE_PGM_RSRC2:USER_SGPR: 6
; COMPUTE_PGM_RSRC2:TRAP_HANDLER: 0
; COMPUTE_PGM_RSRC2:TGID_X_EN: 1
; COMPUTE_PGM_RSRC2:TGID_Y_EN: 0
; COMPUTE_PGM_RSRC2:TGID_Z_EN: 0
; COMPUTE_PGM_RSRC2:TIDIG_COMP_CNT: 0
	.section	.text._ZN7rocprim17ROCPRIM_400000_NS6detail17trampoline_kernelINS0_14default_configENS1_32segmented_reduce_config_selectorIN3c108BFloat16EEEZNS1_21segmented_reduce_implIS3_PKS6_PS6_PKiS6_N6hipcub16HIPCUB_304000_NS6detail27convert_result_type_wrapperISA_SB_N2at6native12_GLOBAL__N_19CustomMaxEEEEE10hipError_tPvRmT0_T1_jT2_SS_T4_T3_P12ihipStream_tbEUlT_E_NS1_11comp_targetILNS1_3genE3ELNS1_11target_archE908ELNS1_3gpuE7ELNS1_3repE0EEENS1_30default_config_static_selectorELNS0_4arch9wavefront6targetE1EEEvSR_,"axG",@progbits,_ZN7rocprim17ROCPRIM_400000_NS6detail17trampoline_kernelINS0_14default_configENS1_32segmented_reduce_config_selectorIN3c108BFloat16EEEZNS1_21segmented_reduce_implIS3_PKS6_PS6_PKiS6_N6hipcub16HIPCUB_304000_NS6detail27convert_result_type_wrapperISA_SB_N2at6native12_GLOBAL__N_19CustomMaxEEEEE10hipError_tPvRmT0_T1_jT2_SS_T4_T3_P12ihipStream_tbEUlT_E_NS1_11comp_targetILNS1_3genE3ELNS1_11target_archE908ELNS1_3gpuE7ELNS1_3repE0EEENS1_30default_config_static_selectorELNS0_4arch9wavefront6targetE1EEEvSR_,comdat
	.globl	_ZN7rocprim17ROCPRIM_400000_NS6detail17trampoline_kernelINS0_14default_configENS1_32segmented_reduce_config_selectorIN3c108BFloat16EEEZNS1_21segmented_reduce_implIS3_PKS6_PS6_PKiS6_N6hipcub16HIPCUB_304000_NS6detail27convert_result_type_wrapperISA_SB_N2at6native12_GLOBAL__N_19CustomMaxEEEEE10hipError_tPvRmT0_T1_jT2_SS_T4_T3_P12ihipStream_tbEUlT_E_NS1_11comp_targetILNS1_3genE3ELNS1_11target_archE908ELNS1_3gpuE7ELNS1_3repE0EEENS1_30default_config_static_selectorELNS0_4arch9wavefront6targetE1EEEvSR_ ; -- Begin function _ZN7rocprim17ROCPRIM_400000_NS6detail17trampoline_kernelINS0_14default_configENS1_32segmented_reduce_config_selectorIN3c108BFloat16EEEZNS1_21segmented_reduce_implIS3_PKS6_PS6_PKiS6_N6hipcub16HIPCUB_304000_NS6detail27convert_result_type_wrapperISA_SB_N2at6native12_GLOBAL__N_19CustomMaxEEEEE10hipError_tPvRmT0_T1_jT2_SS_T4_T3_P12ihipStream_tbEUlT_E_NS1_11comp_targetILNS1_3genE3ELNS1_11target_archE908ELNS1_3gpuE7ELNS1_3repE0EEENS1_30default_config_static_selectorELNS0_4arch9wavefront6targetE1EEEvSR_
	.p2align	8
	.type	_ZN7rocprim17ROCPRIM_400000_NS6detail17trampoline_kernelINS0_14default_configENS1_32segmented_reduce_config_selectorIN3c108BFloat16EEEZNS1_21segmented_reduce_implIS3_PKS6_PS6_PKiS6_N6hipcub16HIPCUB_304000_NS6detail27convert_result_type_wrapperISA_SB_N2at6native12_GLOBAL__N_19CustomMaxEEEEE10hipError_tPvRmT0_T1_jT2_SS_T4_T3_P12ihipStream_tbEUlT_E_NS1_11comp_targetILNS1_3genE3ELNS1_11target_archE908ELNS1_3gpuE7ELNS1_3repE0EEENS1_30default_config_static_selectorELNS0_4arch9wavefront6targetE1EEEvSR_,@function
_ZN7rocprim17ROCPRIM_400000_NS6detail17trampoline_kernelINS0_14default_configENS1_32segmented_reduce_config_selectorIN3c108BFloat16EEEZNS1_21segmented_reduce_implIS3_PKS6_PS6_PKiS6_N6hipcub16HIPCUB_304000_NS6detail27convert_result_type_wrapperISA_SB_N2at6native12_GLOBAL__N_19CustomMaxEEEEE10hipError_tPvRmT0_T1_jT2_SS_T4_T3_P12ihipStream_tbEUlT_E_NS1_11comp_targetILNS1_3genE3ELNS1_11target_archE908ELNS1_3gpuE7ELNS1_3repE0EEENS1_30default_config_static_selectorELNS0_4arch9wavefront6targetE1EEEvSR_: ; @_ZN7rocprim17ROCPRIM_400000_NS6detail17trampoline_kernelINS0_14default_configENS1_32segmented_reduce_config_selectorIN3c108BFloat16EEEZNS1_21segmented_reduce_implIS3_PKS6_PS6_PKiS6_N6hipcub16HIPCUB_304000_NS6detail27convert_result_type_wrapperISA_SB_N2at6native12_GLOBAL__N_19CustomMaxEEEEE10hipError_tPvRmT0_T1_jT2_SS_T4_T3_P12ihipStream_tbEUlT_E_NS1_11comp_targetILNS1_3genE3ELNS1_11target_archE908ELNS1_3gpuE7ELNS1_3repE0EEENS1_30default_config_static_selectorELNS0_4arch9wavefront6targetE1EEEvSR_
; %bb.0:
	.section	.rodata,"a",@progbits
	.p2align	6, 0x0
	.amdhsa_kernel _ZN7rocprim17ROCPRIM_400000_NS6detail17trampoline_kernelINS0_14default_configENS1_32segmented_reduce_config_selectorIN3c108BFloat16EEEZNS1_21segmented_reduce_implIS3_PKS6_PS6_PKiS6_N6hipcub16HIPCUB_304000_NS6detail27convert_result_type_wrapperISA_SB_N2at6native12_GLOBAL__N_19CustomMaxEEEEE10hipError_tPvRmT0_T1_jT2_SS_T4_T3_P12ihipStream_tbEUlT_E_NS1_11comp_targetILNS1_3genE3ELNS1_11target_archE908ELNS1_3gpuE7ELNS1_3repE0EEENS1_30default_config_static_selectorELNS0_4arch9wavefront6targetE1EEEvSR_
		.amdhsa_group_segment_fixed_size 0
		.amdhsa_private_segment_fixed_size 0
		.amdhsa_kernarg_size 48
		.amdhsa_user_sgpr_count 6
		.amdhsa_user_sgpr_private_segment_buffer 1
		.amdhsa_user_sgpr_dispatch_ptr 0
		.amdhsa_user_sgpr_queue_ptr 0
		.amdhsa_user_sgpr_kernarg_segment_ptr 1
		.amdhsa_user_sgpr_dispatch_id 0
		.amdhsa_user_sgpr_flat_scratch_init 0
		.amdhsa_user_sgpr_private_segment_size 0
		.amdhsa_uses_dynamic_stack 0
		.amdhsa_system_sgpr_private_segment_wavefront_offset 0
		.amdhsa_system_sgpr_workgroup_id_x 1
		.amdhsa_system_sgpr_workgroup_id_y 0
		.amdhsa_system_sgpr_workgroup_id_z 0
		.amdhsa_system_sgpr_workgroup_info 0
		.amdhsa_system_vgpr_workitem_id 0
		.amdhsa_next_free_vgpr 1
		.amdhsa_next_free_sgpr 0
		.amdhsa_reserve_vcc 0
		.amdhsa_reserve_flat_scratch 0
		.amdhsa_float_round_mode_32 0
		.amdhsa_float_round_mode_16_64 0
		.amdhsa_float_denorm_mode_32 3
		.amdhsa_float_denorm_mode_16_64 3
		.amdhsa_dx10_clamp 1
		.amdhsa_ieee_mode 1
		.amdhsa_fp16_overflow 0
		.amdhsa_exception_fp_ieee_invalid_op 0
		.amdhsa_exception_fp_denorm_src 0
		.amdhsa_exception_fp_ieee_div_zero 0
		.amdhsa_exception_fp_ieee_overflow 0
		.amdhsa_exception_fp_ieee_underflow 0
		.amdhsa_exception_fp_ieee_inexact 0
		.amdhsa_exception_int_div_zero 0
	.end_amdhsa_kernel
	.section	.text._ZN7rocprim17ROCPRIM_400000_NS6detail17trampoline_kernelINS0_14default_configENS1_32segmented_reduce_config_selectorIN3c108BFloat16EEEZNS1_21segmented_reduce_implIS3_PKS6_PS6_PKiS6_N6hipcub16HIPCUB_304000_NS6detail27convert_result_type_wrapperISA_SB_N2at6native12_GLOBAL__N_19CustomMaxEEEEE10hipError_tPvRmT0_T1_jT2_SS_T4_T3_P12ihipStream_tbEUlT_E_NS1_11comp_targetILNS1_3genE3ELNS1_11target_archE908ELNS1_3gpuE7ELNS1_3repE0EEENS1_30default_config_static_selectorELNS0_4arch9wavefront6targetE1EEEvSR_,"axG",@progbits,_ZN7rocprim17ROCPRIM_400000_NS6detail17trampoline_kernelINS0_14default_configENS1_32segmented_reduce_config_selectorIN3c108BFloat16EEEZNS1_21segmented_reduce_implIS3_PKS6_PS6_PKiS6_N6hipcub16HIPCUB_304000_NS6detail27convert_result_type_wrapperISA_SB_N2at6native12_GLOBAL__N_19CustomMaxEEEEE10hipError_tPvRmT0_T1_jT2_SS_T4_T3_P12ihipStream_tbEUlT_E_NS1_11comp_targetILNS1_3genE3ELNS1_11target_archE908ELNS1_3gpuE7ELNS1_3repE0EEENS1_30default_config_static_selectorELNS0_4arch9wavefront6targetE1EEEvSR_,comdat
.Lfunc_end115:
	.size	_ZN7rocprim17ROCPRIM_400000_NS6detail17trampoline_kernelINS0_14default_configENS1_32segmented_reduce_config_selectorIN3c108BFloat16EEEZNS1_21segmented_reduce_implIS3_PKS6_PS6_PKiS6_N6hipcub16HIPCUB_304000_NS6detail27convert_result_type_wrapperISA_SB_N2at6native12_GLOBAL__N_19CustomMaxEEEEE10hipError_tPvRmT0_T1_jT2_SS_T4_T3_P12ihipStream_tbEUlT_E_NS1_11comp_targetILNS1_3genE3ELNS1_11target_archE908ELNS1_3gpuE7ELNS1_3repE0EEENS1_30default_config_static_selectorELNS0_4arch9wavefront6targetE1EEEvSR_, .Lfunc_end115-_ZN7rocprim17ROCPRIM_400000_NS6detail17trampoline_kernelINS0_14default_configENS1_32segmented_reduce_config_selectorIN3c108BFloat16EEEZNS1_21segmented_reduce_implIS3_PKS6_PS6_PKiS6_N6hipcub16HIPCUB_304000_NS6detail27convert_result_type_wrapperISA_SB_N2at6native12_GLOBAL__N_19CustomMaxEEEEE10hipError_tPvRmT0_T1_jT2_SS_T4_T3_P12ihipStream_tbEUlT_E_NS1_11comp_targetILNS1_3genE3ELNS1_11target_archE908ELNS1_3gpuE7ELNS1_3repE0EEENS1_30default_config_static_selectorELNS0_4arch9wavefront6targetE1EEEvSR_
                                        ; -- End function
	.set _ZN7rocprim17ROCPRIM_400000_NS6detail17trampoline_kernelINS0_14default_configENS1_32segmented_reduce_config_selectorIN3c108BFloat16EEEZNS1_21segmented_reduce_implIS3_PKS6_PS6_PKiS6_N6hipcub16HIPCUB_304000_NS6detail27convert_result_type_wrapperISA_SB_N2at6native12_GLOBAL__N_19CustomMaxEEEEE10hipError_tPvRmT0_T1_jT2_SS_T4_T3_P12ihipStream_tbEUlT_E_NS1_11comp_targetILNS1_3genE3ELNS1_11target_archE908ELNS1_3gpuE7ELNS1_3repE0EEENS1_30default_config_static_selectorELNS0_4arch9wavefront6targetE1EEEvSR_.num_vgpr, 0
	.set _ZN7rocprim17ROCPRIM_400000_NS6detail17trampoline_kernelINS0_14default_configENS1_32segmented_reduce_config_selectorIN3c108BFloat16EEEZNS1_21segmented_reduce_implIS3_PKS6_PS6_PKiS6_N6hipcub16HIPCUB_304000_NS6detail27convert_result_type_wrapperISA_SB_N2at6native12_GLOBAL__N_19CustomMaxEEEEE10hipError_tPvRmT0_T1_jT2_SS_T4_T3_P12ihipStream_tbEUlT_E_NS1_11comp_targetILNS1_3genE3ELNS1_11target_archE908ELNS1_3gpuE7ELNS1_3repE0EEENS1_30default_config_static_selectorELNS0_4arch9wavefront6targetE1EEEvSR_.num_agpr, 0
	.set _ZN7rocprim17ROCPRIM_400000_NS6detail17trampoline_kernelINS0_14default_configENS1_32segmented_reduce_config_selectorIN3c108BFloat16EEEZNS1_21segmented_reduce_implIS3_PKS6_PS6_PKiS6_N6hipcub16HIPCUB_304000_NS6detail27convert_result_type_wrapperISA_SB_N2at6native12_GLOBAL__N_19CustomMaxEEEEE10hipError_tPvRmT0_T1_jT2_SS_T4_T3_P12ihipStream_tbEUlT_E_NS1_11comp_targetILNS1_3genE3ELNS1_11target_archE908ELNS1_3gpuE7ELNS1_3repE0EEENS1_30default_config_static_selectorELNS0_4arch9wavefront6targetE1EEEvSR_.numbered_sgpr, 0
	.set _ZN7rocprim17ROCPRIM_400000_NS6detail17trampoline_kernelINS0_14default_configENS1_32segmented_reduce_config_selectorIN3c108BFloat16EEEZNS1_21segmented_reduce_implIS3_PKS6_PS6_PKiS6_N6hipcub16HIPCUB_304000_NS6detail27convert_result_type_wrapperISA_SB_N2at6native12_GLOBAL__N_19CustomMaxEEEEE10hipError_tPvRmT0_T1_jT2_SS_T4_T3_P12ihipStream_tbEUlT_E_NS1_11comp_targetILNS1_3genE3ELNS1_11target_archE908ELNS1_3gpuE7ELNS1_3repE0EEENS1_30default_config_static_selectorELNS0_4arch9wavefront6targetE1EEEvSR_.num_named_barrier, 0
	.set _ZN7rocprim17ROCPRIM_400000_NS6detail17trampoline_kernelINS0_14default_configENS1_32segmented_reduce_config_selectorIN3c108BFloat16EEEZNS1_21segmented_reduce_implIS3_PKS6_PS6_PKiS6_N6hipcub16HIPCUB_304000_NS6detail27convert_result_type_wrapperISA_SB_N2at6native12_GLOBAL__N_19CustomMaxEEEEE10hipError_tPvRmT0_T1_jT2_SS_T4_T3_P12ihipStream_tbEUlT_E_NS1_11comp_targetILNS1_3genE3ELNS1_11target_archE908ELNS1_3gpuE7ELNS1_3repE0EEENS1_30default_config_static_selectorELNS0_4arch9wavefront6targetE1EEEvSR_.private_seg_size, 0
	.set _ZN7rocprim17ROCPRIM_400000_NS6detail17trampoline_kernelINS0_14default_configENS1_32segmented_reduce_config_selectorIN3c108BFloat16EEEZNS1_21segmented_reduce_implIS3_PKS6_PS6_PKiS6_N6hipcub16HIPCUB_304000_NS6detail27convert_result_type_wrapperISA_SB_N2at6native12_GLOBAL__N_19CustomMaxEEEEE10hipError_tPvRmT0_T1_jT2_SS_T4_T3_P12ihipStream_tbEUlT_E_NS1_11comp_targetILNS1_3genE3ELNS1_11target_archE908ELNS1_3gpuE7ELNS1_3repE0EEENS1_30default_config_static_selectorELNS0_4arch9wavefront6targetE1EEEvSR_.uses_vcc, 0
	.set _ZN7rocprim17ROCPRIM_400000_NS6detail17trampoline_kernelINS0_14default_configENS1_32segmented_reduce_config_selectorIN3c108BFloat16EEEZNS1_21segmented_reduce_implIS3_PKS6_PS6_PKiS6_N6hipcub16HIPCUB_304000_NS6detail27convert_result_type_wrapperISA_SB_N2at6native12_GLOBAL__N_19CustomMaxEEEEE10hipError_tPvRmT0_T1_jT2_SS_T4_T3_P12ihipStream_tbEUlT_E_NS1_11comp_targetILNS1_3genE3ELNS1_11target_archE908ELNS1_3gpuE7ELNS1_3repE0EEENS1_30default_config_static_selectorELNS0_4arch9wavefront6targetE1EEEvSR_.uses_flat_scratch, 0
	.set _ZN7rocprim17ROCPRIM_400000_NS6detail17trampoline_kernelINS0_14default_configENS1_32segmented_reduce_config_selectorIN3c108BFloat16EEEZNS1_21segmented_reduce_implIS3_PKS6_PS6_PKiS6_N6hipcub16HIPCUB_304000_NS6detail27convert_result_type_wrapperISA_SB_N2at6native12_GLOBAL__N_19CustomMaxEEEEE10hipError_tPvRmT0_T1_jT2_SS_T4_T3_P12ihipStream_tbEUlT_E_NS1_11comp_targetILNS1_3genE3ELNS1_11target_archE908ELNS1_3gpuE7ELNS1_3repE0EEENS1_30default_config_static_selectorELNS0_4arch9wavefront6targetE1EEEvSR_.has_dyn_sized_stack, 0
	.set _ZN7rocprim17ROCPRIM_400000_NS6detail17trampoline_kernelINS0_14default_configENS1_32segmented_reduce_config_selectorIN3c108BFloat16EEEZNS1_21segmented_reduce_implIS3_PKS6_PS6_PKiS6_N6hipcub16HIPCUB_304000_NS6detail27convert_result_type_wrapperISA_SB_N2at6native12_GLOBAL__N_19CustomMaxEEEEE10hipError_tPvRmT0_T1_jT2_SS_T4_T3_P12ihipStream_tbEUlT_E_NS1_11comp_targetILNS1_3genE3ELNS1_11target_archE908ELNS1_3gpuE7ELNS1_3repE0EEENS1_30default_config_static_selectorELNS0_4arch9wavefront6targetE1EEEvSR_.has_recursion, 0
	.set _ZN7rocprim17ROCPRIM_400000_NS6detail17trampoline_kernelINS0_14default_configENS1_32segmented_reduce_config_selectorIN3c108BFloat16EEEZNS1_21segmented_reduce_implIS3_PKS6_PS6_PKiS6_N6hipcub16HIPCUB_304000_NS6detail27convert_result_type_wrapperISA_SB_N2at6native12_GLOBAL__N_19CustomMaxEEEEE10hipError_tPvRmT0_T1_jT2_SS_T4_T3_P12ihipStream_tbEUlT_E_NS1_11comp_targetILNS1_3genE3ELNS1_11target_archE908ELNS1_3gpuE7ELNS1_3repE0EEENS1_30default_config_static_selectorELNS0_4arch9wavefront6targetE1EEEvSR_.has_indirect_call, 0
	.section	.AMDGPU.csdata,"",@progbits
; Kernel info:
; codeLenInByte = 0
; TotalNumSgprs: 4
; NumVgprs: 0
; ScratchSize: 0
; MemoryBound: 0
; FloatMode: 240
; IeeeMode: 1
; LDSByteSize: 0 bytes/workgroup (compile time only)
; SGPRBlocks: 0
; VGPRBlocks: 0
; NumSGPRsForWavesPerEU: 4
; NumVGPRsForWavesPerEU: 1
; Occupancy: 10
; WaveLimiterHint : 0
; COMPUTE_PGM_RSRC2:SCRATCH_EN: 0
; COMPUTE_PGM_RSRC2:USER_SGPR: 6
; COMPUTE_PGM_RSRC2:TRAP_HANDLER: 0
; COMPUTE_PGM_RSRC2:TGID_X_EN: 1
; COMPUTE_PGM_RSRC2:TGID_Y_EN: 0
; COMPUTE_PGM_RSRC2:TGID_Z_EN: 0
; COMPUTE_PGM_RSRC2:TIDIG_COMP_CNT: 0
	.section	.text._ZN7rocprim17ROCPRIM_400000_NS6detail17trampoline_kernelINS0_14default_configENS1_32segmented_reduce_config_selectorIN3c108BFloat16EEEZNS1_21segmented_reduce_implIS3_PKS6_PS6_PKiS6_N6hipcub16HIPCUB_304000_NS6detail27convert_result_type_wrapperISA_SB_N2at6native12_GLOBAL__N_19CustomMaxEEEEE10hipError_tPvRmT0_T1_jT2_SS_T4_T3_P12ihipStream_tbEUlT_E_NS1_11comp_targetILNS1_3genE2ELNS1_11target_archE906ELNS1_3gpuE6ELNS1_3repE0EEENS1_30default_config_static_selectorELNS0_4arch9wavefront6targetE1EEEvSR_,"axG",@progbits,_ZN7rocprim17ROCPRIM_400000_NS6detail17trampoline_kernelINS0_14default_configENS1_32segmented_reduce_config_selectorIN3c108BFloat16EEEZNS1_21segmented_reduce_implIS3_PKS6_PS6_PKiS6_N6hipcub16HIPCUB_304000_NS6detail27convert_result_type_wrapperISA_SB_N2at6native12_GLOBAL__N_19CustomMaxEEEEE10hipError_tPvRmT0_T1_jT2_SS_T4_T3_P12ihipStream_tbEUlT_E_NS1_11comp_targetILNS1_3genE2ELNS1_11target_archE906ELNS1_3gpuE6ELNS1_3repE0EEENS1_30default_config_static_selectorELNS0_4arch9wavefront6targetE1EEEvSR_,comdat
	.globl	_ZN7rocprim17ROCPRIM_400000_NS6detail17trampoline_kernelINS0_14default_configENS1_32segmented_reduce_config_selectorIN3c108BFloat16EEEZNS1_21segmented_reduce_implIS3_PKS6_PS6_PKiS6_N6hipcub16HIPCUB_304000_NS6detail27convert_result_type_wrapperISA_SB_N2at6native12_GLOBAL__N_19CustomMaxEEEEE10hipError_tPvRmT0_T1_jT2_SS_T4_T3_P12ihipStream_tbEUlT_E_NS1_11comp_targetILNS1_3genE2ELNS1_11target_archE906ELNS1_3gpuE6ELNS1_3repE0EEENS1_30default_config_static_selectorELNS0_4arch9wavefront6targetE1EEEvSR_ ; -- Begin function _ZN7rocprim17ROCPRIM_400000_NS6detail17trampoline_kernelINS0_14default_configENS1_32segmented_reduce_config_selectorIN3c108BFloat16EEEZNS1_21segmented_reduce_implIS3_PKS6_PS6_PKiS6_N6hipcub16HIPCUB_304000_NS6detail27convert_result_type_wrapperISA_SB_N2at6native12_GLOBAL__N_19CustomMaxEEEEE10hipError_tPvRmT0_T1_jT2_SS_T4_T3_P12ihipStream_tbEUlT_E_NS1_11comp_targetILNS1_3genE2ELNS1_11target_archE906ELNS1_3gpuE6ELNS1_3repE0EEENS1_30default_config_static_selectorELNS0_4arch9wavefront6targetE1EEEvSR_
	.p2align	8
	.type	_ZN7rocprim17ROCPRIM_400000_NS6detail17trampoline_kernelINS0_14default_configENS1_32segmented_reduce_config_selectorIN3c108BFloat16EEEZNS1_21segmented_reduce_implIS3_PKS6_PS6_PKiS6_N6hipcub16HIPCUB_304000_NS6detail27convert_result_type_wrapperISA_SB_N2at6native12_GLOBAL__N_19CustomMaxEEEEE10hipError_tPvRmT0_T1_jT2_SS_T4_T3_P12ihipStream_tbEUlT_E_NS1_11comp_targetILNS1_3genE2ELNS1_11target_archE906ELNS1_3gpuE6ELNS1_3repE0EEENS1_30default_config_static_selectorELNS0_4arch9wavefront6targetE1EEEvSR_,@function
_ZN7rocprim17ROCPRIM_400000_NS6detail17trampoline_kernelINS0_14default_configENS1_32segmented_reduce_config_selectorIN3c108BFloat16EEEZNS1_21segmented_reduce_implIS3_PKS6_PS6_PKiS6_N6hipcub16HIPCUB_304000_NS6detail27convert_result_type_wrapperISA_SB_N2at6native12_GLOBAL__N_19CustomMaxEEEEE10hipError_tPvRmT0_T1_jT2_SS_T4_T3_P12ihipStream_tbEUlT_E_NS1_11comp_targetILNS1_3genE2ELNS1_11target_archE906ELNS1_3gpuE6ELNS1_3repE0EEENS1_30default_config_static_selectorELNS0_4arch9wavefront6targetE1EEEvSR_: ; @_ZN7rocprim17ROCPRIM_400000_NS6detail17trampoline_kernelINS0_14default_configENS1_32segmented_reduce_config_selectorIN3c108BFloat16EEEZNS1_21segmented_reduce_implIS3_PKS6_PS6_PKiS6_N6hipcub16HIPCUB_304000_NS6detail27convert_result_type_wrapperISA_SB_N2at6native12_GLOBAL__N_19CustomMaxEEEEE10hipError_tPvRmT0_T1_jT2_SS_T4_T3_P12ihipStream_tbEUlT_E_NS1_11comp_targetILNS1_3genE2ELNS1_11target_archE906ELNS1_3gpuE6ELNS1_3repE0EEENS1_30default_config_static_selectorELNS0_4arch9wavefront6targetE1EEEvSR_
; %bb.0:
	s_load_dword s2, s[4:5], 0x28
	s_load_dwordx8 s[36:43], s[4:5], 0x0
	s_load_dwordx2 s[0:1], s[4:5], 0x20
	s_mov_b32 s7, 0
	v_cmp_eq_u32_e32 vcc, 0, v0
	s_waitcnt lgkmcnt(0)
	s_lshr_b32 s33, s2, 16
	s_lshl_b64 s[2:3], s[40:41], 2
	s_add_u32 s4, s42, s2
	s_addc_u32 s5, s43, s3
	s_add_u32 s8, s0, s2
	s_addc_u32 s9, s1, s3
	s_lshl_b64 s[0:1], s[6:7], 2
	s_add_u32 s2, s4, s0
	s_addc_u32 s3, s5, s1
	s_add_u32 s0, s8, s0
	s_addc_u32 s1, s9, s1
	s_load_dword s42, s[2:3], 0x0
	s_load_dword s50, s[0:1], 0x0
	s_waitcnt lgkmcnt(0)
	s_cmp_gt_i32 s50, s42
	s_cbranch_scc1 .LBB116_3
; %bb.1:
	s_and_b64 s[34:35], vcc, exec
	s_cbranch_execz .LBB116_4
; %bb.2:
	v_mov_b32_e32 v1, s33
	s_and_saveexec_b64 s[0:1], s[34:35]
	s_cbranch_execnz .LBB116_409
	s_branch .LBB116_410
.LBB116_3:
	s_mov_b64 s[34:35], 0
.LBB116_4:
	s_add_i32 s0, s42, 0x1000
	s_cmp_le_i32 s0, s50
	s_movk_i32 s1, 0x1000
	s_cbranch_scc0 .LBB116_88
; %bb.5:
	s_ashr_i32 s43, s42, 31
	s_lshl_b64 s[2:3], s[42:43], 1
	s_add_u32 s2, s36, s2
	s_addc_u32 s3, s37, s3
	v_lshlrev_b32_e32 v18, 1, v0
	v_mov_b32_e32 v1, s3
	v_add_co_u32_e32 v2, vcc, s2, v18
	v_addc_co_u32_e32 v1, vcc, 0, v1, vcc
	v_add_co_u32_e32 v19, vcc, s1, v2
	v_addc_co_u32_e32 v20, vcc, 0, v1, vcc
	global_load_ushort v17, v18, s[2:3]
	global_load_ushort v16, v18, s[2:3] offset:512
	global_load_ushort v15, v18, s[2:3] offset:1024
	;; [unrolled: 1-line block ×7, first 2 shown]
	global_load_ushort v8, v[19:20], off
	global_load_ushort v7, v[19:20], off offset:512
	global_load_ushort v6, v[19:20], off offset:1024
	;; [unrolled: 1-line block ×7, first 2 shown]
	s_waitcnt vmcnt(15)
	v_lshlrev_b32_e32 v19, 16, v17
	v_cmp_o_f32_e32 vcc, v19, v19
	v_mov_b32_e32 v9, v17
	s_and_saveexec_b64 s[2:3], vcc
	s_cbranch_execnz .LBB116_89
; %bb.6:
	s_or_b64 exec, exec, s[2:3]
	v_cmp_o_f32_e32 vcc, v19, v19
	s_and_saveexec_b64 s[2:3], vcc
	s_cbranch_execnz .LBB116_92
.LBB116_7:
	s_or_b64 exec, exec, s[2:3]
	v_cmp_o_f32_e32 vcc, v19, v19
	s_and_saveexec_b64 s[2:3], vcc
	s_cbranch_execnz .LBB116_95
.LBB116_8:
	s_or_b64 exec, exec, s[2:3]
	v_cmp_o_f32_e32 vcc, v19, v19
	s_and_saveexec_b64 s[2:3], vcc
	s_cbranch_execnz .LBB116_98
.LBB116_9:
	s_or_b64 exec, exec, s[2:3]
	v_cmp_o_f32_e32 vcc, v19, v19
	s_and_saveexec_b64 s[2:3], vcc
	s_cbranch_execnz .LBB116_101
.LBB116_10:
	s_or_b64 exec, exec, s[2:3]
	v_cmp_o_f32_e32 vcc, v19, v19
	s_and_saveexec_b64 s[2:3], vcc
	s_cbranch_execnz .LBB116_104
.LBB116_11:
	s_or_b64 exec, exec, s[2:3]
	v_cmp_o_f32_e32 vcc, v19, v19
	s_and_saveexec_b64 s[2:3], vcc
	s_cbranch_execnz .LBB116_107
.LBB116_12:
	s_or_b64 exec, exec, s[2:3]
	v_cmp_o_f32_e32 vcc, v19, v19
	s_and_saveexec_b64 s[2:3], vcc
	s_cbranch_execnz .LBB116_110
.LBB116_13:
	s_or_b64 exec, exec, s[2:3]
	v_cmp_o_f32_e32 vcc, v19, v19
	s_and_saveexec_b64 s[2:3], vcc
	s_cbranch_execnz .LBB116_113
.LBB116_14:
	s_or_b64 exec, exec, s[2:3]
	v_cmp_o_f32_e32 vcc, v19, v19
	s_and_saveexec_b64 s[2:3], vcc
	s_cbranch_execnz .LBB116_116
.LBB116_15:
	s_or_b64 exec, exec, s[2:3]
	v_cmp_o_f32_e32 vcc, v19, v19
	s_and_saveexec_b64 s[2:3], vcc
	s_cbranch_execnz .LBB116_119
.LBB116_16:
	s_or_b64 exec, exec, s[2:3]
	v_cmp_o_f32_e32 vcc, v19, v19
	s_and_saveexec_b64 s[2:3], vcc
	s_cbranch_execnz .LBB116_122
.LBB116_17:
	s_or_b64 exec, exec, s[2:3]
	v_cmp_o_f32_e32 vcc, v19, v19
	s_and_saveexec_b64 s[2:3], vcc
	s_cbranch_execnz .LBB116_125
.LBB116_18:
	s_or_b64 exec, exec, s[2:3]
	v_cmp_o_f32_e32 vcc, v19, v19
	s_and_saveexec_b64 s[2:3], vcc
	s_cbranch_execnz .LBB116_128
.LBB116_19:
	s_or_b64 exec, exec, s[2:3]
	v_cmp_o_f32_e32 vcc, v19, v19
	s_and_saveexec_b64 s[2:3], vcc
	s_cbranch_execnz .LBB116_131
.LBB116_20:
	s_or_b64 exec, exec, s[2:3]
	s_add_i32 s1, s42, 0x2000
	s_cmp_ge_i32 s1, s50
	s_cbranch_scc1 .LBB116_134
.LBB116_21:
	s_waitcnt vmcnt(0)
	v_mov_b32_e32 v1, s37
	v_add_co_u32_e32 v19, vcc, s36, v18
	v_addc_co_u32_e32 v20, vcc, 0, v1, vcc
.LBB116_22:                             ; =>This Inner Loop Header: Depth=1
	s_ashr_i32 s1, s0, 31
	s_lshl_b64 s[2:3], s[0:1], 1
	s_waitcnt vmcnt(1)
	v_mov_b32_e32 v2, s3
	s_waitcnt vmcnt(0)
	v_add_co_u32_e32 v1, vcc, s2, v19
	v_addc_co_u32_e32 v2, vcc, v20, v2, vcc
	v_add_co_u32_e32 v21, vcc, 0x1000, v1
	v_addc_co_u32_e32 v22, vcc, 0, v2, vcc
	global_load_ushort v17, v[1:2], off
	global_load_ushort v16, v[1:2], off offset:512
	global_load_ushort v15, v[1:2], off offset:1024
	;; [unrolled: 1-line block ×7, first 2 shown]
	global_load_ushort v8, v[21:22], off
	global_load_ushort v7, v[21:22], off offset:512
	global_load_ushort v6, v[21:22], off offset:1024
	;; [unrolled: 1-line block ×7, first 2 shown]
	v_lshlrev_b32_e32 v21, 16, v9
	v_cmp_o_f32_e32 vcc, v21, v21
	s_and_saveexec_b64 s[2:3], vcc
	s_cbranch_execnz .LBB116_38
; %bb.23:                               ;   in Loop: Header=BB116_22 Depth=1
	s_or_b64 exec, exec, s[2:3]
	v_cmp_o_f32_e32 vcc, v21, v21
	s_and_saveexec_b64 s[2:3], vcc
	s_cbranch_execnz .LBB116_41
.LBB116_24:                             ;   in Loop: Header=BB116_22 Depth=1
	s_or_b64 exec, exec, s[2:3]
	v_cmp_o_f32_e32 vcc, v21, v21
	s_and_saveexec_b64 s[2:3], vcc
	s_cbranch_execnz .LBB116_44
.LBB116_25:                             ;   in Loop: Header=BB116_22 Depth=1
	s_or_b64 exec, exec, s[2:3]
	v_cmp_o_f32_e32 vcc, v21, v21
	s_and_saveexec_b64 s[2:3], vcc
	s_cbranch_execnz .LBB116_47
.LBB116_26:                             ;   in Loop: Header=BB116_22 Depth=1
	s_or_b64 exec, exec, s[2:3]
	v_cmp_o_f32_e32 vcc, v21, v21
	s_and_saveexec_b64 s[2:3], vcc
	s_cbranch_execnz .LBB116_50
.LBB116_27:                             ;   in Loop: Header=BB116_22 Depth=1
	s_or_b64 exec, exec, s[2:3]
	v_cmp_o_f32_e32 vcc, v21, v21
	s_and_saveexec_b64 s[2:3], vcc
	s_cbranch_execnz .LBB116_53
.LBB116_28:                             ;   in Loop: Header=BB116_22 Depth=1
	s_or_b64 exec, exec, s[2:3]
	v_cmp_o_f32_e32 vcc, v21, v21
	s_and_saveexec_b64 s[2:3], vcc
	s_cbranch_execnz .LBB116_56
.LBB116_29:                             ;   in Loop: Header=BB116_22 Depth=1
	s_or_b64 exec, exec, s[2:3]
	v_cmp_o_f32_e32 vcc, v21, v21
	s_and_saveexec_b64 s[2:3], vcc
	s_cbranch_execnz .LBB116_59
.LBB116_30:                             ;   in Loop: Header=BB116_22 Depth=1
	s_or_b64 exec, exec, s[2:3]
	v_cmp_o_f32_e32 vcc, v21, v21
	s_and_saveexec_b64 s[2:3], vcc
	s_cbranch_execnz .LBB116_62
.LBB116_31:                             ;   in Loop: Header=BB116_22 Depth=1
	s_or_b64 exec, exec, s[2:3]
	v_cmp_o_f32_e32 vcc, v21, v21
	s_and_saveexec_b64 s[2:3], vcc
	s_cbranch_execnz .LBB116_65
.LBB116_32:                             ;   in Loop: Header=BB116_22 Depth=1
	s_or_b64 exec, exec, s[2:3]
	v_cmp_o_f32_e32 vcc, v21, v21
	s_and_saveexec_b64 s[2:3], vcc
	s_cbranch_execnz .LBB116_68
.LBB116_33:                             ;   in Loop: Header=BB116_22 Depth=1
	s_or_b64 exec, exec, s[2:3]
	v_cmp_o_f32_e32 vcc, v21, v21
	s_and_saveexec_b64 s[2:3], vcc
	s_cbranch_execnz .LBB116_71
.LBB116_34:                             ;   in Loop: Header=BB116_22 Depth=1
	s_or_b64 exec, exec, s[2:3]
	v_cmp_o_f32_e32 vcc, v21, v21
	s_and_saveexec_b64 s[2:3], vcc
	s_cbranch_execnz .LBB116_74
.LBB116_35:                             ;   in Loop: Header=BB116_22 Depth=1
	s_or_b64 exec, exec, s[2:3]
	v_cmp_o_f32_e32 vcc, v21, v21
	s_and_saveexec_b64 s[2:3], vcc
	s_cbranch_execnz .LBB116_77
.LBB116_36:                             ;   in Loop: Header=BB116_22 Depth=1
	s_or_b64 exec, exec, s[2:3]
	v_cmp_o_f32_e32 vcc, v21, v21
	s_and_saveexec_b64 s[2:3], vcc
	s_cbranch_execnz .LBB116_80
.LBB116_37:                             ;   in Loop: Header=BB116_22 Depth=1
	s_or_b64 exec, exec, s[2:3]
	v_cmp_o_f32_e32 vcc, v21, v21
	s_and_saveexec_b64 s[2:3], vcc
	s_cbranch_execnz .LBB116_83
	s_branch .LBB116_86
.LBB116_38:                             ;   in Loop: Header=BB116_22 Depth=1
	s_waitcnt vmcnt(15)
	v_lshlrev_b32_e32 v22, 16, v17
	v_cmp_o_f32_e32 vcc, v22, v22
	v_mov_b32_e32 v23, v17
	s_and_saveexec_b64 s[4:5], vcc
; %bb.39:                               ;   in Loop: Header=BB116_22 Depth=1
	v_cmp_lt_f32_e32 vcc, v21, v22
	v_cndmask_b32_e32 v23, v9, v17, vcc
	v_lshlrev_b32_e32 v22, 16, v23
; %bb.40:                               ;   in Loop: Header=BB116_22 Depth=1
	s_or_b64 exec, exec, s[4:5]
	v_mov_b32_e32 v21, v22
	v_mov_b32_e32 v9, v23
	s_or_b64 exec, exec, s[2:3]
	v_cmp_o_f32_e32 vcc, v21, v21
	s_and_saveexec_b64 s[2:3], vcc
	s_cbranch_execz .LBB116_24
.LBB116_41:                             ;   in Loop: Header=BB116_22 Depth=1
	s_waitcnt vmcnt(14)
	v_lshlrev_b32_e32 v22, 16, v16
	v_cmp_o_f32_e32 vcc, v22, v22
	v_mov_b32_e32 v23, v16
	s_and_saveexec_b64 s[4:5], vcc
; %bb.42:                               ;   in Loop: Header=BB116_22 Depth=1
	v_cmp_lt_f32_e32 vcc, v21, v22
	v_cndmask_b32_e32 v23, v9, v16, vcc
	v_lshlrev_b32_e32 v22, 16, v23
; %bb.43:                               ;   in Loop: Header=BB116_22 Depth=1
	s_or_b64 exec, exec, s[4:5]
	v_mov_b32_e32 v21, v22
	v_mov_b32_e32 v9, v23
	s_or_b64 exec, exec, s[2:3]
	v_cmp_o_f32_e32 vcc, v21, v21
	s_and_saveexec_b64 s[2:3], vcc
	s_cbranch_execz .LBB116_25
.LBB116_44:                             ;   in Loop: Header=BB116_22 Depth=1
	s_waitcnt vmcnt(13)
	v_lshlrev_b32_e32 v22, 16, v15
	v_cmp_o_f32_e32 vcc, v22, v22
	v_mov_b32_e32 v23, v15
	s_and_saveexec_b64 s[4:5], vcc
; %bb.45:                               ;   in Loop: Header=BB116_22 Depth=1
	v_cmp_lt_f32_e32 vcc, v21, v22
	v_cndmask_b32_e32 v23, v9, v15, vcc
	v_lshlrev_b32_e32 v22, 16, v23
; %bb.46:                               ;   in Loop: Header=BB116_22 Depth=1
	s_or_b64 exec, exec, s[4:5]
	v_mov_b32_e32 v21, v22
	v_mov_b32_e32 v9, v23
	s_or_b64 exec, exec, s[2:3]
	v_cmp_o_f32_e32 vcc, v21, v21
	s_and_saveexec_b64 s[2:3], vcc
	s_cbranch_execz .LBB116_26
.LBB116_47:                             ;   in Loop: Header=BB116_22 Depth=1
	s_waitcnt vmcnt(12)
	v_lshlrev_b32_e32 v22, 16, v14
	v_cmp_o_f32_e32 vcc, v22, v22
	v_mov_b32_e32 v23, v14
	s_and_saveexec_b64 s[4:5], vcc
; %bb.48:                               ;   in Loop: Header=BB116_22 Depth=1
	v_cmp_lt_f32_e32 vcc, v21, v22
	v_cndmask_b32_e32 v23, v9, v14, vcc
	v_lshlrev_b32_e32 v22, 16, v23
; %bb.49:                               ;   in Loop: Header=BB116_22 Depth=1
	s_or_b64 exec, exec, s[4:5]
	v_mov_b32_e32 v21, v22
	v_mov_b32_e32 v9, v23
	s_or_b64 exec, exec, s[2:3]
	v_cmp_o_f32_e32 vcc, v21, v21
	s_and_saveexec_b64 s[2:3], vcc
	s_cbranch_execz .LBB116_27
.LBB116_50:                             ;   in Loop: Header=BB116_22 Depth=1
	s_waitcnt vmcnt(11)
	v_lshlrev_b32_e32 v22, 16, v13
	v_cmp_o_f32_e32 vcc, v22, v22
	v_mov_b32_e32 v23, v13
	s_and_saveexec_b64 s[4:5], vcc
; %bb.51:                               ;   in Loop: Header=BB116_22 Depth=1
	v_cmp_lt_f32_e32 vcc, v21, v22
	v_cndmask_b32_e32 v23, v9, v13, vcc
	v_lshlrev_b32_e32 v22, 16, v23
; %bb.52:                               ;   in Loop: Header=BB116_22 Depth=1
	s_or_b64 exec, exec, s[4:5]
	v_mov_b32_e32 v21, v22
	v_mov_b32_e32 v9, v23
	s_or_b64 exec, exec, s[2:3]
	v_cmp_o_f32_e32 vcc, v21, v21
	s_and_saveexec_b64 s[2:3], vcc
	s_cbranch_execz .LBB116_28
.LBB116_53:                             ;   in Loop: Header=BB116_22 Depth=1
	s_waitcnt vmcnt(10)
	v_lshlrev_b32_e32 v22, 16, v12
	v_cmp_o_f32_e32 vcc, v22, v22
	v_mov_b32_e32 v23, v12
	s_and_saveexec_b64 s[4:5], vcc
; %bb.54:                               ;   in Loop: Header=BB116_22 Depth=1
	v_cmp_lt_f32_e32 vcc, v21, v22
	v_cndmask_b32_e32 v23, v9, v12, vcc
	v_lshlrev_b32_e32 v22, 16, v23
; %bb.55:                               ;   in Loop: Header=BB116_22 Depth=1
	s_or_b64 exec, exec, s[4:5]
	v_mov_b32_e32 v21, v22
	v_mov_b32_e32 v9, v23
	s_or_b64 exec, exec, s[2:3]
	v_cmp_o_f32_e32 vcc, v21, v21
	s_and_saveexec_b64 s[2:3], vcc
	s_cbranch_execz .LBB116_29
.LBB116_56:                             ;   in Loop: Header=BB116_22 Depth=1
	s_waitcnt vmcnt(9)
	v_lshlrev_b32_e32 v22, 16, v11
	v_cmp_o_f32_e32 vcc, v22, v22
	v_mov_b32_e32 v23, v11
	s_and_saveexec_b64 s[4:5], vcc
; %bb.57:                               ;   in Loop: Header=BB116_22 Depth=1
	v_cmp_lt_f32_e32 vcc, v21, v22
	v_cndmask_b32_e32 v23, v9, v11, vcc
	v_lshlrev_b32_e32 v22, 16, v23
; %bb.58:                               ;   in Loop: Header=BB116_22 Depth=1
	s_or_b64 exec, exec, s[4:5]
	v_mov_b32_e32 v21, v22
	v_mov_b32_e32 v9, v23
	s_or_b64 exec, exec, s[2:3]
	v_cmp_o_f32_e32 vcc, v21, v21
	s_and_saveexec_b64 s[2:3], vcc
	s_cbranch_execz .LBB116_30
.LBB116_59:                             ;   in Loop: Header=BB116_22 Depth=1
	s_waitcnt vmcnt(8)
	v_lshlrev_b32_e32 v22, 16, v10
	v_cmp_o_f32_e32 vcc, v22, v22
	v_mov_b32_e32 v23, v10
	s_and_saveexec_b64 s[4:5], vcc
; %bb.60:                               ;   in Loop: Header=BB116_22 Depth=1
	v_cmp_lt_f32_e32 vcc, v21, v22
	v_cndmask_b32_e32 v23, v9, v10, vcc
	v_lshlrev_b32_e32 v22, 16, v23
; %bb.61:                               ;   in Loop: Header=BB116_22 Depth=1
	s_or_b64 exec, exec, s[4:5]
	v_mov_b32_e32 v21, v22
	v_mov_b32_e32 v9, v23
	s_or_b64 exec, exec, s[2:3]
	v_cmp_o_f32_e32 vcc, v21, v21
	s_and_saveexec_b64 s[2:3], vcc
	s_cbranch_execz .LBB116_31
.LBB116_62:                             ;   in Loop: Header=BB116_22 Depth=1
	s_waitcnt vmcnt(7)
	v_lshlrev_b32_e32 v22, 16, v8
	v_cmp_o_f32_e32 vcc, v22, v22
	v_mov_b32_e32 v23, v8
	s_and_saveexec_b64 s[4:5], vcc
; %bb.63:                               ;   in Loop: Header=BB116_22 Depth=1
	v_cmp_lt_f32_e32 vcc, v21, v22
	v_cndmask_b32_e32 v23, v9, v8, vcc
	v_lshlrev_b32_e32 v22, 16, v23
; %bb.64:                               ;   in Loop: Header=BB116_22 Depth=1
	s_or_b64 exec, exec, s[4:5]
	v_mov_b32_e32 v21, v22
	v_mov_b32_e32 v9, v23
	s_or_b64 exec, exec, s[2:3]
	v_cmp_o_f32_e32 vcc, v21, v21
	s_and_saveexec_b64 s[2:3], vcc
	s_cbranch_execz .LBB116_32
.LBB116_65:                             ;   in Loop: Header=BB116_22 Depth=1
	s_waitcnt vmcnt(6)
	v_lshlrev_b32_e32 v22, 16, v7
	v_cmp_o_f32_e32 vcc, v22, v22
	v_mov_b32_e32 v23, v7
	s_and_saveexec_b64 s[4:5], vcc
; %bb.66:                               ;   in Loop: Header=BB116_22 Depth=1
	v_cmp_lt_f32_e32 vcc, v21, v22
	v_cndmask_b32_e32 v23, v9, v7, vcc
	v_lshlrev_b32_e32 v22, 16, v23
; %bb.67:                               ;   in Loop: Header=BB116_22 Depth=1
	s_or_b64 exec, exec, s[4:5]
	v_mov_b32_e32 v21, v22
	v_mov_b32_e32 v9, v23
	s_or_b64 exec, exec, s[2:3]
	v_cmp_o_f32_e32 vcc, v21, v21
	s_and_saveexec_b64 s[2:3], vcc
	s_cbranch_execz .LBB116_33
.LBB116_68:                             ;   in Loop: Header=BB116_22 Depth=1
	s_waitcnt vmcnt(5)
	v_lshlrev_b32_e32 v22, 16, v6
	v_cmp_o_f32_e32 vcc, v22, v22
	v_mov_b32_e32 v23, v6
	s_and_saveexec_b64 s[4:5], vcc
; %bb.69:                               ;   in Loop: Header=BB116_22 Depth=1
	v_cmp_lt_f32_e32 vcc, v21, v22
	v_cndmask_b32_e32 v23, v9, v6, vcc
	v_lshlrev_b32_e32 v22, 16, v23
; %bb.70:                               ;   in Loop: Header=BB116_22 Depth=1
	s_or_b64 exec, exec, s[4:5]
	v_mov_b32_e32 v21, v22
	v_mov_b32_e32 v9, v23
	s_or_b64 exec, exec, s[2:3]
	v_cmp_o_f32_e32 vcc, v21, v21
	s_and_saveexec_b64 s[2:3], vcc
	s_cbranch_execz .LBB116_34
.LBB116_71:                             ;   in Loop: Header=BB116_22 Depth=1
	s_waitcnt vmcnt(4)
	v_lshlrev_b32_e32 v22, 16, v5
	v_cmp_o_f32_e32 vcc, v22, v22
	v_mov_b32_e32 v23, v5
	s_and_saveexec_b64 s[4:5], vcc
; %bb.72:                               ;   in Loop: Header=BB116_22 Depth=1
	v_cmp_lt_f32_e32 vcc, v21, v22
	v_cndmask_b32_e32 v23, v9, v5, vcc
	v_lshlrev_b32_e32 v22, 16, v23
; %bb.73:                               ;   in Loop: Header=BB116_22 Depth=1
	s_or_b64 exec, exec, s[4:5]
	v_mov_b32_e32 v21, v22
	v_mov_b32_e32 v9, v23
	s_or_b64 exec, exec, s[2:3]
	v_cmp_o_f32_e32 vcc, v21, v21
	s_and_saveexec_b64 s[2:3], vcc
	s_cbranch_execz .LBB116_35
.LBB116_74:                             ;   in Loop: Header=BB116_22 Depth=1
	s_waitcnt vmcnt(3)
	v_lshlrev_b32_e32 v22, 16, v4
	v_cmp_o_f32_e32 vcc, v22, v22
	v_mov_b32_e32 v23, v4
	s_and_saveexec_b64 s[4:5], vcc
; %bb.75:                               ;   in Loop: Header=BB116_22 Depth=1
	v_cmp_lt_f32_e32 vcc, v21, v22
	v_cndmask_b32_e32 v23, v9, v4, vcc
	v_lshlrev_b32_e32 v22, 16, v23
; %bb.76:                               ;   in Loop: Header=BB116_22 Depth=1
	s_or_b64 exec, exec, s[4:5]
	v_mov_b32_e32 v21, v22
	v_mov_b32_e32 v9, v23
	s_or_b64 exec, exec, s[2:3]
	v_cmp_o_f32_e32 vcc, v21, v21
	s_and_saveexec_b64 s[2:3], vcc
	s_cbranch_execz .LBB116_36
.LBB116_77:                             ;   in Loop: Header=BB116_22 Depth=1
	s_waitcnt vmcnt(2)
	v_lshlrev_b32_e32 v22, 16, v3
	v_cmp_o_f32_e32 vcc, v22, v22
	v_mov_b32_e32 v23, v3
	s_and_saveexec_b64 s[4:5], vcc
; %bb.78:                               ;   in Loop: Header=BB116_22 Depth=1
	v_cmp_lt_f32_e32 vcc, v21, v22
	v_cndmask_b32_e32 v23, v9, v3, vcc
	v_lshlrev_b32_e32 v22, 16, v23
; %bb.79:                               ;   in Loop: Header=BB116_22 Depth=1
	s_or_b64 exec, exec, s[4:5]
	v_mov_b32_e32 v21, v22
	v_mov_b32_e32 v9, v23
	s_or_b64 exec, exec, s[2:3]
	v_cmp_o_f32_e32 vcc, v21, v21
	s_and_saveexec_b64 s[2:3], vcc
	s_cbranch_execz .LBB116_37
.LBB116_80:                             ;   in Loop: Header=BB116_22 Depth=1
	s_waitcnt vmcnt(1)
	v_lshlrev_b32_e32 v22, 16, v2
	v_cmp_o_f32_e32 vcc, v22, v22
	v_mov_b32_e32 v23, v2
	s_and_saveexec_b64 s[4:5], vcc
; %bb.81:                               ;   in Loop: Header=BB116_22 Depth=1
	v_cmp_lt_f32_e32 vcc, v21, v22
	v_cndmask_b32_e32 v23, v9, v2, vcc
	v_lshlrev_b32_e32 v22, 16, v23
; %bb.82:                               ;   in Loop: Header=BB116_22 Depth=1
	s_or_b64 exec, exec, s[4:5]
	v_mov_b32_e32 v21, v22
	v_mov_b32_e32 v9, v23
	s_or_b64 exec, exec, s[2:3]
	v_cmp_o_f32_e32 vcc, v21, v21
	s_and_saveexec_b64 s[2:3], vcc
	s_cbranch_execz .LBB116_86
.LBB116_83:                             ;   in Loop: Header=BB116_22 Depth=1
	s_waitcnt vmcnt(0)
	v_lshlrev_b32_e32 v23, 16, v1
	v_cmp_o_f32_e32 vcc, v23, v23
	v_mov_b32_e32 v22, v1
	s_and_saveexec_b64 s[4:5], vcc
; %bb.84:                               ;   in Loop: Header=BB116_22 Depth=1
	v_cmp_lt_f32_e32 vcc, v21, v23
	v_cndmask_b32_e32 v22, v9, v1, vcc
; %bb.85:                               ;   in Loop: Header=BB116_22 Depth=1
	s_or_b64 exec, exec, s[4:5]
	v_mov_b32_e32 v9, v22
.LBB116_86:                             ;   in Loop: Header=BB116_22 Depth=1
	s_or_b64 exec, exec, s[2:3]
	s_add_i32 s2, s0, 0x1000
	s_addk_i32 s0, 0x2000
	s_cmp_lt_i32 s0, s50
	s_cbranch_scc0 .LBB116_135
; %bb.87:                               ;   in Loop: Header=BB116_22 Depth=1
	s_mov_b32 s0, s2
	s_branch .LBB116_22
.LBB116_88:
                                        ; implicit-def: $vgpr3
	s_cbranch_execnz .LBB116_300
	s_branch .LBB116_402
.LBB116_89:
	s_waitcnt vmcnt(14)
	v_lshlrev_b32_e32 v20, 16, v16
	v_cmp_o_f32_e32 vcc, v20, v20
	v_mov_b32_e32 v9, v16
	s_and_saveexec_b64 s[4:5], vcc
; %bb.90:
	v_cmp_lt_f32_e32 vcc, v19, v20
	v_cndmask_b32_e32 v9, v17, v16, vcc
	v_lshlrev_b32_e32 v20, 16, v9
; %bb.91:
	s_or_b64 exec, exec, s[4:5]
	v_mov_b32_e32 v19, v20
	s_or_b64 exec, exec, s[2:3]
	v_cmp_o_f32_e32 vcc, v19, v19
	s_and_saveexec_b64 s[2:3], vcc
	s_cbranch_execz .LBB116_7
.LBB116_92:
	s_waitcnt vmcnt(13)
	v_lshlrev_b32_e32 v20, 16, v15
	v_cmp_o_f32_e32 vcc, v20, v20
	v_mov_b32_e32 v21, v15
	s_and_saveexec_b64 s[4:5], vcc
; %bb.93:
	v_cmp_lt_f32_e32 vcc, v19, v20
	v_cndmask_b32_e32 v21, v9, v15, vcc
	v_lshlrev_b32_e32 v20, 16, v21
; %bb.94:
	s_or_b64 exec, exec, s[4:5]
	v_mov_b32_e32 v19, v20
	v_mov_b32_e32 v9, v21
	s_or_b64 exec, exec, s[2:3]
	v_cmp_o_f32_e32 vcc, v19, v19
	s_and_saveexec_b64 s[2:3], vcc
	s_cbranch_execz .LBB116_8
.LBB116_95:
	s_waitcnt vmcnt(12)
	v_lshlrev_b32_e32 v20, 16, v14
	v_cmp_o_f32_e32 vcc, v20, v20
	v_mov_b32_e32 v21, v14
	s_and_saveexec_b64 s[4:5], vcc
; %bb.96:
	v_cmp_lt_f32_e32 vcc, v19, v20
	v_cndmask_b32_e32 v21, v9, v14, vcc
	v_lshlrev_b32_e32 v20, 16, v21
; %bb.97:
	s_or_b64 exec, exec, s[4:5]
	v_mov_b32_e32 v19, v20
	v_mov_b32_e32 v9, v21
	s_or_b64 exec, exec, s[2:3]
	v_cmp_o_f32_e32 vcc, v19, v19
	s_and_saveexec_b64 s[2:3], vcc
	s_cbranch_execz .LBB116_9
.LBB116_98:
	s_waitcnt vmcnt(11)
	v_lshlrev_b32_e32 v20, 16, v13
	v_cmp_o_f32_e32 vcc, v20, v20
	v_mov_b32_e32 v21, v13
	s_and_saveexec_b64 s[4:5], vcc
; %bb.99:
	v_cmp_lt_f32_e32 vcc, v19, v20
	v_cndmask_b32_e32 v21, v9, v13, vcc
	v_lshlrev_b32_e32 v20, 16, v21
; %bb.100:
	s_or_b64 exec, exec, s[4:5]
	v_mov_b32_e32 v19, v20
	v_mov_b32_e32 v9, v21
	s_or_b64 exec, exec, s[2:3]
	v_cmp_o_f32_e32 vcc, v19, v19
	s_and_saveexec_b64 s[2:3], vcc
	s_cbranch_execz .LBB116_10
.LBB116_101:
	s_waitcnt vmcnt(10)
	v_lshlrev_b32_e32 v20, 16, v12
	v_cmp_o_f32_e32 vcc, v20, v20
	v_mov_b32_e32 v21, v12
	s_and_saveexec_b64 s[4:5], vcc
; %bb.102:
	v_cmp_lt_f32_e32 vcc, v19, v20
	v_cndmask_b32_e32 v21, v9, v12, vcc
	v_lshlrev_b32_e32 v20, 16, v21
; %bb.103:
	s_or_b64 exec, exec, s[4:5]
	v_mov_b32_e32 v19, v20
	v_mov_b32_e32 v9, v21
	s_or_b64 exec, exec, s[2:3]
	v_cmp_o_f32_e32 vcc, v19, v19
	s_and_saveexec_b64 s[2:3], vcc
	s_cbranch_execz .LBB116_11
.LBB116_104:
	s_waitcnt vmcnt(9)
	v_lshlrev_b32_e32 v20, 16, v11
	v_cmp_o_f32_e32 vcc, v20, v20
	v_mov_b32_e32 v21, v11
	s_and_saveexec_b64 s[4:5], vcc
; %bb.105:
	v_cmp_lt_f32_e32 vcc, v19, v20
	v_cndmask_b32_e32 v21, v9, v11, vcc
	v_lshlrev_b32_e32 v20, 16, v21
; %bb.106:
	s_or_b64 exec, exec, s[4:5]
	v_mov_b32_e32 v19, v20
	v_mov_b32_e32 v9, v21
	s_or_b64 exec, exec, s[2:3]
	v_cmp_o_f32_e32 vcc, v19, v19
	s_and_saveexec_b64 s[2:3], vcc
	s_cbranch_execz .LBB116_12
.LBB116_107:
	s_waitcnt vmcnt(8)
	v_lshlrev_b32_e32 v20, 16, v10
	v_cmp_o_f32_e32 vcc, v20, v20
	v_mov_b32_e32 v21, v10
	s_and_saveexec_b64 s[4:5], vcc
; %bb.108:
	v_cmp_lt_f32_e32 vcc, v19, v20
	v_cndmask_b32_e32 v21, v9, v10, vcc
	v_lshlrev_b32_e32 v20, 16, v21
; %bb.109:
	s_or_b64 exec, exec, s[4:5]
	v_mov_b32_e32 v19, v20
	v_mov_b32_e32 v9, v21
	s_or_b64 exec, exec, s[2:3]
	v_cmp_o_f32_e32 vcc, v19, v19
	s_and_saveexec_b64 s[2:3], vcc
	s_cbranch_execz .LBB116_13
.LBB116_110:
	s_waitcnt vmcnt(7)
	v_lshlrev_b32_e32 v20, 16, v8
	v_cmp_o_f32_e32 vcc, v20, v20
	v_mov_b32_e32 v21, v8
	s_and_saveexec_b64 s[4:5], vcc
; %bb.111:
	v_cmp_lt_f32_e32 vcc, v19, v20
	v_cndmask_b32_e32 v21, v9, v8, vcc
	v_lshlrev_b32_e32 v20, 16, v21
; %bb.112:
	s_or_b64 exec, exec, s[4:5]
	v_mov_b32_e32 v19, v20
	v_mov_b32_e32 v9, v21
	s_or_b64 exec, exec, s[2:3]
	v_cmp_o_f32_e32 vcc, v19, v19
	s_and_saveexec_b64 s[2:3], vcc
	s_cbranch_execz .LBB116_14
.LBB116_113:
	s_waitcnt vmcnt(6)
	v_lshlrev_b32_e32 v20, 16, v7
	v_cmp_o_f32_e32 vcc, v20, v20
	v_mov_b32_e32 v21, v7
	s_and_saveexec_b64 s[4:5], vcc
; %bb.114:
	v_cmp_lt_f32_e32 vcc, v19, v20
	v_cndmask_b32_e32 v21, v9, v7, vcc
	v_lshlrev_b32_e32 v20, 16, v21
; %bb.115:
	s_or_b64 exec, exec, s[4:5]
	v_mov_b32_e32 v19, v20
	v_mov_b32_e32 v9, v21
	s_or_b64 exec, exec, s[2:3]
	v_cmp_o_f32_e32 vcc, v19, v19
	s_and_saveexec_b64 s[2:3], vcc
	s_cbranch_execz .LBB116_15
.LBB116_116:
	s_waitcnt vmcnt(5)
	v_lshlrev_b32_e32 v20, 16, v6
	v_cmp_o_f32_e32 vcc, v20, v20
	v_mov_b32_e32 v21, v6
	s_and_saveexec_b64 s[4:5], vcc
; %bb.117:
	v_cmp_lt_f32_e32 vcc, v19, v20
	v_cndmask_b32_e32 v21, v9, v6, vcc
	v_lshlrev_b32_e32 v20, 16, v21
; %bb.118:
	s_or_b64 exec, exec, s[4:5]
	v_mov_b32_e32 v19, v20
	v_mov_b32_e32 v9, v21
	s_or_b64 exec, exec, s[2:3]
	v_cmp_o_f32_e32 vcc, v19, v19
	s_and_saveexec_b64 s[2:3], vcc
	s_cbranch_execz .LBB116_16
.LBB116_119:
	s_waitcnt vmcnt(4)
	v_lshlrev_b32_e32 v20, 16, v5
	v_cmp_o_f32_e32 vcc, v20, v20
	v_mov_b32_e32 v21, v5
	s_and_saveexec_b64 s[4:5], vcc
; %bb.120:
	v_cmp_lt_f32_e32 vcc, v19, v20
	v_cndmask_b32_e32 v21, v9, v5, vcc
	v_lshlrev_b32_e32 v20, 16, v21
; %bb.121:
	s_or_b64 exec, exec, s[4:5]
	v_mov_b32_e32 v19, v20
	v_mov_b32_e32 v9, v21
	s_or_b64 exec, exec, s[2:3]
	v_cmp_o_f32_e32 vcc, v19, v19
	s_and_saveexec_b64 s[2:3], vcc
	s_cbranch_execz .LBB116_17
.LBB116_122:
	s_waitcnt vmcnt(3)
	v_lshlrev_b32_e32 v20, 16, v4
	v_cmp_o_f32_e32 vcc, v20, v20
	v_mov_b32_e32 v21, v4
	s_and_saveexec_b64 s[4:5], vcc
; %bb.123:
	v_cmp_lt_f32_e32 vcc, v19, v20
	v_cndmask_b32_e32 v21, v9, v4, vcc
	v_lshlrev_b32_e32 v20, 16, v21
; %bb.124:
	s_or_b64 exec, exec, s[4:5]
	v_mov_b32_e32 v19, v20
	v_mov_b32_e32 v9, v21
	s_or_b64 exec, exec, s[2:3]
	v_cmp_o_f32_e32 vcc, v19, v19
	s_and_saveexec_b64 s[2:3], vcc
	s_cbranch_execz .LBB116_18
.LBB116_125:
	s_waitcnt vmcnt(2)
	v_lshlrev_b32_e32 v20, 16, v3
	v_cmp_o_f32_e32 vcc, v20, v20
	v_mov_b32_e32 v21, v3
	s_and_saveexec_b64 s[4:5], vcc
; %bb.126:
	v_cmp_lt_f32_e32 vcc, v19, v20
	v_cndmask_b32_e32 v21, v9, v3, vcc
	v_lshlrev_b32_e32 v20, 16, v21
; %bb.127:
	s_or_b64 exec, exec, s[4:5]
	v_mov_b32_e32 v19, v20
	v_mov_b32_e32 v9, v21
	s_or_b64 exec, exec, s[2:3]
	v_cmp_o_f32_e32 vcc, v19, v19
	s_and_saveexec_b64 s[2:3], vcc
	s_cbranch_execz .LBB116_19
.LBB116_128:
	s_waitcnt vmcnt(1)
	v_lshlrev_b32_e32 v20, 16, v2
	v_cmp_o_f32_e32 vcc, v20, v20
	v_mov_b32_e32 v21, v2
	s_and_saveexec_b64 s[4:5], vcc
; %bb.129:
	v_cmp_lt_f32_e32 vcc, v19, v20
	v_cndmask_b32_e32 v21, v9, v2, vcc
	v_lshlrev_b32_e32 v20, 16, v21
; %bb.130:
	s_or_b64 exec, exec, s[4:5]
	v_mov_b32_e32 v19, v20
	v_mov_b32_e32 v9, v21
	s_or_b64 exec, exec, s[2:3]
	v_cmp_o_f32_e32 vcc, v19, v19
	s_and_saveexec_b64 s[2:3], vcc
	s_cbranch_execz .LBB116_20
.LBB116_131:
	s_waitcnt vmcnt(0)
	v_lshlrev_b32_e32 v21, 16, v1
	v_cmp_o_f32_e32 vcc, v21, v21
	v_mov_b32_e32 v20, v1
	s_and_saveexec_b64 s[4:5], vcc
; %bb.132:
	v_cmp_lt_f32_e32 vcc, v19, v21
	v_cndmask_b32_e32 v20, v9, v1, vcc
; %bb.133:
	s_or_b64 exec, exec, s[4:5]
	v_mov_b32_e32 v9, v20
	s_or_b64 exec, exec, s[2:3]
	s_add_i32 s1, s42, 0x2000
	s_cmp_ge_i32 s1, s50
	s_cbranch_scc0 .LBB116_21
.LBB116_134:
	s_mov_b32 s2, s0
.LBB116_135:
	s_ashr_i32 s3, s2, 31
	s_sub_i32 s43, s50, s2
	s_lshl_b64 s[0:1], s[2:3], 1
	s_add_u32 s44, s36, s0
	s_addc_u32 s45, s37, s1
	v_cmp_gt_u32_e64 s[30:31], s43, v0
	s_and_saveexec_b64 s[0:1], s[30:31]
	s_cbranch_execz .LBB116_137
; %bb.136:
	global_load_ushort v17, v18, s[44:45]
.LBB116_137:
	s_or_b64 exec, exec, s[0:1]
	v_or_b32_e32 v19, 0x100, v0
	v_cmp_gt_u32_e64 s[28:29], s43, v19
	s_and_saveexec_b64 s[0:1], s[28:29]
	s_cbranch_execz .LBB116_139
; %bb.138:
	global_load_ushort v16, v18, s[44:45] offset:512
.LBB116_139:
	s_or_b64 exec, exec, s[0:1]
	v_or_b32_e32 v19, 0x200, v0
	v_cmp_gt_u32_e64 s[26:27], s43, v19
	s_and_saveexec_b64 s[0:1], s[26:27]
	s_cbranch_execz .LBB116_141
; %bb.140:
	global_load_ushort v15, v18, s[44:45] offset:1024
.LBB116_141:
	;; [unrolled: 8-line block ×7, first 2 shown]
	s_or_b64 exec, exec, s[0:1]
	v_or_b32_e32 v18, 0x800, v0
	v_cmp_gt_u32_e64 s[14:15], s43, v18
	s_and_saveexec_b64 s[0:1], s[14:15]
	s_cbranch_execz .LBB116_153
; %bb.152:
	s_waitcnt vmcnt(7)
	v_lshlrev_b32_e32 v8, 1, v18
	global_load_ushort v8, v8, s[44:45]
.LBB116_153:
	s_or_b64 exec, exec, s[0:1]
	v_or_b32_e32 v18, 0x900, v0
	v_cmp_gt_u32_e64 s[12:13], s43, v18
	s_and_saveexec_b64 s[0:1], s[12:13]
	s_cbranch_execz .LBB116_155
; %bb.154:
	s_waitcnt vmcnt(6)
	v_lshlrev_b32_e32 v7, 1, v18
	global_load_ushort v7, v7, s[44:45]
.LBB116_155:
	;; [unrolled: 10-line block ×7, first 2 shown]
	s_or_b64 exec, exec, s[46:47]
	v_or_b32_e32 v18, 0xf00, v0
	v_cmp_gt_u32_e32 vcc, s43, v18
	s_and_saveexec_b64 s[46:47], vcc
	s_cbranch_execnz .LBB116_182
; %bb.166:
	s_or_b64 exec, exec, s[46:47]
	s_and_saveexec_b64 s[44:45], s[30:31]
	s_cbranch_execnz .LBB116_183
.LBB116_167:
	s_or_b64 exec, exec, s[44:45]
	s_and_saveexec_b64 s[30:31], s[28:29]
	s_cbranch_execnz .LBB116_188
.LBB116_168:
	s_or_b64 exec, exec, s[30:31]
	s_and_saveexec_b64 s[28:29], s[26:27]
	s_cbranch_execnz .LBB116_193
.LBB116_169:
	s_or_b64 exec, exec, s[28:29]
	s_and_saveexec_b64 s[26:27], s[24:25]
	s_cbranch_execnz .LBB116_198
.LBB116_170:
	s_or_b64 exec, exec, s[26:27]
	s_and_saveexec_b64 s[24:25], s[22:23]
	s_cbranch_execnz .LBB116_203
.LBB116_171:
	s_or_b64 exec, exec, s[24:25]
	s_and_saveexec_b64 s[22:23], s[20:21]
	s_cbranch_execnz .LBB116_208
.LBB116_172:
	s_or_b64 exec, exec, s[22:23]
	s_and_saveexec_b64 s[20:21], s[18:19]
	s_cbranch_execnz .LBB116_213
.LBB116_173:
	s_or_b64 exec, exec, s[20:21]
	s_and_saveexec_b64 s[18:19], s[16:17]
	s_cbranch_execnz .LBB116_218
.LBB116_174:
	s_or_b64 exec, exec, s[18:19]
	s_and_saveexec_b64 s[16:17], s[14:15]
	s_cbranch_execnz .LBB116_223
.LBB116_175:
	s_or_b64 exec, exec, s[16:17]
	s_and_saveexec_b64 s[14:15], s[12:13]
	s_cbranch_execnz .LBB116_228
.LBB116_176:
	s_or_b64 exec, exec, s[14:15]
	s_and_saveexec_b64 s[12:13], s[10:11]
	s_cbranch_execnz .LBB116_233
.LBB116_177:
	s_or_b64 exec, exec, s[12:13]
	s_and_saveexec_b64 s[10:11], s[8:9]
	s_cbranch_execnz .LBB116_238
.LBB116_178:
	s_or_b64 exec, exec, s[10:11]
	s_and_saveexec_b64 s[8:9], s[4:5]
	s_cbranch_execnz .LBB116_243
.LBB116_179:
	s_or_b64 exec, exec, s[8:9]
	s_and_saveexec_b64 s[4:5], s[2:3]
	s_cbranch_execnz .LBB116_248
.LBB116_180:
	s_or_b64 exec, exec, s[4:5]
	s_and_saveexec_b64 s[2:3], s[0:1]
	s_cbranch_execnz .LBB116_253
.LBB116_181:
	s_or_b64 exec, exec, s[2:3]
	s_and_saveexec_b64 s[0:1], vcc
	s_cbranch_execnz .LBB116_258
	s_branch .LBB116_263
.LBB116_182:
	s_waitcnt vmcnt(0)
	v_lshlrev_b32_e32 v1, 1, v18
	global_load_ushort v1, v1, s[44:45]
	s_or_b64 exec, exec, s[46:47]
	s_and_saveexec_b64 s[44:45], s[30:31]
	s_cbranch_execz .LBB116_167
.LBB116_183:
	v_lshlrev_b32_e32 v18, 16, v9
	v_cmp_o_f32_e64 s[30:31], v18, v18
	s_and_saveexec_b64 s[46:47], s[30:31]
	s_cbranch_execz .LBB116_187
; %bb.184:
	s_waitcnt vmcnt(0)
	v_lshlrev_b32_e32 v19, 16, v17
	v_cmp_o_f32_e64 s[30:31], v19, v19
	s_and_saveexec_b64 s[48:49], s[30:31]
; %bb.185:
	v_cmp_lt_f32_e64 s[30:31], v18, v19
	v_cndmask_b32_e64 v17, v9, v17, s[30:31]
; %bb.186:
	s_or_b64 exec, exec, s[48:49]
	v_mov_b32_e32 v9, v17
.LBB116_187:
	s_or_b64 exec, exec, s[46:47]
	s_or_b64 exec, exec, s[44:45]
	s_and_saveexec_b64 s[30:31], s[28:29]
	s_cbranch_execz .LBB116_168
.LBB116_188:
	s_waitcnt vmcnt(0)
	v_lshlrev_b32_e32 v17, 16, v9
	v_cmp_o_f32_e64 s[28:29], v17, v17
	s_and_saveexec_b64 s[44:45], s[28:29]
	s_cbranch_execz .LBB116_192
; %bb.189:
	v_lshlrev_b32_e32 v18, 16, v16
	v_cmp_o_f32_e64 s[28:29], v18, v18
	s_and_saveexec_b64 s[46:47], s[28:29]
; %bb.190:
	v_cmp_lt_f32_e64 s[28:29], v17, v18
	v_cndmask_b32_e64 v16, v9, v16, s[28:29]
; %bb.191:
	s_or_b64 exec, exec, s[46:47]
	v_mov_b32_e32 v9, v16
.LBB116_192:
	s_or_b64 exec, exec, s[44:45]
	s_or_b64 exec, exec, s[30:31]
	s_and_saveexec_b64 s[28:29], s[26:27]
	s_cbranch_execz .LBB116_169
.LBB116_193:
	s_waitcnt vmcnt(0)
	v_lshlrev_b32_e32 v16, 16, v9
	v_cmp_o_f32_e64 s[26:27], v16, v16
	s_and_saveexec_b64 s[30:31], s[26:27]
	s_cbranch_execz .LBB116_197
; %bb.194:
	v_lshlrev_b32_e32 v17, 16, v15
	v_cmp_o_f32_e64 s[26:27], v17, v17
	s_and_saveexec_b64 s[44:45], s[26:27]
; %bb.195:
	v_cmp_lt_f32_e64 s[26:27], v16, v17
	v_cndmask_b32_e64 v15, v9, v15, s[26:27]
; %bb.196:
	s_or_b64 exec, exec, s[44:45]
	v_mov_b32_e32 v9, v15
.LBB116_197:
	s_or_b64 exec, exec, s[30:31]
	s_or_b64 exec, exec, s[28:29]
	s_and_saveexec_b64 s[26:27], s[24:25]
	s_cbranch_execz .LBB116_170
.LBB116_198:
	s_waitcnt vmcnt(0)
	v_lshlrev_b32_e32 v15, 16, v9
	v_cmp_o_f32_e64 s[24:25], v15, v15
	s_and_saveexec_b64 s[28:29], s[24:25]
	s_cbranch_execz .LBB116_202
; %bb.199:
	v_lshlrev_b32_e32 v16, 16, v14
	v_cmp_o_f32_e64 s[24:25], v16, v16
	s_and_saveexec_b64 s[30:31], s[24:25]
; %bb.200:
	v_cmp_lt_f32_e64 s[24:25], v15, v16
	v_cndmask_b32_e64 v14, v9, v14, s[24:25]
; %bb.201:
	s_or_b64 exec, exec, s[30:31]
	v_mov_b32_e32 v9, v14
.LBB116_202:
	s_or_b64 exec, exec, s[28:29]
	s_or_b64 exec, exec, s[26:27]
	s_and_saveexec_b64 s[24:25], s[22:23]
	s_cbranch_execz .LBB116_171
.LBB116_203:
	s_waitcnt vmcnt(0)
	v_lshlrev_b32_e32 v14, 16, v9
	v_cmp_o_f32_e64 s[22:23], v14, v14
	s_and_saveexec_b64 s[26:27], s[22:23]
	s_cbranch_execz .LBB116_207
; %bb.204:
	v_lshlrev_b32_e32 v15, 16, v13
	v_cmp_o_f32_e64 s[22:23], v15, v15
	s_and_saveexec_b64 s[28:29], s[22:23]
; %bb.205:
	v_cmp_lt_f32_e64 s[22:23], v14, v15
	v_cndmask_b32_e64 v13, v9, v13, s[22:23]
; %bb.206:
	s_or_b64 exec, exec, s[28:29]
	v_mov_b32_e32 v9, v13
.LBB116_207:
	s_or_b64 exec, exec, s[26:27]
	s_or_b64 exec, exec, s[24:25]
	s_and_saveexec_b64 s[22:23], s[20:21]
	s_cbranch_execz .LBB116_172
.LBB116_208:
	s_waitcnt vmcnt(0)
	v_lshlrev_b32_e32 v13, 16, v9
	v_cmp_o_f32_e64 s[20:21], v13, v13
	s_and_saveexec_b64 s[24:25], s[20:21]
	s_cbranch_execz .LBB116_212
; %bb.209:
	v_lshlrev_b32_e32 v14, 16, v12
	v_cmp_o_f32_e64 s[20:21], v14, v14
	s_and_saveexec_b64 s[26:27], s[20:21]
; %bb.210:
	v_cmp_lt_f32_e64 s[20:21], v13, v14
	v_cndmask_b32_e64 v12, v9, v12, s[20:21]
; %bb.211:
	s_or_b64 exec, exec, s[26:27]
	v_mov_b32_e32 v9, v12
.LBB116_212:
	s_or_b64 exec, exec, s[24:25]
	s_or_b64 exec, exec, s[22:23]
	s_and_saveexec_b64 s[20:21], s[18:19]
	s_cbranch_execz .LBB116_173
.LBB116_213:
	s_waitcnt vmcnt(0)
	v_lshlrev_b32_e32 v12, 16, v9
	v_cmp_o_f32_e64 s[18:19], v12, v12
	s_and_saveexec_b64 s[22:23], s[18:19]
	s_cbranch_execz .LBB116_217
; %bb.214:
	v_lshlrev_b32_e32 v13, 16, v11
	v_cmp_o_f32_e64 s[18:19], v13, v13
	s_and_saveexec_b64 s[24:25], s[18:19]
; %bb.215:
	v_cmp_lt_f32_e64 s[18:19], v12, v13
	v_cndmask_b32_e64 v11, v9, v11, s[18:19]
; %bb.216:
	s_or_b64 exec, exec, s[24:25]
	v_mov_b32_e32 v9, v11
.LBB116_217:
	s_or_b64 exec, exec, s[22:23]
	s_or_b64 exec, exec, s[20:21]
	s_and_saveexec_b64 s[18:19], s[16:17]
	s_cbranch_execz .LBB116_174
.LBB116_218:
	s_waitcnt vmcnt(0)
	v_lshlrev_b32_e32 v11, 16, v9
	v_cmp_o_f32_e64 s[16:17], v11, v11
	s_and_saveexec_b64 s[20:21], s[16:17]
	s_cbranch_execz .LBB116_222
; %bb.219:
	v_lshlrev_b32_e32 v12, 16, v10
	v_cmp_o_f32_e64 s[16:17], v12, v12
	s_and_saveexec_b64 s[22:23], s[16:17]
; %bb.220:
	v_cmp_lt_f32_e64 s[16:17], v11, v12
	v_cndmask_b32_e64 v10, v9, v10, s[16:17]
; %bb.221:
	s_or_b64 exec, exec, s[22:23]
	v_mov_b32_e32 v9, v10
.LBB116_222:
	s_or_b64 exec, exec, s[20:21]
	s_or_b64 exec, exec, s[18:19]
	s_and_saveexec_b64 s[16:17], s[14:15]
	s_cbranch_execz .LBB116_175
.LBB116_223:
	s_waitcnt vmcnt(0)
	v_lshlrev_b32_e32 v10, 16, v9
	v_cmp_o_f32_e64 s[14:15], v10, v10
	s_and_saveexec_b64 s[18:19], s[14:15]
	s_cbranch_execz .LBB116_227
; %bb.224:
	v_lshlrev_b32_e32 v11, 16, v8
	v_cmp_o_f32_e64 s[14:15], v11, v11
	s_and_saveexec_b64 s[20:21], s[14:15]
; %bb.225:
	v_cmp_lt_f32_e64 s[14:15], v10, v11
	v_cndmask_b32_e64 v8, v9, v8, s[14:15]
; %bb.226:
	s_or_b64 exec, exec, s[20:21]
	v_mov_b32_e32 v9, v8
.LBB116_227:
	s_or_b64 exec, exec, s[18:19]
	s_or_b64 exec, exec, s[16:17]
	s_and_saveexec_b64 s[14:15], s[12:13]
	s_cbranch_execz .LBB116_176
.LBB116_228:
	s_waitcnt vmcnt(0)
	v_lshlrev_b32_e32 v8, 16, v9
	v_cmp_o_f32_e64 s[12:13], v8, v8
	s_and_saveexec_b64 s[16:17], s[12:13]
	s_cbranch_execz .LBB116_232
; %bb.229:
	v_lshlrev_b32_e32 v10, 16, v7
	v_cmp_o_f32_e64 s[12:13], v10, v10
	s_and_saveexec_b64 s[18:19], s[12:13]
; %bb.230:
	v_cmp_lt_f32_e64 s[12:13], v8, v10
	v_cndmask_b32_e64 v7, v9, v7, s[12:13]
; %bb.231:
	s_or_b64 exec, exec, s[18:19]
	v_mov_b32_e32 v9, v7
.LBB116_232:
	s_or_b64 exec, exec, s[16:17]
	s_or_b64 exec, exec, s[14:15]
	s_and_saveexec_b64 s[12:13], s[10:11]
	s_cbranch_execz .LBB116_177
.LBB116_233:
	s_waitcnt vmcnt(0)
	v_lshlrev_b32_e32 v7, 16, v9
	v_cmp_o_f32_e64 s[10:11], v7, v7
	s_and_saveexec_b64 s[14:15], s[10:11]
	s_cbranch_execz .LBB116_237
; %bb.234:
	v_lshlrev_b32_e32 v8, 16, v6
	v_cmp_o_f32_e64 s[10:11], v8, v8
	s_and_saveexec_b64 s[16:17], s[10:11]
; %bb.235:
	v_cmp_lt_f32_e64 s[10:11], v7, v8
	v_cndmask_b32_e64 v6, v9, v6, s[10:11]
; %bb.236:
	s_or_b64 exec, exec, s[16:17]
	v_mov_b32_e32 v9, v6
.LBB116_237:
	s_or_b64 exec, exec, s[14:15]
	s_or_b64 exec, exec, s[12:13]
	s_and_saveexec_b64 s[10:11], s[8:9]
	s_cbranch_execz .LBB116_178
.LBB116_238:
	s_waitcnt vmcnt(0)
	v_lshlrev_b32_e32 v6, 16, v9
	v_cmp_o_f32_e64 s[8:9], v6, v6
	s_and_saveexec_b64 s[12:13], s[8:9]
	s_cbranch_execz .LBB116_242
; %bb.239:
	v_lshlrev_b32_e32 v7, 16, v5
	v_cmp_o_f32_e64 s[8:9], v7, v7
	s_and_saveexec_b64 s[14:15], s[8:9]
; %bb.240:
	v_cmp_lt_f32_e64 s[8:9], v6, v7
	v_cndmask_b32_e64 v5, v9, v5, s[8:9]
; %bb.241:
	s_or_b64 exec, exec, s[14:15]
	v_mov_b32_e32 v9, v5
.LBB116_242:
	s_or_b64 exec, exec, s[12:13]
	s_or_b64 exec, exec, s[10:11]
	s_and_saveexec_b64 s[8:9], s[4:5]
	s_cbranch_execz .LBB116_179
.LBB116_243:
	s_waitcnt vmcnt(0)
	v_lshlrev_b32_e32 v5, 16, v9
	v_cmp_o_f32_e64 s[4:5], v5, v5
	s_and_saveexec_b64 s[10:11], s[4:5]
	s_cbranch_execz .LBB116_247
; %bb.244:
	v_lshlrev_b32_e32 v6, 16, v4
	v_cmp_o_f32_e64 s[4:5], v6, v6
	s_and_saveexec_b64 s[12:13], s[4:5]
; %bb.245:
	v_cmp_lt_f32_e64 s[4:5], v5, v6
	v_cndmask_b32_e64 v4, v9, v4, s[4:5]
; %bb.246:
	s_or_b64 exec, exec, s[12:13]
	v_mov_b32_e32 v9, v4
.LBB116_247:
	s_or_b64 exec, exec, s[10:11]
	s_or_b64 exec, exec, s[8:9]
	s_and_saveexec_b64 s[4:5], s[2:3]
	s_cbranch_execz .LBB116_180
.LBB116_248:
	s_waitcnt vmcnt(0)
	v_lshlrev_b32_e32 v4, 16, v9
	v_cmp_o_f32_e64 s[2:3], v4, v4
	s_and_saveexec_b64 s[8:9], s[2:3]
	s_cbranch_execz .LBB116_252
; %bb.249:
	v_lshlrev_b32_e32 v5, 16, v3
	v_cmp_o_f32_e64 s[2:3], v5, v5
	s_and_saveexec_b64 s[10:11], s[2:3]
; %bb.250:
	v_cmp_lt_f32_e64 s[2:3], v4, v5
	v_cndmask_b32_e64 v3, v9, v3, s[2:3]
; %bb.251:
	s_or_b64 exec, exec, s[10:11]
	v_mov_b32_e32 v9, v3
.LBB116_252:
	s_or_b64 exec, exec, s[8:9]
	s_or_b64 exec, exec, s[4:5]
	s_and_saveexec_b64 s[2:3], s[0:1]
	s_cbranch_execz .LBB116_181
.LBB116_253:
	s_waitcnt vmcnt(0)
	v_lshlrev_b32_e32 v3, 16, v9
	v_cmp_o_f32_e64 s[0:1], v3, v3
	s_and_saveexec_b64 s[4:5], s[0:1]
	s_cbranch_execz .LBB116_257
; %bb.254:
	v_lshlrev_b32_e32 v4, 16, v2
	v_cmp_o_f32_e64 s[0:1], v4, v4
	s_and_saveexec_b64 s[8:9], s[0:1]
; %bb.255:
	v_cmp_lt_f32_e64 s[0:1], v3, v4
	v_cndmask_b32_e64 v2, v9, v2, s[0:1]
; %bb.256:
	s_or_b64 exec, exec, s[8:9]
	v_mov_b32_e32 v9, v2
.LBB116_257:
	s_or_b64 exec, exec, s[4:5]
	s_or_b64 exec, exec, s[2:3]
	s_and_saveexec_b64 s[0:1], vcc
	s_cbranch_execz .LBB116_263
.LBB116_258:
	s_waitcnt vmcnt(0)
	v_lshlrev_b32_e32 v2, 16, v9
	v_cmp_o_f32_e32 vcc, v2, v2
	s_and_saveexec_b64 s[2:3], vcc
	s_cbranch_execz .LBB116_262
; %bb.259:
	v_lshlrev_b32_e32 v3, 16, v1
	v_cmp_o_f32_e32 vcc, v3, v3
	s_and_saveexec_b64 s[4:5], vcc
; %bb.260:
	v_cmp_lt_f32_e32 vcc, v2, v3
	v_cndmask_b32_e32 v1, v9, v1, vcc
; %bb.261:
	s_or_b64 exec, exec, s[4:5]
	v_mov_b32_e32 v9, v1
.LBB116_262:
	s_or_b64 exec, exec, s[2:3]
.LBB116_263:
	s_or_b64 exec, exec, s[0:1]
	s_waitcnt vmcnt(0)
	v_and_b32_e32 v3, 0xffff, v9
	s_nop 1
	v_mov_b32_dpp v1, v3 quad_perm:[1,0,3,2] row_mask:0xf bank_mask:0xf bound_ctrl:1
	v_lshlrev_b32_e32 v2, 16, v1
	v_cmp_o_f32_e32 vcc, v2, v2
	s_and_saveexec_b64 s[0:1], vcc
	s_xor_b64 s[0:1], exec, s[0:1]
	s_cbranch_execz .LBB116_267
; %bb.264:
	v_lshlrev_b32_e32 v3, 16, v3
	v_cmp_o_f32_e32 vcc, v3, v3
	s_and_saveexec_b64 s[2:3], vcc
; %bb.265:
	v_cmp_lt_f32_e32 vcc, v2, v3
	v_cndmask_b32_e32 v9, v1, v9, vcc
; %bb.266:
	s_or_b64 exec, exec, s[2:3]
	v_mov_b32_e32 v1, v9
.LBB116_267:
	s_or_b64 exec, exec, s[0:1]
	v_and_b32_e32 v4, 0xffff, v1
	s_nop 1
	v_mov_b32_dpp v2, v4 quad_perm:[2,3,0,1] row_mask:0xf bank_mask:0xf bound_ctrl:1
	v_lshlrev_b32_e32 v3, 16, v2
	v_cmp_o_f32_e32 vcc, v3, v3
	s_and_saveexec_b64 s[0:1], vcc
	s_cbranch_execz .LBB116_271
; %bb.268:
	v_lshlrev_b32_e32 v4, 16, v4
	v_cmp_o_f32_e32 vcc, v4, v4
	s_and_saveexec_b64 s[2:3], vcc
; %bb.269:
	v_cmp_lt_f32_e32 vcc, v3, v4
	v_cndmask_b32_e32 v1, v2, v1, vcc
; %bb.270:
	s_or_b64 exec, exec, s[2:3]
	v_mov_b32_e32 v2, v1
.LBB116_271:
	s_or_b64 exec, exec, s[0:1]
	v_and_b32_e32 v4, 0xffff, v2
	s_nop 1
	v_mov_b32_dpp v1, v4 row_ror:4 row_mask:0xf bank_mask:0xf bound_ctrl:1
	v_lshlrev_b32_e32 v3, 16, v1
	v_cmp_o_f32_e32 vcc, v3, v3
	s_and_saveexec_b64 s[0:1], vcc
	s_cbranch_execz .LBB116_275
; %bb.272:
	v_lshlrev_b32_e32 v4, 16, v4
	v_cmp_o_f32_e32 vcc, v4, v4
	s_and_saveexec_b64 s[2:3], vcc
; %bb.273:
	v_cmp_lt_f32_e32 vcc, v3, v4
	v_cndmask_b32_e32 v2, v1, v2, vcc
; %bb.274:
	s_or_b64 exec, exec, s[2:3]
	v_mov_b32_e32 v1, v2
.LBB116_275:
	s_or_b64 exec, exec, s[0:1]
	v_and_b32_e32 v4, 0xffff, v1
	s_nop 1
	v_mov_b32_dpp v2, v4 row_ror:8 row_mask:0xf bank_mask:0xf bound_ctrl:1
	v_lshlrev_b32_e32 v3, 16, v2
	v_cmp_o_f32_e32 vcc, v3, v3
	s_and_saveexec_b64 s[0:1], vcc
	s_cbranch_execz .LBB116_279
; %bb.276:
	v_lshlrev_b32_e32 v4, 16, v4
	v_cmp_o_f32_e32 vcc, v4, v4
	s_and_saveexec_b64 s[2:3], vcc
; %bb.277:
	v_cmp_lt_f32_e32 vcc, v3, v4
	v_cndmask_b32_e32 v1, v2, v1, vcc
; %bb.278:
	s_or_b64 exec, exec, s[2:3]
	v_mov_b32_e32 v2, v1
.LBB116_279:
	s_or_b64 exec, exec, s[0:1]
	v_and_b32_e32 v4, 0xffff, v2
	s_nop 1
	v_mov_b32_dpp v1, v4 row_bcast:15 row_mask:0xf bank_mask:0xf bound_ctrl:1
	v_lshlrev_b32_e32 v3, 16, v1
	v_cmp_o_f32_e32 vcc, v3, v3
	s_and_saveexec_b64 s[0:1], vcc
	s_cbranch_execz .LBB116_283
; %bb.280:
	v_lshlrev_b32_e32 v4, 16, v4
	v_cmp_o_f32_e32 vcc, v4, v4
	s_and_saveexec_b64 s[2:3], vcc
; %bb.281:
	v_cmp_lt_f32_e32 vcc, v3, v4
	v_cndmask_b32_e32 v2, v1, v2, vcc
; %bb.282:
	s_or_b64 exec, exec, s[2:3]
	v_mov_b32_e32 v1, v2
.LBB116_283:
	s_or_b64 exec, exec, s[0:1]
	v_and_b32_e32 v4, 0xffff, v1
	s_nop 1
	v_mov_b32_dpp v3, v4 row_bcast:31 row_mask:0xf bank_mask:0xf bound_ctrl:1
	v_lshlrev_b32_e32 v2, 16, v3
	v_cmp_o_f32_e32 vcc, v2, v2
	s_and_saveexec_b64 s[0:1], vcc
	s_cbranch_execz .LBB116_287
; %bb.284:
	v_lshlrev_b32_e32 v4, 16, v4
	v_cmp_o_f32_e32 vcc, v4, v4
	s_and_saveexec_b64 s[2:3], vcc
; %bb.285:
	v_cmp_lt_f32_e32 vcc, v2, v4
	v_cndmask_b32_e32 v1, v3, v1, vcc
; %bb.286:
	s_or_b64 exec, exec, s[2:3]
	v_mov_b32_e32 v3, v1
.LBB116_287:
	s_or_b64 exec, exec, s[0:1]
	v_mbcnt_lo_u32_b32 v1, -1, 0
	v_mbcnt_hi_u32_b32 v2, -1, v1
	v_lshlrev_b32_e32 v1, 2, v2
	v_or_b32_e32 v4, 0xfc, v1
	v_and_b32_e32 v3, 0xffff, v3
	ds_bpermute_b32 v3, v4, v3
	v_cmp_eq_u32_e32 vcc, 0, v2
	s_and_saveexec_b64 s[0:1], vcc
	s_cbranch_execz .LBB116_289
; %bb.288:
	v_lshrrev_b32_e32 v4, 5, v0
	v_and_b32_e32 v4, 6, v4
	s_waitcnt lgkmcnt(0)
	ds_write_b16 v4, v3
.LBB116_289:
	s_or_b64 exec, exec, s[0:1]
	v_cmp_gt_u32_e32 vcc, 64, v0
	s_waitcnt lgkmcnt(0)
	s_barrier
	s_and_saveexec_b64 s[0:1], vcc
	s_cbranch_execz .LBB116_299
; %bb.290:
	v_and_b32_e32 v4, 3, v2
	v_lshlrev_b32_e32 v3, 1, v4
	ds_read_u16 v3, v3
	v_cmp_ne_u32_e32 vcc, 3, v4
	v_addc_co_u32_e32 v2, vcc, 0, v2, vcc
	v_lshlrev_b32_e32 v2, 2, v2
	s_waitcnt lgkmcnt(0)
	v_and_b32_e32 v4, 0xffff, v3
	ds_bpermute_b32 v2, v2, v4
	v_lshlrev_b32_e32 v4, 16, v3
	v_cmp_o_f32_e32 vcc, v4, v4
	s_and_saveexec_b64 s[2:3], vcc
	s_cbranch_execz .LBB116_294
; %bb.291:
	s_waitcnt lgkmcnt(0)
	v_lshlrev_b32_e32 v5, 16, v2
	v_cmp_o_f32_e32 vcc, v5, v5
	s_and_saveexec_b64 s[4:5], vcc
; %bb.292:
	v_cmp_lt_f32_e32 vcc, v4, v5
	v_cndmask_b32_e32 v2, v3, v2, vcc
; %bb.293:
	s_or_b64 exec, exec, s[4:5]
	v_mov_b32_e32 v3, v2
.LBB116_294:
	s_or_b64 exec, exec, s[2:3]
	v_or_b32_e32 v1, 8, v1
	s_waitcnt lgkmcnt(0)
	v_and_b32_e32 v2, 0xffff, v3
	ds_bpermute_b32 v1, v1, v2
	v_lshlrev_b32_e32 v2, 16, v3
	v_cmp_o_f32_e32 vcc, v2, v2
	s_and_saveexec_b64 s[2:3], vcc
	s_cbranch_execz .LBB116_298
; %bb.295:
	s_waitcnt lgkmcnt(0)
	v_lshlrev_b32_e32 v4, 16, v1
	v_cmp_o_f32_e32 vcc, v4, v4
	s_and_saveexec_b64 s[4:5], vcc
; %bb.296:
	v_cmp_lt_f32_e32 vcc, v2, v4
	v_cndmask_b32_e32 v1, v3, v1, vcc
; %bb.297:
	s_or_b64 exec, exec, s[4:5]
	v_mov_b32_e32 v3, v1
.LBB116_298:
	s_or_b64 exec, exec, s[2:3]
.LBB116_299:
	s_or_b64 exec, exec, s[0:1]
	s_branch .LBB116_402
.LBB116_300:
	s_sub_i32 s12, s50, s42
	v_cmp_gt_u32_e32 vcc, s12, v0
                                        ; implicit-def: $vgpr4
	s_and_saveexec_b64 s[0:1], vcc
	s_cbranch_execz .LBB116_310
; %bb.301:
	s_waitcnt lgkmcnt(0)
	v_add_u32_e32 v1, s42, v0
	v_ashrrev_i32_e32 v2, 31, v1
	v_lshlrev_b64 v[2:3], 1, v[1:2]
	v_mov_b32_e32 v4, s37
	v_add_co_u32_e32 v2, vcc, s36, v2
	v_addc_co_u32_e32 v3, vcc, v4, v3, vcc
	global_load_ushort v4, v[2:3], off
	v_add_u32_e32 v1, 0x100, v1
	v_cmp_gt_i32_e32 vcc, s50, v1
	s_and_saveexec_b64 s[2:3], vcc
	s_cbranch_execz .LBB116_309
; %bb.302:
	s_mov_b64 s[4:5], 0
	s_branch .LBB116_305
.LBB116_303:                            ;   in Loop: Header=BB116_305 Depth=1
	s_or_b64 exec, exec, s[10:11]
	v_mov_b32_e32 v4, v2
.LBB116_304:                            ;   in Loop: Header=BB116_305 Depth=1
	s_or_b64 exec, exec, s[8:9]
	v_add_u32_e32 v1, 0x100, v1
	v_cmp_le_i32_e32 vcc, s50, v1
	s_or_b64 s[4:5], vcc, s[4:5]
	s_andn2_b64 exec, exec, s[4:5]
	s_cbranch_execz .LBB116_308
.LBB116_305:                            ; =>This Inner Loop Header: Depth=1
	s_waitcnt vmcnt(0)
	v_lshlrev_b32_e32 v3, 16, v4
	v_cmp_o_f32_e32 vcc, v3, v3
	s_and_saveexec_b64 s[8:9], vcc
	s_cbranch_execz .LBB116_304
; %bb.306:                              ;   in Loop: Header=BB116_305 Depth=1
	v_ashrrev_i32_e32 v2, 31, v1
	v_lshlrev_b64 v[5:6], 1, v[1:2]
	v_mov_b32_e32 v2, s37
	v_add_co_u32_e32 v5, vcc, s36, v5
	v_addc_co_u32_e32 v6, vcc, v2, v6, vcc
	global_load_ushort v2, v[5:6], off
	s_waitcnt vmcnt(0)
	v_lshlrev_b32_e32 v5, 16, v2
	v_cmp_o_f32_e32 vcc, v5, v5
	s_and_saveexec_b64 s[10:11], vcc
	s_cbranch_execz .LBB116_303
; %bb.307:                              ;   in Loop: Header=BB116_305 Depth=1
	v_cmp_lt_f32_e32 vcc, v3, v5
	v_cndmask_b32_e32 v2, v4, v2, vcc
	s_branch .LBB116_303
.LBB116_308:
	s_or_b64 exec, exec, s[4:5]
.LBB116_309:
	s_or_b64 exec, exec, s[2:3]
.LBB116_310:
	s_or_b64 exec, exec, s[0:1]
	s_waitcnt lgkmcnt(0)
	v_mbcnt_lo_u32_b32 v1, -1, 0
	s_cmpk_lt_u32 s12, 0x100
	v_lshrrev_b32_e32 v2, 6, v0
	v_mbcnt_hi_u32_b32 v1, -1, v1
	s_cbranch_scc0 .LBB116_364
; %bb.311:
	v_and_b32_e32 v5, 63, v1
	v_cmp_ne_u32_e32 vcc, 63, v5
	v_addc_co_u32_e32 v6, vcc, 0, v1, vcc
	v_lshlrev_b32_e32 v6, 2, v6
	s_waitcnt vmcnt(0)
	v_and_b32_e32 v7, 0xffff, v4
	ds_bpermute_b32 v8, v6, v7
	v_and_b32_e32 v3, 0xc0, v0
	v_sub_u32_e64 v6, s12, v3 clamp
	v_add_u32_e32 v3, 1, v5
	v_cmp_lt_u32_e32 vcc, v3, v6
	v_mov_b32_e32 v3, v4
	s_and_saveexec_b64 s[0:1], vcc
	s_cbranch_execz .LBB116_317
; %bb.312:
	v_lshlrev_b32_e32 v7, 16, v7
	v_cmp_o_f32_e32 vcc, v7, v7
	v_mov_b32_e32 v3, v4
	s_and_saveexec_b64 s[2:3], vcc
	s_cbranch_execz .LBB116_316
; %bb.313:
	s_waitcnt lgkmcnt(0)
	v_lshlrev_b32_e32 v3, 16, v8
	v_cmp_o_f32_e32 vcc, v3, v3
	s_and_saveexec_b64 s[4:5], vcc
; %bb.314:
	v_cmp_lt_f32_e32 vcc, v7, v3
	v_cndmask_b32_e32 v8, v4, v8, vcc
; %bb.315:
	s_or_b64 exec, exec, s[4:5]
	v_mov_b32_e32 v3, v8
.LBB116_316:
	s_or_b64 exec, exec, s[2:3]
	v_and_b32_e32 v7, 0xffff, v3
.LBB116_317:
	s_or_b64 exec, exec, s[0:1]
	v_cmp_gt_u32_e32 vcc, 62, v5
	s_waitcnt lgkmcnt(0)
	v_cndmask_b32_e64 v8, 0, 2, vcc
	v_add_lshl_u32 v8, v8, v1, 2
	ds_bpermute_b32 v8, v8, v7
	v_add_u32_e32 v9, 2, v5
	v_cmp_lt_u32_e32 vcc, v9, v6
	s_and_saveexec_b64 s[0:1], vcc
	s_cbranch_execz .LBB116_323
; %bb.318:
	v_lshlrev_b32_e32 v7, 16, v7
	v_cmp_o_f32_e32 vcc, v7, v7
	s_and_saveexec_b64 s[2:3], vcc
	s_cbranch_execz .LBB116_322
; %bb.319:
	s_waitcnt lgkmcnt(0)
	v_lshlrev_b32_e32 v9, 16, v8
	v_cmp_o_f32_e32 vcc, v9, v9
	s_and_saveexec_b64 s[4:5], vcc
; %bb.320:
	v_cmp_lt_f32_e32 vcc, v7, v9
	v_cndmask_b32_e32 v8, v3, v8, vcc
; %bb.321:
	s_or_b64 exec, exec, s[4:5]
	v_mov_b32_e32 v3, v8
.LBB116_322:
	s_or_b64 exec, exec, s[2:3]
	v_and_b32_e32 v7, 0xffff, v3
.LBB116_323:
	s_or_b64 exec, exec, s[0:1]
	v_cmp_gt_u32_e32 vcc, 60, v5
	s_waitcnt lgkmcnt(0)
	v_cndmask_b32_e64 v8, 0, 4, vcc
	v_add_lshl_u32 v8, v8, v1, 2
	ds_bpermute_b32 v8, v8, v7
	v_add_u32_e32 v9, 4, v5
	v_cmp_lt_u32_e32 vcc, v9, v6
	s_and_saveexec_b64 s[0:1], vcc
	s_cbranch_execz .LBB116_329
; %bb.324:
	v_lshlrev_b32_e32 v7, 16, v7
	v_cmp_o_f32_e32 vcc, v7, v7
	s_and_saveexec_b64 s[2:3], vcc
	s_cbranch_execz .LBB116_328
; %bb.325:
	s_waitcnt lgkmcnt(0)
	v_lshlrev_b32_e32 v9, 16, v8
	v_cmp_o_f32_e32 vcc, v9, v9
	s_and_saveexec_b64 s[4:5], vcc
; %bb.326:
	v_cmp_lt_f32_e32 vcc, v7, v9
	v_cndmask_b32_e32 v8, v3, v8, vcc
; %bb.327:
	s_or_b64 exec, exec, s[4:5]
	v_mov_b32_e32 v3, v8
.LBB116_328:
	s_or_b64 exec, exec, s[2:3]
	v_and_b32_e32 v7, 0xffff, v3
.LBB116_329:
	;; [unrolled: 30-line block ×4, first 2 shown]
	s_or_b64 exec, exec, s[0:1]
	s_waitcnt lgkmcnt(0)
	v_lshlrev_b32_e32 v8, 2, v1
	v_or_b32_e32 v9, 0x80, v8
	ds_bpermute_b32 v9, v9, v7
	v_add_u32_e32 v5, 32, v5
	v_cmp_lt_u32_e32 vcc, v5, v6
	s_and_saveexec_b64 s[0:1], vcc
	s_cbranch_execz .LBB116_347
; %bb.342:
	v_lshlrev_b32_e32 v5, 16, v7
	v_cmp_o_f32_e32 vcc, v5, v5
	s_and_saveexec_b64 s[2:3], vcc
	s_cbranch_execz .LBB116_346
; %bb.343:
	s_waitcnt lgkmcnt(0)
	v_lshlrev_b32_e32 v6, 16, v9
	v_cmp_o_f32_e32 vcc, v6, v6
	s_and_saveexec_b64 s[4:5], vcc
; %bb.344:
	v_cmp_lt_f32_e32 vcc, v5, v6
	v_cndmask_b32_e32 v9, v3, v9, vcc
; %bb.345:
	s_or_b64 exec, exec, s[4:5]
	v_mov_b32_e32 v3, v9
.LBB116_346:
	s_or_b64 exec, exec, s[2:3]
.LBB116_347:
	s_or_b64 exec, exec, s[0:1]
	v_cmp_eq_u32_e32 vcc, 0, v1
	s_and_saveexec_b64 s[0:1], vcc
; %bb.348:
	v_lshlrev_b32_e32 v5, 1, v2
	ds_write_b16 v5, v3
; %bb.349:
	s_or_b64 exec, exec, s[0:1]
	v_cmp_gt_u32_e32 vcc, 4, v0
	s_waitcnt lgkmcnt(0)
	s_barrier
	s_and_saveexec_b64 s[0:1], vcc
	s_cbranch_execz .LBB116_363
; %bb.350:
	v_lshlrev_b32_e32 v3, 1, v1
	ds_read_u16 v3, v3
	v_and_b32_e32 v5, 3, v1
	v_cmp_ne_u32_e32 vcc, 3, v5
	v_addc_co_u32_e32 v6, vcc, 0, v1, vcc
	v_lshlrev_b32_e32 v6, 2, v6
	s_waitcnt lgkmcnt(0)
	v_and_b32_e32 v7, 0xffff, v3
	ds_bpermute_b32 v6, v6, v7
	s_add_i32 s12, s12, 63
	s_lshr_b32 s10, s12, 6
	v_add_u32_e32 v9, 1, v5
	v_cmp_gt_u32_e32 vcc, s10, v9
	s_and_saveexec_b64 s[2:3], vcc
	s_cbranch_execz .LBB116_356
; %bb.351:
	v_lshlrev_b32_e32 v7, 16, v7
	v_cmp_o_f32_e32 vcc, v7, v7
	s_and_saveexec_b64 s[4:5], vcc
	s_cbranch_execz .LBB116_355
; %bb.352:
	s_waitcnt lgkmcnt(0)
	v_lshlrev_b32_e32 v9, 16, v6
	v_cmp_o_f32_e32 vcc, v9, v9
	s_and_saveexec_b64 s[8:9], vcc
; %bb.353:
	v_cmp_lt_f32_e32 vcc, v7, v9
	v_cndmask_b32_e32 v6, v3, v6, vcc
; %bb.354:
	s_or_b64 exec, exec, s[8:9]
	v_mov_b32_e32 v3, v6
.LBB116_355:
	s_or_b64 exec, exec, s[4:5]
	v_and_b32_e32 v7, 0xffff, v3
.LBB116_356:
	s_or_b64 exec, exec, s[2:3]
	s_waitcnt lgkmcnt(0)
	v_or_b32_e32 v6, 8, v8
	ds_bpermute_b32 v6, v6, v7
	v_add_u32_e32 v5, 2, v5
	v_cmp_gt_u32_e32 vcc, s10, v5
	s_and_saveexec_b64 s[2:3], vcc
	s_cbranch_execz .LBB116_362
; %bb.357:
	v_lshlrev_b32_e32 v5, 16, v7
	v_cmp_o_f32_e32 vcc, v5, v5
	s_and_saveexec_b64 s[4:5], vcc
	s_cbranch_execz .LBB116_361
; %bb.358:
	s_waitcnt lgkmcnt(0)
	v_lshlrev_b32_e32 v7, 16, v6
	v_cmp_o_f32_e32 vcc, v7, v7
	s_and_saveexec_b64 s[8:9], vcc
; %bb.359:
	v_cmp_lt_f32_e32 vcc, v5, v7
	v_cndmask_b32_e32 v6, v3, v6, vcc
; %bb.360:
	s_or_b64 exec, exec, s[8:9]
	v_mov_b32_e32 v3, v6
.LBB116_361:
	s_or_b64 exec, exec, s[4:5]
.LBB116_362:
	s_or_b64 exec, exec, s[2:3]
.LBB116_363:
	s_or_b64 exec, exec, s[0:1]
	s_branch .LBB116_402
.LBB116_364:
                                        ; implicit-def: $vgpr3
	s_cbranch_execz .LBB116_402
; %bb.365:
	s_waitcnt vmcnt(0) lgkmcnt(0)
	v_and_b32_e32 v6, 0xffff, v4
	s_nop 1
	v_mov_b32_dpp v3, v6 quad_perm:[1,0,3,2] row_mask:0xf bank_mask:0xf bound_ctrl:1
	v_lshlrev_b32_e32 v5, 16, v3
	v_cmp_o_f32_e32 vcc, v5, v5
	s_and_saveexec_b64 s[0:1], vcc
	s_cbranch_execz .LBB116_369
; %bb.366:
	v_lshlrev_b32_e32 v6, 16, v6
	v_cmp_o_f32_e32 vcc, v6, v6
	s_and_saveexec_b64 s[2:3], vcc
; %bb.367:
	v_cmp_lt_f32_e32 vcc, v5, v6
	v_cndmask_b32_e32 v4, v3, v4, vcc
; %bb.368:
	s_or_b64 exec, exec, s[2:3]
	v_mov_b32_e32 v3, v4
.LBB116_369:
	s_or_b64 exec, exec, s[0:1]
	v_and_b32_e32 v6, 0xffff, v3
	s_nop 1
	v_mov_b32_dpp v4, v6 quad_perm:[2,3,0,1] row_mask:0xf bank_mask:0xf bound_ctrl:1
	v_lshlrev_b32_e32 v5, 16, v4
	v_cmp_o_f32_e32 vcc, v5, v5
	s_and_saveexec_b64 s[0:1], vcc
	s_cbranch_execz .LBB116_373
; %bb.370:
	v_lshlrev_b32_e32 v6, 16, v6
	v_cmp_o_f32_e32 vcc, v6, v6
	s_and_saveexec_b64 s[2:3], vcc
; %bb.371:
	v_cmp_lt_f32_e32 vcc, v5, v6
	v_cndmask_b32_e32 v3, v4, v3, vcc
; %bb.372:
	s_or_b64 exec, exec, s[2:3]
	v_mov_b32_e32 v4, v3
.LBB116_373:
	s_or_b64 exec, exec, s[0:1]
	v_and_b32_e32 v6, 0xffff, v4
	s_nop 1
	v_mov_b32_dpp v3, v6 row_ror:4 row_mask:0xf bank_mask:0xf bound_ctrl:1
	v_lshlrev_b32_e32 v5, 16, v3
	v_cmp_o_f32_e32 vcc, v5, v5
	s_and_saveexec_b64 s[0:1], vcc
	s_cbranch_execz .LBB116_377
; %bb.374:
	v_lshlrev_b32_e32 v6, 16, v6
	v_cmp_o_f32_e32 vcc, v6, v6
	s_and_saveexec_b64 s[2:3], vcc
; %bb.375:
	v_cmp_lt_f32_e32 vcc, v5, v6
	v_cndmask_b32_e32 v4, v3, v4, vcc
; %bb.376:
	s_or_b64 exec, exec, s[2:3]
	v_mov_b32_e32 v3, v4
.LBB116_377:
	s_or_b64 exec, exec, s[0:1]
	v_and_b32_e32 v6, 0xffff, v3
	s_nop 1
	v_mov_b32_dpp v4, v6 row_ror:8 row_mask:0xf bank_mask:0xf bound_ctrl:1
	v_lshlrev_b32_e32 v5, 16, v4
	v_cmp_o_f32_e32 vcc, v5, v5
	s_and_saveexec_b64 s[0:1], vcc
	s_cbranch_execz .LBB116_381
; %bb.378:
	v_lshlrev_b32_e32 v6, 16, v6
	v_cmp_o_f32_e32 vcc, v6, v6
	s_and_saveexec_b64 s[2:3], vcc
; %bb.379:
	v_cmp_lt_f32_e32 vcc, v5, v6
	v_cndmask_b32_e32 v3, v4, v3, vcc
; %bb.380:
	s_or_b64 exec, exec, s[2:3]
	v_mov_b32_e32 v4, v3
.LBB116_381:
	s_or_b64 exec, exec, s[0:1]
	v_and_b32_e32 v6, 0xffff, v4
	s_nop 1
	v_mov_b32_dpp v3, v6 row_bcast:15 row_mask:0xf bank_mask:0xf bound_ctrl:1
	v_lshlrev_b32_e32 v5, 16, v3
	v_cmp_o_f32_e32 vcc, v5, v5
	s_and_saveexec_b64 s[0:1], vcc
	s_cbranch_execz .LBB116_385
; %bb.382:
	v_lshlrev_b32_e32 v6, 16, v6
	v_cmp_o_f32_e32 vcc, v6, v6
	s_and_saveexec_b64 s[2:3], vcc
; %bb.383:
	v_cmp_lt_f32_e32 vcc, v5, v6
	v_cndmask_b32_e32 v4, v3, v4, vcc
; %bb.384:
	s_or_b64 exec, exec, s[2:3]
	v_mov_b32_e32 v3, v4
.LBB116_385:
	s_or_b64 exec, exec, s[0:1]
	v_and_b32_e32 v6, 0xffff, v3
	s_nop 1
	v_mov_b32_dpp v5, v6 row_bcast:31 row_mask:0xf bank_mask:0xf bound_ctrl:1
	v_lshlrev_b32_e32 v4, 16, v5
	v_cmp_o_f32_e32 vcc, v4, v4
	s_and_saveexec_b64 s[0:1], vcc
	s_cbranch_execz .LBB116_389
; %bb.386:
	v_lshlrev_b32_e32 v6, 16, v6
	v_cmp_o_f32_e32 vcc, v6, v6
	s_and_saveexec_b64 s[2:3], vcc
; %bb.387:
	v_cmp_lt_f32_e32 vcc, v4, v6
	v_cndmask_b32_e32 v3, v5, v3, vcc
; %bb.388:
	s_or_b64 exec, exec, s[2:3]
	v_mov_b32_e32 v5, v3
.LBB116_389:
	s_or_b64 exec, exec, s[0:1]
	v_lshlrev_b32_e32 v4, 2, v1
	v_or_b32_e32 v3, 0xfc, v4
	v_and_b32_e32 v5, 0xffff, v5
	ds_bpermute_b32 v3, v3, v5
	v_cmp_eq_u32_e32 vcc, 0, v1
	s_and_saveexec_b64 s[0:1], vcc
	s_cbranch_execz .LBB116_391
; %bb.390:
	v_lshlrev_b32_e32 v2, 1, v2
	s_waitcnt lgkmcnt(0)
	ds_write_b16 v2, v3
.LBB116_391:
	s_or_b64 exec, exec, s[0:1]
	v_cmp_gt_u32_e32 vcc, 64, v0
	s_waitcnt lgkmcnt(0)
	s_barrier
	s_and_saveexec_b64 s[0:1], vcc
	s_cbranch_execz .LBB116_401
; %bb.392:
	v_and_b32_e32 v2, 3, v1
	v_lshlrev_b32_e32 v3, 1, v2
	ds_read_u16 v3, v3
	v_cmp_ne_u32_e32 vcc, 3, v2
	v_addc_co_u32_e32 v1, vcc, 0, v1, vcc
	v_lshlrev_b32_e32 v1, 2, v1
	s_waitcnt lgkmcnt(0)
	v_and_b32_e32 v2, 0xffff, v3
	ds_bpermute_b32 v1, v1, v2
	v_lshlrev_b32_e32 v2, 16, v3
	v_cmp_o_f32_e32 vcc, v2, v2
	s_and_saveexec_b64 s[2:3], vcc
	s_cbranch_execz .LBB116_396
; %bb.393:
	s_waitcnt lgkmcnt(0)
	v_lshlrev_b32_e32 v5, 16, v1
	v_cmp_o_f32_e32 vcc, v5, v5
	s_and_saveexec_b64 s[4:5], vcc
; %bb.394:
	v_cmp_lt_f32_e32 vcc, v2, v5
	v_cndmask_b32_e32 v1, v3, v1, vcc
; %bb.395:
	s_or_b64 exec, exec, s[4:5]
	v_mov_b32_e32 v3, v1
.LBB116_396:
	s_or_b64 exec, exec, s[2:3]
	s_waitcnt lgkmcnt(0)
	v_or_b32_e32 v1, 8, v4
	v_and_b32_e32 v2, 0xffff, v3
	ds_bpermute_b32 v1, v1, v2
	v_lshlrev_b32_e32 v2, 16, v3
	v_cmp_o_f32_e32 vcc, v2, v2
	s_and_saveexec_b64 s[2:3], vcc
	s_cbranch_execz .LBB116_400
; %bb.397:
	s_waitcnt lgkmcnt(0)
	v_lshlrev_b32_e32 v4, 16, v1
	v_cmp_o_f32_e32 vcc, v4, v4
	s_and_saveexec_b64 s[4:5], vcc
; %bb.398:
	v_cmp_lt_f32_e32 vcc, v2, v4
	v_cndmask_b32_e32 v1, v3, v1, vcc
; %bb.399:
	s_or_b64 exec, exec, s[4:5]
	v_mov_b32_e32 v3, v1
.LBB116_400:
	s_or_b64 exec, exec, s[2:3]
.LBB116_401:
	s_or_b64 exec, exec, s[0:1]
.LBB116_402:
	v_cmp_eq_u32_e32 vcc, 0, v0
                                        ; implicit-def: $vgpr1
	s_and_saveexec_b64 s[0:1], vcc
	s_cbranch_execz .LBB116_408
; %bb.403:
	s_lshl_b32 s4, s33, 16
	v_cmp_u_f32_e64 s[2:3], s4, s4
	s_and_b64 vcc, exec, s[2:3]
	s_waitcnt lgkmcnt(0)
	v_mov_b32_e32 v1, s33
	s_cbranch_vccnz .LBB116_407
; %bb.404:
	v_lshlrev_b32_e32 v0, 16, v3
	v_cmp_o_f32_e32 vcc, v0, v0
	s_and_saveexec_b64 s[2:3], vcc
; %bb.405:
	v_mov_b32_e32 v1, s33
	v_cmp_lt_f32_e32 vcc, s4, v0
	v_cndmask_b32_e32 v3, v1, v3, vcc
; %bb.406:
	s_or_b64 exec, exec, s[2:3]
	v_mov_b32_e32 v1, v3
.LBB116_407:
	s_or_b64 s[34:35], s[34:35], exec
.LBB116_408:
	s_or_b64 exec, exec, s[0:1]
	s_and_saveexec_b64 s[0:1], s[34:35]
	s_cbranch_execz .LBB116_410
.LBB116_409:
	s_lshl_b64 s[0:1], s[40:41], 1
	s_add_u32 s2, s38, s0
	s_addc_u32 s3, s39, s1
	s_lshl_b64 s[0:1], s[6:7], 1
	s_add_u32 s0, s2, s0
	s_addc_u32 s1, s3, s1
	v_mov_b32_e32 v0, 0
	s_waitcnt lgkmcnt(0)
	global_store_short v0, v1, s[0:1]
.LBB116_410:
	s_endpgm
	.section	.rodata,"a",@progbits
	.p2align	6, 0x0
	.amdhsa_kernel _ZN7rocprim17ROCPRIM_400000_NS6detail17trampoline_kernelINS0_14default_configENS1_32segmented_reduce_config_selectorIN3c108BFloat16EEEZNS1_21segmented_reduce_implIS3_PKS6_PS6_PKiS6_N6hipcub16HIPCUB_304000_NS6detail27convert_result_type_wrapperISA_SB_N2at6native12_GLOBAL__N_19CustomMaxEEEEE10hipError_tPvRmT0_T1_jT2_SS_T4_T3_P12ihipStream_tbEUlT_E_NS1_11comp_targetILNS1_3genE2ELNS1_11target_archE906ELNS1_3gpuE6ELNS1_3repE0EEENS1_30default_config_static_selectorELNS0_4arch9wavefront6targetE1EEEvSR_
		.amdhsa_group_segment_fixed_size 8
		.amdhsa_private_segment_fixed_size 0
		.amdhsa_kernarg_size 48
		.amdhsa_user_sgpr_count 6
		.amdhsa_user_sgpr_private_segment_buffer 1
		.amdhsa_user_sgpr_dispatch_ptr 0
		.amdhsa_user_sgpr_queue_ptr 0
		.amdhsa_user_sgpr_kernarg_segment_ptr 1
		.amdhsa_user_sgpr_dispatch_id 0
		.amdhsa_user_sgpr_flat_scratch_init 0
		.amdhsa_user_sgpr_private_segment_size 0
		.amdhsa_uses_dynamic_stack 0
		.amdhsa_system_sgpr_private_segment_wavefront_offset 0
		.amdhsa_system_sgpr_workgroup_id_x 1
		.amdhsa_system_sgpr_workgroup_id_y 0
		.amdhsa_system_sgpr_workgroup_id_z 0
		.amdhsa_system_sgpr_workgroup_info 0
		.amdhsa_system_vgpr_workitem_id 0
		.amdhsa_next_free_vgpr 24
		.amdhsa_next_free_sgpr 51
		.amdhsa_reserve_vcc 1
		.amdhsa_reserve_flat_scratch 0
		.amdhsa_float_round_mode_32 0
		.amdhsa_float_round_mode_16_64 0
		.amdhsa_float_denorm_mode_32 3
		.amdhsa_float_denorm_mode_16_64 3
		.amdhsa_dx10_clamp 1
		.amdhsa_ieee_mode 1
		.amdhsa_fp16_overflow 0
		.amdhsa_exception_fp_ieee_invalid_op 0
		.amdhsa_exception_fp_denorm_src 0
		.amdhsa_exception_fp_ieee_div_zero 0
		.amdhsa_exception_fp_ieee_overflow 0
		.amdhsa_exception_fp_ieee_underflow 0
		.amdhsa_exception_fp_ieee_inexact 0
		.amdhsa_exception_int_div_zero 0
	.end_amdhsa_kernel
	.section	.text._ZN7rocprim17ROCPRIM_400000_NS6detail17trampoline_kernelINS0_14default_configENS1_32segmented_reduce_config_selectorIN3c108BFloat16EEEZNS1_21segmented_reduce_implIS3_PKS6_PS6_PKiS6_N6hipcub16HIPCUB_304000_NS6detail27convert_result_type_wrapperISA_SB_N2at6native12_GLOBAL__N_19CustomMaxEEEEE10hipError_tPvRmT0_T1_jT2_SS_T4_T3_P12ihipStream_tbEUlT_E_NS1_11comp_targetILNS1_3genE2ELNS1_11target_archE906ELNS1_3gpuE6ELNS1_3repE0EEENS1_30default_config_static_selectorELNS0_4arch9wavefront6targetE1EEEvSR_,"axG",@progbits,_ZN7rocprim17ROCPRIM_400000_NS6detail17trampoline_kernelINS0_14default_configENS1_32segmented_reduce_config_selectorIN3c108BFloat16EEEZNS1_21segmented_reduce_implIS3_PKS6_PS6_PKiS6_N6hipcub16HIPCUB_304000_NS6detail27convert_result_type_wrapperISA_SB_N2at6native12_GLOBAL__N_19CustomMaxEEEEE10hipError_tPvRmT0_T1_jT2_SS_T4_T3_P12ihipStream_tbEUlT_E_NS1_11comp_targetILNS1_3genE2ELNS1_11target_archE906ELNS1_3gpuE6ELNS1_3repE0EEENS1_30default_config_static_selectorELNS0_4arch9wavefront6targetE1EEEvSR_,comdat
.Lfunc_end116:
	.size	_ZN7rocprim17ROCPRIM_400000_NS6detail17trampoline_kernelINS0_14default_configENS1_32segmented_reduce_config_selectorIN3c108BFloat16EEEZNS1_21segmented_reduce_implIS3_PKS6_PS6_PKiS6_N6hipcub16HIPCUB_304000_NS6detail27convert_result_type_wrapperISA_SB_N2at6native12_GLOBAL__N_19CustomMaxEEEEE10hipError_tPvRmT0_T1_jT2_SS_T4_T3_P12ihipStream_tbEUlT_E_NS1_11comp_targetILNS1_3genE2ELNS1_11target_archE906ELNS1_3gpuE6ELNS1_3repE0EEENS1_30default_config_static_selectorELNS0_4arch9wavefront6targetE1EEEvSR_, .Lfunc_end116-_ZN7rocprim17ROCPRIM_400000_NS6detail17trampoline_kernelINS0_14default_configENS1_32segmented_reduce_config_selectorIN3c108BFloat16EEEZNS1_21segmented_reduce_implIS3_PKS6_PS6_PKiS6_N6hipcub16HIPCUB_304000_NS6detail27convert_result_type_wrapperISA_SB_N2at6native12_GLOBAL__N_19CustomMaxEEEEE10hipError_tPvRmT0_T1_jT2_SS_T4_T3_P12ihipStream_tbEUlT_E_NS1_11comp_targetILNS1_3genE2ELNS1_11target_archE906ELNS1_3gpuE6ELNS1_3repE0EEENS1_30default_config_static_selectorELNS0_4arch9wavefront6targetE1EEEvSR_
                                        ; -- End function
	.set _ZN7rocprim17ROCPRIM_400000_NS6detail17trampoline_kernelINS0_14default_configENS1_32segmented_reduce_config_selectorIN3c108BFloat16EEEZNS1_21segmented_reduce_implIS3_PKS6_PS6_PKiS6_N6hipcub16HIPCUB_304000_NS6detail27convert_result_type_wrapperISA_SB_N2at6native12_GLOBAL__N_19CustomMaxEEEEE10hipError_tPvRmT0_T1_jT2_SS_T4_T3_P12ihipStream_tbEUlT_E_NS1_11comp_targetILNS1_3genE2ELNS1_11target_archE906ELNS1_3gpuE6ELNS1_3repE0EEENS1_30default_config_static_selectorELNS0_4arch9wavefront6targetE1EEEvSR_.num_vgpr, 24
	.set _ZN7rocprim17ROCPRIM_400000_NS6detail17trampoline_kernelINS0_14default_configENS1_32segmented_reduce_config_selectorIN3c108BFloat16EEEZNS1_21segmented_reduce_implIS3_PKS6_PS6_PKiS6_N6hipcub16HIPCUB_304000_NS6detail27convert_result_type_wrapperISA_SB_N2at6native12_GLOBAL__N_19CustomMaxEEEEE10hipError_tPvRmT0_T1_jT2_SS_T4_T3_P12ihipStream_tbEUlT_E_NS1_11comp_targetILNS1_3genE2ELNS1_11target_archE906ELNS1_3gpuE6ELNS1_3repE0EEENS1_30default_config_static_selectorELNS0_4arch9wavefront6targetE1EEEvSR_.num_agpr, 0
	.set _ZN7rocprim17ROCPRIM_400000_NS6detail17trampoline_kernelINS0_14default_configENS1_32segmented_reduce_config_selectorIN3c108BFloat16EEEZNS1_21segmented_reduce_implIS3_PKS6_PS6_PKiS6_N6hipcub16HIPCUB_304000_NS6detail27convert_result_type_wrapperISA_SB_N2at6native12_GLOBAL__N_19CustomMaxEEEEE10hipError_tPvRmT0_T1_jT2_SS_T4_T3_P12ihipStream_tbEUlT_E_NS1_11comp_targetILNS1_3genE2ELNS1_11target_archE906ELNS1_3gpuE6ELNS1_3repE0EEENS1_30default_config_static_selectorELNS0_4arch9wavefront6targetE1EEEvSR_.numbered_sgpr, 51
	.set _ZN7rocprim17ROCPRIM_400000_NS6detail17trampoline_kernelINS0_14default_configENS1_32segmented_reduce_config_selectorIN3c108BFloat16EEEZNS1_21segmented_reduce_implIS3_PKS6_PS6_PKiS6_N6hipcub16HIPCUB_304000_NS6detail27convert_result_type_wrapperISA_SB_N2at6native12_GLOBAL__N_19CustomMaxEEEEE10hipError_tPvRmT0_T1_jT2_SS_T4_T3_P12ihipStream_tbEUlT_E_NS1_11comp_targetILNS1_3genE2ELNS1_11target_archE906ELNS1_3gpuE6ELNS1_3repE0EEENS1_30default_config_static_selectorELNS0_4arch9wavefront6targetE1EEEvSR_.num_named_barrier, 0
	.set _ZN7rocprim17ROCPRIM_400000_NS6detail17trampoline_kernelINS0_14default_configENS1_32segmented_reduce_config_selectorIN3c108BFloat16EEEZNS1_21segmented_reduce_implIS3_PKS6_PS6_PKiS6_N6hipcub16HIPCUB_304000_NS6detail27convert_result_type_wrapperISA_SB_N2at6native12_GLOBAL__N_19CustomMaxEEEEE10hipError_tPvRmT0_T1_jT2_SS_T4_T3_P12ihipStream_tbEUlT_E_NS1_11comp_targetILNS1_3genE2ELNS1_11target_archE906ELNS1_3gpuE6ELNS1_3repE0EEENS1_30default_config_static_selectorELNS0_4arch9wavefront6targetE1EEEvSR_.private_seg_size, 0
	.set _ZN7rocprim17ROCPRIM_400000_NS6detail17trampoline_kernelINS0_14default_configENS1_32segmented_reduce_config_selectorIN3c108BFloat16EEEZNS1_21segmented_reduce_implIS3_PKS6_PS6_PKiS6_N6hipcub16HIPCUB_304000_NS6detail27convert_result_type_wrapperISA_SB_N2at6native12_GLOBAL__N_19CustomMaxEEEEE10hipError_tPvRmT0_T1_jT2_SS_T4_T3_P12ihipStream_tbEUlT_E_NS1_11comp_targetILNS1_3genE2ELNS1_11target_archE906ELNS1_3gpuE6ELNS1_3repE0EEENS1_30default_config_static_selectorELNS0_4arch9wavefront6targetE1EEEvSR_.uses_vcc, 1
	.set _ZN7rocprim17ROCPRIM_400000_NS6detail17trampoline_kernelINS0_14default_configENS1_32segmented_reduce_config_selectorIN3c108BFloat16EEEZNS1_21segmented_reduce_implIS3_PKS6_PS6_PKiS6_N6hipcub16HIPCUB_304000_NS6detail27convert_result_type_wrapperISA_SB_N2at6native12_GLOBAL__N_19CustomMaxEEEEE10hipError_tPvRmT0_T1_jT2_SS_T4_T3_P12ihipStream_tbEUlT_E_NS1_11comp_targetILNS1_3genE2ELNS1_11target_archE906ELNS1_3gpuE6ELNS1_3repE0EEENS1_30default_config_static_selectorELNS0_4arch9wavefront6targetE1EEEvSR_.uses_flat_scratch, 0
	.set _ZN7rocprim17ROCPRIM_400000_NS6detail17trampoline_kernelINS0_14default_configENS1_32segmented_reduce_config_selectorIN3c108BFloat16EEEZNS1_21segmented_reduce_implIS3_PKS6_PS6_PKiS6_N6hipcub16HIPCUB_304000_NS6detail27convert_result_type_wrapperISA_SB_N2at6native12_GLOBAL__N_19CustomMaxEEEEE10hipError_tPvRmT0_T1_jT2_SS_T4_T3_P12ihipStream_tbEUlT_E_NS1_11comp_targetILNS1_3genE2ELNS1_11target_archE906ELNS1_3gpuE6ELNS1_3repE0EEENS1_30default_config_static_selectorELNS0_4arch9wavefront6targetE1EEEvSR_.has_dyn_sized_stack, 0
	.set _ZN7rocprim17ROCPRIM_400000_NS6detail17trampoline_kernelINS0_14default_configENS1_32segmented_reduce_config_selectorIN3c108BFloat16EEEZNS1_21segmented_reduce_implIS3_PKS6_PS6_PKiS6_N6hipcub16HIPCUB_304000_NS6detail27convert_result_type_wrapperISA_SB_N2at6native12_GLOBAL__N_19CustomMaxEEEEE10hipError_tPvRmT0_T1_jT2_SS_T4_T3_P12ihipStream_tbEUlT_E_NS1_11comp_targetILNS1_3genE2ELNS1_11target_archE906ELNS1_3gpuE6ELNS1_3repE0EEENS1_30default_config_static_selectorELNS0_4arch9wavefront6targetE1EEEvSR_.has_recursion, 0
	.set _ZN7rocprim17ROCPRIM_400000_NS6detail17trampoline_kernelINS0_14default_configENS1_32segmented_reduce_config_selectorIN3c108BFloat16EEEZNS1_21segmented_reduce_implIS3_PKS6_PS6_PKiS6_N6hipcub16HIPCUB_304000_NS6detail27convert_result_type_wrapperISA_SB_N2at6native12_GLOBAL__N_19CustomMaxEEEEE10hipError_tPvRmT0_T1_jT2_SS_T4_T3_P12ihipStream_tbEUlT_E_NS1_11comp_targetILNS1_3genE2ELNS1_11target_archE906ELNS1_3gpuE6ELNS1_3repE0EEENS1_30default_config_static_selectorELNS0_4arch9wavefront6targetE1EEEvSR_.has_indirect_call, 0
	.section	.AMDGPU.csdata,"",@progbits
; Kernel info:
; codeLenInByte = 7732
; TotalNumSgprs: 55
; NumVgprs: 24
; ScratchSize: 0
; MemoryBound: 0
; FloatMode: 240
; IeeeMode: 1
; LDSByteSize: 8 bytes/workgroup (compile time only)
; SGPRBlocks: 6
; VGPRBlocks: 5
; NumSGPRsForWavesPerEU: 55
; NumVGPRsForWavesPerEU: 24
; Occupancy: 10
; WaveLimiterHint : 1
; COMPUTE_PGM_RSRC2:SCRATCH_EN: 0
; COMPUTE_PGM_RSRC2:USER_SGPR: 6
; COMPUTE_PGM_RSRC2:TRAP_HANDLER: 0
; COMPUTE_PGM_RSRC2:TGID_X_EN: 1
; COMPUTE_PGM_RSRC2:TGID_Y_EN: 0
; COMPUTE_PGM_RSRC2:TGID_Z_EN: 0
; COMPUTE_PGM_RSRC2:TIDIG_COMP_CNT: 0
	.section	.text._ZN7rocprim17ROCPRIM_400000_NS6detail17trampoline_kernelINS0_14default_configENS1_32segmented_reduce_config_selectorIN3c108BFloat16EEEZNS1_21segmented_reduce_implIS3_PKS6_PS6_PKiS6_N6hipcub16HIPCUB_304000_NS6detail27convert_result_type_wrapperISA_SB_N2at6native12_GLOBAL__N_19CustomMaxEEEEE10hipError_tPvRmT0_T1_jT2_SS_T4_T3_P12ihipStream_tbEUlT_E_NS1_11comp_targetILNS1_3genE9ELNS1_11target_archE1100ELNS1_3gpuE3ELNS1_3repE0EEENS1_30default_config_static_selectorELNS0_4arch9wavefront6targetE1EEEvSR_,"axG",@progbits,_ZN7rocprim17ROCPRIM_400000_NS6detail17trampoline_kernelINS0_14default_configENS1_32segmented_reduce_config_selectorIN3c108BFloat16EEEZNS1_21segmented_reduce_implIS3_PKS6_PS6_PKiS6_N6hipcub16HIPCUB_304000_NS6detail27convert_result_type_wrapperISA_SB_N2at6native12_GLOBAL__N_19CustomMaxEEEEE10hipError_tPvRmT0_T1_jT2_SS_T4_T3_P12ihipStream_tbEUlT_E_NS1_11comp_targetILNS1_3genE9ELNS1_11target_archE1100ELNS1_3gpuE3ELNS1_3repE0EEENS1_30default_config_static_selectorELNS0_4arch9wavefront6targetE1EEEvSR_,comdat
	.globl	_ZN7rocprim17ROCPRIM_400000_NS6detail17trampoline_kernelINS0_14default_configENS1_32segmented_reduce_config_selectorIN3c108BFloat16EEEZNS1_21segmented_reduce_implIS3_PKS6_PS6_PKiS6_N6hipcub16HIPCUB_304000_NS6detail27convert_result_type_wrapperISA_SB_N2at6native12_GLOBAL__N_19CustomMaxEEEEE10hipError_tPvRmT0_T1_jT2_SS_T4_T3_P12ihipStream_tbEUlT_E_NS1_11comp_targetILNS1_3genE9ELNS1_11target_archE1100ELNS1_3gpuE3ELNS1_3repE0EEENS1_30default_config_static_selectorELNS0_4arch9wavefront6targetE1EEEvSR_ ; -- Begin function _ZN7rocprim17ROCPRIM_400000_NS6detail17trampoline_kernelINS0_14default_configENS1_32segmented_reduce_config_selectorIN3c108BFloat16EEEZNS1_21segmented_reduce_implIS3_PKS6_PS6_PKiS6_N6hipcub16HIPCUB_304000_NS6detail27convert_result_type_wrapperISA_SB_N2at6native12_GLOBAL__N_19CustomMaxEEEEE10hipError_tPvRmT0_T1_jT2_SS_T4_T3_P12ihipStream_tbEUlT_E_NS1_11comp_targetILNS1_3genE9ELNS1_11target_archE1100ELNS1_3gpuE3ELNS1_3repE0EEENS1_30default_config_static_selectorELNS0_4arch9wavefront6targetE1EEEvSR_
	.p2align	8
	.type	_ZN7rocprim17ROCPRIM_400000_NS6detail17trampoline_kernelINS0_14default_configENS1_32segmented_reduce_config_selectorIN3c108BFloat16EEEZNS1_21segmented_reduce_implIS3_PKS6_PS6_PKiS6_N6hipcub16HIPCUB_304000_NS6detail27convert_result_type_wrapperISA_SB_N2at6native12_GLOBAL__N_19CustomMaxEEEEE10hipError_tPvRmT0_T1_jT2_SS_T4_T3_P12ihipStream_tbEUlT_E_NS1_11comp_targetILNS1_3genE9ELNS1_11target_archE1100ELNS1_3gpuE3ELNS1_3repE0EEENS1_30default_config_static_selectorELNS0_4arch9wavefront6targetE1EEEvSR_,@function
_ZN7rocprim17ROCPRIM_400000_NS6detail17trampoline_kernelINS0_14default_configENS1_32segmented_reduce_config_selectorIN3c108BFloat16EEEZNS1_21segmented_reduce_implIS3_PKS6_PS6_PKiS6_N6hipcub16HIPCUB_304000_NS6detail27convert_result_type_wrapperISA_SB_N2at6native12_GLOBAL__N_19CustomMaxEEEEE10hipError_tPvRmT0_T1_jT2_SS_T4_T3_P12ihipStream_tbEUlT_E_NS1_11comp_targetILNS1_3genE9ELNS1_11target_archE1100ELNS1_3gpuE3ELNS1_3repE0EEENS1_30default_config_static_selectorELNS0_4arch9wavefront6targetE1EEEvSR_: ; @_ZN7rocprim17ROCPRIM_400000_NS6detail17trampoline_kernelINS0_14default_configENS1_32segmented_reduce_config_selectorIN3c108BFloat16EEEZNS1_21segmented_reduce_implIS3_PKS6_PS6_PKiS6_N6hipcub16HIPCUB_304000_NS6detail27convert_result_type_wrapperISA_SB_N2at6native12_GLOBAL__N_19CustomMaxEEEEE10hipError_tPvRmT0_T1_jT2_SS_T4_T3_P12ihipStream_tbEUlT_E_NS1_11comp_targetILNS1_3genE9ELNS1_11target_archE1100ELNS1_3gpuE3ELNS1_3repE0EEENS1_30default_config_static_selectorELNS0_4arch9wavefront6targetE1EEEvSR_
; %bb.0:
	.section	.rodata,"a",@progbits
	.p2align	6, 0x0
	.amdhsa_kernel _ZN7rocprim17ROCPRIM_400000_NS6detail17trampoline_kernelINS0_14default_configENS1_32segmented_reduce_config_selectorIN3c108BFloat16EEEZNS1_21segmented_reduce_implIS3_PKS6_PS6_PKiS6_N6hipcub16HIPCUB_304000_NS6detail27convert_result_type_wrapperISA_SB_N2at6native12_GLOBAL__N_19CustomMaxEEEEE10hipError_tPvRmT0_T1_jT2_SS_T4_T3_P12ihipStream_tbEUlT_E_NS1_11comp_targetILNS1_3genE9ELNS1_11target_archE1100ELNS1_3gpuE3ELNS1_3repE0EEENS1_30default_config_static_selectorELNS0_4arch9wavefront6targetE1EEEvSR_
		.amdhsa_group_segment_fixed_size 0
		.amdhsa_private_segment_fixed_size 0
		.amdhsa_kernarg_size 48
		.amdhsa_user_sgpr_count 6
		.amdhsa_user_sgpr_private_segment_buffer 1
		.amdhsa_user_sgpr_dispatch_ptr 0
		.amdhsa_user_sgpr_queue_ptr 0
		.amdhsa_user_sgpr_kernarg_segment_ptr 1
		.amdhsa_user_sgpr_dispatch_id 0
		.amdhsa_user_sgpr_flat_scratch_init 0
		.amdhsa_user_sgpr_private_segment_size 0
		.amdhsa_uses_dynamic_stack 0
		.amdhsa_system_sgpr_private_segment_wavefront_offset 0
		.amdhsa_system_sgpr_workgroup_id_x 1
		.amdhsa_system_sgpr_workgroup_id_y 0
		.amdhsa_system_sgpr_workgroup_id_z 0
		.amdhsa_system_sgpr_workgroup_info 0
		.amdhsa_system_vgpr_workitem_id 0
		.amdhsa_next_free_vgpr 1
		.amdhsa_next_free_sgpr 0
		.amdhsa_reserve_vcc 0
		.amdhsa_reserve_flat_scratch 0
		.amdhsa_float_round_mode_32 0
		.amdhsa_float_round_mode_16_64 0
		.amdhsa_float_denorm_mode_32 3
		.amdhsa_float_denorm_mode_16_64 3
		.amdhsa_dx10_clamp 1
		.amdhsa_ieee_mode 1
		.amdhsa_fp16_overflow 0
		.amdhsa_exception_fp_ieee_invalid_op 0
		.amdhsa_exception_fp_denorm_src 0
		.amdhsa_exception_fp_ieee_div_zero 0
		.amdhsa_exception_fp_ieee_overflow 0
		.amdhsa_exception_fp_ieee_underflow 0
		.amdhsa_exception_fp_ieee_inexact 0
		.amdhsa_exception_int_div_zero 0
	.end_amdhsa_kernel
	.section	.text._ZN7rocprim17ROCPRIM_400000_NS6detail17trampoline_kernelINS0_14default_configENS1_32segmented_reduce_config_selectorIN3c108BFloat16EEEZNS1_21segmented_reduce_implIS3_PKS6_PS6_PKiS6_N6hipcub16HIPCUB_304000_NS6detail27convert_result_type_wrapperISA_SB_N2at6native12_GLOBAL__N_19CustomMaxEEEEE10hipError_tPvRmT0_T1_jT2_SS_T4_T3_P12ihipStream_tbEUlT_E_NS1_11comp_targetILNS1_3genE9ELNS1_11target_archE1100ELNS1_3gpuE3ELNS1_3repE0EEENS1_30default_config_static_selectorELNS0_4arch9wavefront6targetE1EEEvSR_,"axG",@progbits,_ZN7rocprim17ROCPRIM_400000_NS6detail17trampoline_kernelINS0_14default_configENS1_32segmented_reduce_config_selectorIN3c108BFloat16EEEZNS1_21segmented_reduce_implIS3_PKS6_PS6_PKiS6_N6hipcub16HIPCUB_304000_NS6detail27convert_result_type_wrapperISA_SB_N2at6native12_GLOBAL__N_19CustomMaxEEEEE10hipError_tPvRmT0_T1_jT2_SS_T4_T3_P12ihipStream_tbEUlT_E_NS1_11comp_targetILNS1_3genE9ELNS1_11target_archE1100ELNS1_3gpuE3ELNS1_3repE0EEENS1_30default_config_static_selectorELNS0_4arch9wavefront6targetE1EEEvSR_,comdat
.Lfunc_end117:
	.size	_ZN7rocprim17ROCPRIM_400000_NS6detail17trampoline_kernelINS0_14default_configENS1_32segmented_reduce_config_selectorIN3c108BFloat16EEEZNS1_21segmented_reduce_implIS3_PKS6_PS6_PKiS6_N6hipcub16HIPCUB_304000_NS6detail27convert_result_type_wrapperISA_SB_N2at6native12_GLOBAL__N_19CustomMaxEEEEE10hipError_tPvRmT0_T1_jT2_SS_T4_T3_P12ihipStream_tbEUlT_E_NS1_11comp_targetILNS1_3genE9ELNS1_11target_archE1100ELNS1_3gpuE3ELNS1_3repE0EEENS1_30default_config_static_selectorELNS0_4arch9wavefront6targetE1EEEvSR_, .Lfunc_end117-_ZN7rocprim17ROCPRIM_400000_NS6detail17trampoline_kernelINS0_14default_configENS1_32segmented_reduce_config_selectorIN3c108BFloat16EEEZNS1_21segmented_reduce_implIS3_PKS6_PS6_PKiS6_N6hipcub16HIPCUB_304000_NS6detail27convert_result_type_wrapperISA_SB_N2at6native12_GLOBAL__N_19CustomMaxEEEEE10hipError_tPvRmT0_T1_jT2_SS_T4_T3_P12ihipStream_tbEUlT_E_NS1_11comp_targetILNS1_3genE9ELNS1_11target_archE1100ELNS1_3gpuE3ELNS1_3repE0EEENS1_30default_config_static_selectorELNS0_4arch9wavefront6targetE1EEEvSR_
                                        ; -- End function
	.set _ZN7rocprim17ROCPRIM_400000_NS6detail17trampoline_kernelINS0_14default_configENS1_32segmented_reduce_config_selectorIN3c108BFloat16EEEZNS1_21segmented_reduce_implIS3_PKS6_PS6_PKiS6_N6hipcub16HIPCUB_304000_NS6detail27convert_result_type_wrapperISA_SB_N2at6native12_GLOBAL__N_19CustomMaxEEEEE10hipError_tPvRmT0_T1_jT2_SS_T4_T3_P12ihipStream_tbEUlT_E_NS1_11comp_targetILNS1_3genE9ELNS1_11target_archE1100ELNS1_3gpuE3ELNS1_3repE0EEENS1_30default_config_static_selectorELNS0_4arch9wavefront6targetE1EEEvSR_.num_vgpr, 0
	.set _ZN7rocprim17ROCPRIM_400000_NS6detail17trampoline_kernelINS0_14default_configENS1_32segmented_reduce_config_selectorIN3c108BFloat16EEEZNS1_21segmented_reduce_implIS3_PKS6_PS6_PKiS6_N6hipcub16HIPCUB_304000_NS6detail27convert_result_type_wrapperISA_SB_N2at6native12_GLOBAL__N_19CustomMaxEEEEE10hipError_tPvRmT0_T1_jT2_SS_T4_T3_P12ihipStream_tbEUlT_E_NS1_11comp_targetILNS1_3genE9ELNS1_11target_archE1100ELNS1_3gpuE3ELNS1_3repE0EEENS1_30default_config_static_selectorELNS0_4arch9wavefront6targetE1EEEvSR_.num_agpr, 0
	.set _ZN7rocprim17ROCPRIM_400000_NS6detail17trampoline_kernelINS0_14default_configENS1_32segmented_reduce_config_selectorIN3c108BFloat16EEEZNS1_21segmented_reduce_implIS3_PKS6_PS6_PKiS6_N6hipcub16HIPCUB_304000_NS6detail27convert_result_type_wrapperISA_SB_N2at6native12_GLOBAL__N_19CustomMaxEEEEE10hipError_tPvRmT0_T1_jT2_SS_T4_T3_P12ihipStream_tbEUlT_E_NS1_11comp_targetILNS1_3genE9ELNS1_11target_archE1100ELNS1_3gpuE3ELNS1_3repE0EEENS1_30default_config_static_selectorELNS0_4arch9wavefront6targetE1EEEvSR_.numbered_sgpr, 0
	.set _ZN7rocprim17ROCPRIM_400000_NS6detail17trampoline_kernelINS0_14default_configENS1_32segmented_reduce_config_selectorIN3c108BFloat16EEEZNS1_21segmented_reduce_implIS3_PKS6_PS6_PKiS6_N6hipcub16HIPCUB_304000_NS6detail27convert_result_type_wrapperISA_SB_N2at6native12_GLOBAL__N_19CustomMaxEEEEE10hipError_tPvRmT0_T1_jT2_SS_T4_T3_P12ihipStream_tbEUlT_E_NS1_11comp_targetILNS1_3genE9ELNS1_11target_archE1100ELNS1_3gpuE3ELNS1_3repE0EEENS1_30default_config_static_selectorELNS0_4arch9wavefront6targetE1EEEvSR_.num_named_barrier, 0
	.set _ZN7rocprim17ROCPRIM_400000_NS6detail17trampoline_kernelINS0_14default_configENS1_32segmented_reduce_config_selectorIN3c108BFloat16EEEZNS1_21segmented_reduce_implIS3_PKS6_PS6_PKiS6_N6hipcub16HIPCUB_304000_NS6detail27convert_result_type_wrapperISA_SB_N2at6native12_GLOBAL__N_19CustomMaxEEEEE10hipError_tPvRmT0_T1_jT2_SS_T4_T3_P12ihipStream_tbEUlT_E_NS1_11comp_targetILNS1_3genE9ELNS1_11target_archE1100ELNS1_3gpuE3ELNS1_3repE0EEENS1_30default_config_static_selectorELNS0_4arch9wavefront6targetE1EEEvSR_.private_seg_size, 0
	.set _ZN7rocprim17ROCPRIM_400000_NS6detail17trampoline_kernelINS0_14default_configENS1_32segmented_reduce_config_selectorIN3c108BFloat16EEEZNS1_21segmented_reduce_implIS3_PKS6_PS6_PKiS6_N6hipcub16HIPCUB_304000_NS6detail27convert_result_type_wrapperISA_SB_N2at6native12_GLOBAL__N_19CustomMaxEEEEE10hipError_tPvRmT0_T1_jT2_SS_T4_T3_P12ihipStream_tbEUlT_E_NS1_11comp_targetILNS1_3genE9ELNS1_11target_archE1100ELNS1_3gpuE3ELNS1_3repE0EEENS1_30default_config_static_selectorELNS0_4arch9wavefront6targetE1EEEvSR_.uses_vcc, 0
	.set _ZN7rocprim17ROCPRIM_400000_NS6detail17trampoline_kernelINS0_14default_configENS1_32segmented_reduce_config_selectorIN3c108BFloat16EEEZNS1_21segmented_reduce_implIS3_PKS6_PS6_PKiS6_N6hipcub16HIPCUB_304000_NS6detail27convert_result_type_wrapperISA_SB_N2at6native12_GLOBAL__N_19CustomMaxEEEEE10hipError_tPvRmT0_T1_jT2_SS_T4_T3_P12ihipStream_tbEUlT_E_NS1_11comp_targetILNS1_3genE9ELNS1_11target_archE1100ELNS1_3gpuE3ELNS1_3repE0EEENS1_30default_config_static_selectorELNS0_4arch9wavefront6targetE1EEEvSR_.uses_flat_scratch, 0
	.set _ZN7rocprim17ROCPRIM_400000_NS6detail17trampoline_kernelINS0_14default_configENS1_32segmented_reduce_config_selectorIN3c108BFloat16EEEZNS1_21segmented_reduce_implIS3_PKS6_PS6_PKiS6_N6hipcub16HIPCUB_304000_NS6detail27convert_result_type_wrapperISA_SB_N2at6native12_GLOBAL__N_19CustomMaxEEEEE10hipError_tPvRmT0_T1_jT2_SS_T4_T3_P12ihipStream_tbEUlT_E_NS1_11comp_targetILNS1_3genE9ELNS1_11target_archE1100ELNS1_3gpuE3ELNS1_3repE0EEENS1_30default_config_static_selectorELNS0_4arch9wavefront6targetE1EEEvSR_.has_dyn_sized_stack, 0
	.set _ZN7rocprim17ROCPRIM_400000_NS6detail17trampoline_kernelINS0_14default_configENS1_32segmented_reduce_config_selectorIN3c108BFloat16EEEZNS1_21segmented_reduce_implIS3_PKS6_PS6_PKiS6_N6hipcub16HIPCUB_304000_NS6detail27convert_result_type_wrapperISA_SB_N2at6native12_GLOBAL__N_19CustomMaxEEEEE10hipError_tPvRmT0_T1_jT2_SS_T4_T3_P12ihipStream_tbEUlT_E_NS1_11comp_targetILNS1_3genE9ELNS1_11target_archE1100ELNS1_3gpuE3ELNS1_3repE0EEENS1_30default_config_static_selectorELNS0_4arch9wavefront6targetE1EEEvSR_.has_recursion, 0
	.set _ZN7rocprim17ROCPRIM_400000_NS6detail17trampoline_kernelINS0_14default_configENS1_32segmented_reduce_config_selectorIN3c108BFloat16EEEZNS1_21segmented_reduce_implIS3_PKS6_PS6_PKiS6_N6hipcub16HIPCUB_304000_NS6detail27convert_result_type_wrapperISA_SB_N2at6native12_GLOBAL__N_19CustomMaxEEEEE10hipError_tPvRmT0_T1_jT2_SS_T4_T3_P12ihipStream_tbEUlT_E_NS1_11comp_targetILNS1_3genE9ELNS1_11target_archE1100ELNS1_3gpuE3ELNS1_3repE0EEENS1_30default_config_static_selectorELNS0_4arch9wavefront6targetE1EEEvSR_.has_indirect_call, 0
	.section	.AMDGPU.csdata,"",@progbits
; Kernel info:
; codeLenInByte = 0
; TotalNumSgprs: 4
; NumVgprs: 0
; ScratchSize: 0
; MemoryBound: 0
; FloatMode: 240
; IeeeMode: 1
; LDSByteSize: 0 bytes/workgroup (compile time only)
; SGPRBlocks: 0
; VGPRBlocks: 0
; NumSGPRsForWavesPerEU: 4
; NumVGPRsForWavesPerEU: 1
; Occupancy: 10
; WaveLimiterHint : 0
; COMPUTE_PGM_RSRC2:SCRATCH_EN: 0
; COMPUTE_PGM_RSRC2:USER_SGPR: 6
; COMPUTE_PGM_RSRC2:TRAP_HANDLER: 0
; COMPUTE_PGM_RSRC2:TGID_X_EN: 1
; COMPUTE_PGM_RSRC2:TGID_Y_EN: 0
; COMPUTE_PGM_RSRC2:TGID_Z_EN: 0
; COMPUTE_PGM_RSRC2:TIDIG_COMP_CNT: 0
	.section	.text._ZN7rocprim17ROCPRIM_400000_NS6detail17trampoline_kernelINS0_14default_configENS1_32segmented_reduce_config_selectorIN3c108BFloat16EEEZNS1_21segmented_reduce_implIS3_PKS6_PS6_PKiS6_N6hipcub16HIPCUB_304000_NS6detail27convert_result_type_wrapperISA_SB_N2at6native12_GLOBAL__N_19CustomMaxEEEEE10hipError_tPvRmT0_T1_jT2_SS_T4_T3_P12ihipStream_tbEUlT_E_NS1_11comp_targetILNS1_3genE8ELNS1_11target_archE1030ELNS1_3gpuE2ELNS1_3repE0EEENS1_30default_config_static_selectorELNS0_4arch9wavefront6targetE1EEEvSR_,"axG",@progbits,_ZN7rocprim17ROCPRIM_400000_NS6detail17trampoline_kernelINS0_14default_configENS1_32segmented_reduce_config_selectorIN3c108BFloat16EEEZNS1_21segmented_reduce_implIS3_PKS6_PS6_PKiS6_N6hipcub16HIPCUB_304000_NS6detail27convert_result_type_wrapperISA_SB_N2at6native12_GLOBAL__N_19CustomMaxEEEEE10hipError_tPvRmT0_T1_jT2_SS_T4_T3_P12ihipStream_tbEUlT_E_NS1_11comp_targetILNS1_3genE8ELNS1_11target_archE1030ELNS1_3gpuE2ELNS1_3repE0EEENS1_30default_config_static_selectorELNS0_4arch9wavefront6targetE1EEEvSR_,comdat
	.globl	_ZN7rocprim17ROCPRIM_400000_NS6detail17trampoline_kernelINS0_14default_configENS1_32segmented_reduce_config_selectorIN3c108BFloat16EEEZNS1_21segmented_reduce_implIS3_PKS6_PS6_PKiS6_N6hipcub16HIPCUB_304000_NS6detail27convert_result_type_wrapperISA_SB_N2at6native12_GLOBAL__N_19CustomMaxEEEEE10hipError_tPvRmT0_T1_jT2_SS_T4_T3_P12ihipStream_tbEUlT_E_NS1_11comp_targetILNS1_3genE8ELNS1_11target_archE1030ELNS1_3gpuE2ELNS1_3repE0EEENS1_30default_config_static_selectorELNS0_4arch9wavefront6targetE1EEEvSR_ ; -- Begin function _ZN7rocprim17ROCPRIM_400000_NS6detail17trampoline_kernelINS0_14default_configENS1_32segmented_reduce_config_selectorIN3c108BFloat16EEEZNS1_21segmented_reduce_implIS3_PKS6_PS6_PKiS6_N6hipcub16HIPCUB_304000_NS6detail27convert_result_type_wrapperISA_SB_N2at6native12_GLOBAL__N_19CustomMaxEEEEE10hipError_tPvRmT0_T1_jT2_SS_T4_T3_P12ihipStream_tbEUlT_E_NS1_11comp_targetILNS1_3genE8ELNS1_11target_archE1030ELNS1_3gpuE2ELNS1_3repE0EEENS1_30default_config_static_selectorELNS0_4arch9wavefront6targetE1EEEvSR_
	.p2align	8
	.type	_ZN7rocprim17ROCPRIM_400000_NS6detail17trampoline_kernelINS0_14default_configENS1_32segmented_reduce_config_selectorIN3c108BFloat16EEEZNS1_21segmented_reduce_implIS3_PKS6_PS6_PKiS6_N6hipcub16HIPCUB_304000_NS6detail27convert_result_type_wrapperISA_SB_N2at6native12_GLOBAL__N_19CustomMaxEEEEE10hipError_tPvRmT0_T1_jT2_SS_T4_T3_P12ihipStream_tbEUlT_E_NS1_11comp_targetILNS1_3genE8ELNS1_11target_archE1030ELNS1_3gpuE2ELNS1_3repE0EEENS1_30default_config_static_selectorELNS0_4arch9wavefront6targetE1EEEvSR_,@function
_ZN7rocprim17ROCPRIM_400000_NS6detail17trampoline_kernelINS0_14default_configENS1_32segmented_reduce_config_selectorIN3c108BFloat16EEEZNS1_21segmented_reduce_implIS3_PKS6_PS6_PKiS6_N6hipcub16HIPCUB_304000_NS6detail27convert_result_type_wrapperISA_SB_N2at6native12_GLOBAL__N_19CustomMaxEEEEE10hipError_tPvRmT0_T1_jT2_SS_T4_T3_P12ihipStream_tbEUlT_E_NS1_11comp_targetILNS1_3genE8ELNS1_11target_archE1030ELNS1_3gpuE2ELNS1_3repE0EEENS1_30default_config_static_selectorELNS0_4arch9wavefront6targetE1EEEvSR_: ; @_ZN7rocprim17ROCPRIM_400000_NS6detail17trampoline_kernelINS0_14default_configENS1_32segmented_reduce_config_selectorIN3c108BFloat16EEEZNS1_21segmented_reduce_implIS3_PKS6_PS6_PKiS6_N6hipcub16HIPCUB_304000_NS6detail27convert_result_type_wrapperISA_SB_N2at6native12_GLOBAL__N_19CustomMaxEEEEE10hipError_tPvRmT0_T1_jT2_SS_T4_T3_P12ihipStream_tbEUlT_E_NS1_11comp_targetILNS1_3genE8ELNS1_11target_archE1030ELNS1_3gpuE2ELNS1_3repE0EEENS1_30default_config_static_selectorELNS0_4arch9wavefront6targetE1EEEvSR_
; %bb.0:
	.section	.rodata,"a",@progbits
	.p2align	6, 0x0
	.amdhsa_kernel _ZN7rocprim17ROCPRIM_400000_NS6detail17trampoline_kernelINS0_14default_configENS1_32segmented_reduce_config_selectorIN3c108BFloat16EEEZNS1_21segmented_reduce_implIS3_PKS6_PS6_PKiS6_N6hipcub16HIPCUB_304000_NS6detail27convert_result_type_wrapperISA_SB_N2at6native12_GLOBAL__N_19CustomMaxEEEEE10hipError_tPvRmT0_T1_jT2_SS_T4_T3_P12ihipStream_tbEUlT_E_NS1_11comp_targetILNS1_3genE8ELNS1_11target_archE1030ELNS1_3gpuE2ELNS1_3repE0EEENS1_30default_config_static_selectorELNS0_4arch9wavefront6targetE1EEEvSR_
		.amdhsa_group_segment_fixed_size 0
		.amdhsa_private_segment_fixed_size 0
		.amdhsa_kernarg_size 48
		.amdhsa_user_sgpr_count 6
		.amdhsa_user_sgpr_private_segment_buffer 1
		.amdhsa_user_sgpr_dispatch_ptr 0
		.amdhsa_user_sgpr_queue_ptr 0
		.amdhsa_user_sgpr_kernarg_segment_ptr 1
		.amdhsa_user_sgpr_dispatch_id 0
		.amdhsa_user_sgpr_flat_scratch_init 0
		.amdhsa_user_sgpr_private_segment_size 0
		.amdhsa_uses_dynamic_stack 0
		.amdhsa_system_sgpr_private_segment_wavefront_offset 0
		.amdhsa_system_sgpr_workgroup_id_x 1
		.amdhsa_system_sgpr_workgroup_id_y 0
		.amdhsa_system_sgpr_workgroup_id_z 0
		.amdhsa_system_sgpr_workgroup_info 0
		.amdhsa_system_vgpr_workitem_id 0
		.amdhsa_next_free_vgpr 1
		.amdhsa_next_free_sgpr 0
		.amdhsa_reserve_vcc 0
		.amdhsa_reserve_flat_scratch 0
		.amdhsa_float_round_mode_32 0
		.amdhsa_float_round_mode_16_64 0
		.amdhsa_float_denorm_mode_32 3
		.amdhsa_float_denorm_mode_16_64 3
		.amdhsa_dx10_clamp 1
		.amdhsa_ieee_mode 1
		.amdhsa_fp16_overflow 0
		.amdhsa_exception_fp_ieee_invalid_op 0
		.amdhsa_exception_fp_denorm_src 0
		.amdhsa_exception_fp_ieee_div_zero 0
		.amdhsa_exception_fp_ieee_overflow 0
		.amdhsa_exception_fp_ieee_underflow 0
		.amdhsa_exception_fp_ieee_inexact 0
		.amdhsa_exception_int_div_zero 0
	.end_amdhsa_kernel
	.section	.text._ZN7rocprim17ROCPRIM_400000_NS6detail17trampoline_kernelINS0_14default_configENS1_32segmented_reduce_config_selectorIN3c108BFloat16EEEZNS1_21segmented_reduce_implIS3_PKS6_PS6_PKiS6_N6hipcub16HIPCUB_304000_NS6detail27convert_result_type_wrapperISA_SB_N2at6native12_GLOBAL__N_19CustomMaxEEEEE10hipError_tPvRmT0_T1_jT2_SS_T4_T3_P12ihipStream_tbEUlT_E_NS1_11comp_targetILNS1_3genE8ELNS1_11target_archE1030ELNS1_3gpuE2ELNS1_3repE0EEENS1_30default_config_static_selectorELNS0_4arch9wavefront6targetE1EEEvSR_,"axG",@progbits,_ZN7rocprim17ROCPRIM_400000_NS6detail17trampoline_kernelINS0_14default_configENS1_32segmented_reduce_config_selectorIN3c108BFloat16EEEZNS1_21segmented_reduce_implIS3_PKS6_PS6_PKiS6_N6hipcub16HIPCUB_304000_NS6detail27convert_result_type_wrapperISA_SB_N2at6native12_GLOBAL__N_19CustomMaxEEEEE10hipError_tPvRmT0_T1_jT2_SS_T4_T3_P12ihipStream_tbEUlT_E_NS1_11comp_targetILNS1_3genE8ELNS1_11target_archE1030ELNS1_3gpuE2ELNS1_3repE0EEENS1_30default_config_static_selectorELNS0_4arch9wavefront6targetE1EEEvSR_,comdat
.Lfunc_end118:
	.size	_ZN7rocprim17ROCPRIM_400000_NS6detail17trampoline_kernelINS0_14default_configENS1_32segmented_reduce_config_selectorIN3c108BFloat16EEEZNS1_21segmented_reduce_implIS3_PKS6_PS6_PKiS6_N6hipcub16HIPCUB_304000_NS6detail27convert_result_type_wrapperISA_SB_N2at6native12_GLOBAL__N_19CustomMaxEEEEE10hipError_tPvRmT0_T1_jT2_SS_T4_T3_P12ihipStream_tbEUlT_E_NS1_11comp_targetILNS1_3genE8ELNS1_11target_archE1030ELNS1_3gpuE2ELNS1_3repE0EEENS1_30default_config_static_selectorELNS0_4arch9wavefront6targetE1EEEvSR_, .Lfunc_end118-_ZN7rocprim17ROCPRIM_400000_NS6detail17trampoline_kernelINS0_14default_configENS1_32segmented_reduce_config_selectorIN3c108BFloat16EEEZNS1_21segmented_reduce_implIS3_PKS6_PS6_PKiS6_N6hipcub16HIPCUB_304000_NS6detail27convert_result_type_wrapperISA_SB_N2at6native12_GLOBAL__N_19CustomMaxEEEEE10hipError_tPvRmT0_T1_jT2_SS_T4_T3_P12ihipStream_tbEUlT_E_NS1_11comp_targetILNS1_3genE8ELNS1_11target_archE1030ELNS1_3gpuE2ELNS1_3repE0EEENS1_30default_config_static_selectorELNS0_4arch9wavefront6targetE1EEEvSR_
                                        ; -- End function
	.set _ZN7rocprim17ROCPRIM_400000_NS6detail17trampoline_kernelINS0_14default_configENS1_32segmented_reduce_config_selectorIN3c108BFloat16EEEZNS1_21segmented_reduce_implIS3_PKS6_PS6_PKiS6_N6hipcub16HIPCUB_304000_NS6detail27convert_result_type_wrapperISA_SB_N2at6native12_GLOBAL__N_19CustomMaxEEEEE10hipError_tPvRmT0_T1_jT2_SS_T4_T3_P12ihipStream_tbEUlT_E_NS1_11comp_targetILNS1_3genE8ELNS1_11target_archE1030ELNS1_3gpuE2ELNS1_3repE0EEENS1_30default_config_static_selectorELNS0_4arch9wavefront6targetE1EEEvSR_.num_vgpr, 0
	.set _ZN7rocprim17ROCPRIM_400000_NS6detail17trampoline_kernelINS0_14default_configENS1_32segmented_reduce_config_selectorIN3c108BFloat16EEEZNS1_21segmented_reduce_implIS3_PKS6_PS6_PKiS6_N6hipcub16HIPCUB_304000_NS6detail27convert_result_type_wrapperISA_SB_N2at6native12_GLOBAL__N_19CustomMaxEEEEE10hipError_tPvRmT0_T1_jT2_SS_T4_T3_P12ihipStream_tbEUlT_E_NS1_11comp_targetILNS1_3genE8ELNS1_11target_archE1030ELNS1_3gpuE2ELNS1_3repE0EEENS1_30default_config_static_selectorELNS0_4arch9wavefront6targetE1EEEvSR_.num_agpr, 0
	.set _ZN7rocprim17ROCPRIM_400000_NS6detail17trampoline_kernelINS0_14default_configENS1_32segmented_reduce_config_selectorIN3c108BFloat16EEEZNS1_21segmented_reduce_implIS3_PKS6_PS6_PKiS6_N6hipcub16HIPCUB_304000_NS6detail27convert_result_type_wrapperISA_SB_N2at6native12_GLOBAL__N_19CustomMaxEEEEE10hipError_tPvRmT0_T1_jT2_SS_T4_T3_P12ihipStream_tbEUlT_E_NS1_11comp_targetILNS1_3genE8ELNS1_11target_archE1030ELNS1_3gpuE2ELNS1_3repE0EEENS1_30default_config_static_selectorELNS0_4arch9wavefront6targetE1EEEvSR_.numbered_sgpr, 0
	.set _ZN7rocprim17ROCPRIM_400000_NS6detail17trampoline_kernelINS0_14default_configENS1_32segmented_reduce_config_selectorIN3c108BFloat16EEEZNS1_21segmented_reduce_implIS3_PKS6_PS6_PKiS6_N6hipcub16HIPCUB_304000_NS6detail27convert_result_type_wrapperISA_SB_N2at6native12_GLOBAL__N_19CustomMaxEEEEE10hipError_tPvRmT0_T1_jT2_SS_T4_T3_P12ihipStream_tbEUlT_E_NS1_11comp_targetILNS1_3genE8ELNS1_11target_archE1030ELNS1_3gpuE2ELNS1_3repE0EEENS1_30default_config_static_selectorELNS0_4arch9wavefront6targetE1EEEvSR_.num_named_barrier, 0
	.set _ZN7rocprim17ROCPRIM_400000_NS6detail17trampoline_kernelINS0_14default_configENS1_32segmented_reduce_config_selectorIN3c108BFloat16EEEZNS1_21segmented_reduce_implIS3_PKS6_PS6_PKiS6_N6hipcub16HIPCUB_304000_NS6detail27convert_result_type_wrapperISA_SB_N2at6native12_GLOBAL__N_19CustomMaxEEEEE10hipError_tPvRmT0_T1_jT2_SS_T4_T3_P12ihipStream_tbEUlT_E_NS1_11comp_targetILNS1_3genE8ELNS1_11target_archE1030ELNS1_3gpuE2ELNS1_3repE0EEENS1_30default_config_static_selectorELNS0_4arch9wavefront6targetE1EEEvSR_.private_seg_size, 0
	.set _ZN7rocprim17ROCPRIM_400000_NS6detail17trampoline_kernelINS0_14default_configENS1_32segmented_reduce_config_selectorIN3c108BFloat16EEEZNS1_21segmented_reduce_implIS3_PKS6_PS6_PKiS6_N6hipcub16HIPCUB_304000_NS6detail27convert_result_type_wrapperISA_SB_N2at6native12_GLOBAL__N_19CustomMaxEEEEE10hipError_tPvRmT0_T1_jT2_SS_T4_T3_P12ihipStream_tbEUlT_E_NS1_11comp_targetILNS1_3genE8ELNS1_11target_archE1030ELNS1_3gpuE2ELNS1_3repE0EEENS1_30default_config_static_selectorELNS0_4arch9wavefront6targetE1EEEvSR_.uses_vcc, 0
	.set _ZN7rocprim17ROCPRIM_400000_NS6detail17trampoline_kernelINS0_14default_configENS1_32segmented_reduce_config_selectorIN3c108BFloat16EEEZNS1_21segmented_reduce_implIS3_PKS6_PS6_PKiS6_N6hipcub16HIPCUB_304000_NS6detail27convert_result_type_wrapperISA_SB_N2at6native12_GLOBAL__N_19CustomMaxEEEEE10hipError_tPvRmT0_T1_jT2_SS_T4_T3_P12ihipStream_tbEUlT_E_NS1_11comp_targetILNS1_3genE8ELNS1_11target_archE1030ELNS1_3gpuE2ELNS1_3repE0EEENS1_30default_config_static_selectorELNS0_4arch9wavefront6targetE1EEEvSR_.uses_flat_scratch, 0
	.set _ZN7rocprim17ROCPRIM_400000_NS6detail17trampoline_kernelINS0_14default_configENS1_32segmented_reduce_config_selectorIN3c108BFloat16EEEZNS1_21segmented_reduce_implIS3_PKS6_PS6_PKiS6_N6hipcub16HIPCUB_304000_NS6detail27convert_result_type_wrapperISA_SB_N2at6native12_GLOBAL__N_19CustomMaxEEEEE10hipError_tPvRmT0_T1_jT2_SS_T4_T3_P12ihipStream_tbEUlT_E_NS1_11comp_targetILNS1_3genE8ELNS1_11target_archE1030ELNS1_3gpuE2ELNS1_3repE0EEENS1_30default_config_static_selectorELNS0_4arch9wavefront6targetE1EEEvSR_.has_dyn_sized_stack, 0
	.set _ZN7rocprim17ROCPRIM_400000_NS6detail17trampoline_kernelINS0_14default_configENS1_32segmented_reduce_config_selectorIN3c108BFloat16EEEZNS1_21segmented_reduce_implIS3_PKS6_PS6_PKiS6_N6hipcub16HIPCUB_304000_NS6detail27convert_result_type_wrapperISA_SB_N2at6native12_GLOBAL__N_19CustomMaxEEEEE10hipError_tPvRmT0_T1_jT2_SS_T4_T3_P12ihipStream_tbEUlT_E_NS1_11comp_targetILNS1_3genE8ELNS1_11target_archE1030ELNS1_3gpuE2ELNS1_3repE0EEENS1_30default_config_static_selectorELNS0_4arch9wavefront6targetE1EEEvSR_.has_recursion, 0
	.set _ZN7rocprim17ROCPRIM_400000_NS6detail17trampoline_kernelINS0_14default_configENS1_32segmented_reduce_config_selectorIN3c108BFloat16EEEZNS1_21segmented_reduce_implIS3_PKS6_PS6_PKiS6_N6hipcub16HIPCUB_304000_NS6detail27convert_result_type_wrapperISA_SB_N2at6native12_GLOBAL__N_19CustomMaxEEEEE10hipError_tPvRmT0_T1_jT2_SS_T4_T3_P12ihipStream_tbEUlT_E_NS1_11comp_targetILNS1_3genE8ELNS1_11target_archE1030ELNS1_3gpuE2ELNS1_3repE0EEENS1_30default_config_static_selectorELNS0_4arch9wavefront6targetE1EEEvSR_.has_indirect_call, 0
	.section	.AMDGPU.csdata,"",@progbits
; Kernel info:
; codeLenInByte = 0
; TotalNumSgprs: 4
; NumVgprs: 0
; ScratchSize: 0
; MemoryBound: 0
; FloatMode: 240
; IeeeMode: 1
; LDSByteSize: 0 bytes/workgroup (compile time only)
; SGPRBlocks: 0
; VGPRBlocks: 0
; NumSGPRsForWavesPerEU: 4
; NumVGPRsForWavesPerEU: 1
; Occupancy: 10
; WaveLimiterHint : 0
; COMPUTE_PGM_RSRC2:SCRATCH_EN: 0
; COMPUTE_PGM_RSRC2:USER_SGPR: 6
; COMPUTE_PGM_RSRC2:TRAP_HANDLER: 0
; COMPUTE_PGM_RSRC2:TGID_X_EN: 1
; COMPUTE_PGM_RSRC2:TGID_Y_EN: 0
; COMPUTE_PGM_RSRC2:TGID_Z_EN: 0
; COMPUTE_PGM_RSRC2:TIDIG_COMP_CNT: 0
	.section	.text._ZN7rocprim17ROCPRIM_400000_NS6detail17trampoline_kernelINS0_14default_configENS1_32segmented_reduce_config_selectorIN3c108BFloat16EEEZNS1_21segmented_reduce_implIS3_PKS6_PS6_PKiS6_N6hipcub16HIPCUB_304000_NS6detail27convert_result_type_wrapperISA_SB_N2at6native12_GLOBAL__N_19CustomSumEEEEE10hipError_tPvRmT0_T1_jT2_SS_T4_T3_P12ihipStream_tbEUlT_E_NS1_11comp_targetILNS1_3genE0ELNS1_11target_archE4294967295ELNS1_3gpuE0ELNS1_3repE0EEENS1_30default_config_static_selectorELNS0_4arch9wavefront6targetE1EEEvSR_,"axG",@progbits,_ZN7rocprim17ROCPRIM_400000_NS6detail17trampoline_kernelINS0_14default_configENS1_32segmented_reduce_config_selectorIN3c108BFloat16EEEZNS1_21segmented_reduce_implIS3_PKS6_PS6_PKiS6_N6hipcub16HIPCUB_304000_NS6detail27convert_result_type_wrapperISA_SB_N2at6native12_GLOBAL__N_19CustomSumEEEEE10hipError_tPvRmT0_T1_jT2_SS_T4_T3_P12ihipStream_tbEUlT_E_NS1_11comp_targetILNS1_3genE0ELNS1_11target_archE4294967295ELNS1_3gpuE0ELNS1_3repE0EEENS1_30default_config_static_selectorELNS0_4arch9wavefront6targetE1EEEvSR_,comdat
	.globl	_ZN7rocprim17ROCPRIM_400000_NS6detail17trampoline_kernelINS0_14default_configENS1_32segmented_reduce_config_selectorIN3c108BFloat16EEEZNS1_21segmented_reduce_implIS3_PKS6_PS6_PKiS6_N6hipcub16HIPCUB_304000_NS6detail27convert_result_type_wrapperISA_SB_N2at6native12_GLOBAL__N_19CustomSumEEEEE10hipError_tPvRmT0_T1_jT2_SS_T4_T3_P12ihipStream_tbEUlT_E_NS1_11comp_targetILNS1_3genE0ELNS1_11target_archE4294967295ELNS1_3gpuE0ELNS1_3repE0EEENS1_30default_config_static_selectorELNS0_4arch9wavefront6targetE1EEEvSR_ ; -- Begin function _ZN7rocprim17ROCPRIM_400000_NS6detail17trampoline_kernelINS0_14default_configENS1_32segmented_reduce_config_selectorIN3c108BFloat16EEEZNS1_21segmented_reduce_implIS3_PKS6_PS6_PKiS6_N6hipcub16HIPCUB_304000_NS6detail27convert_result_type_wrapperISA_SB_N2at6native12_GLOBAL__N_19CustomSumEEEEE10hipError_tPvRmT0_T1_jT2_SS_T4_T3_P12ihipStream_tbEUlT_E_NS1_11comp_targetILNS1_3genE0ELNS1_11target_archE4294967295ELNS1_3gpuE0ELNS1_3repE0EEENS1_30default_config_static_selectorELNS0_4arch9wavefront6targetE1EEEvSR_
	.p2align	8
	.type	_ZN7rocprim17ROCPRIM_400000_NS6detail17trampoline_kernelINS0_14default_configENS1_32segmented_reduce_config_selectorIN3c108BFloat16EEEZNS1_21segmented_reduce_implIS3_PKS6_PS6_PKiS6_N6hipcub16HIPCUB_304000_NS6detail27convert_result_type_wrapperISA_SB_N2at6native12_GLOBAL__N_19CustomSumEEEEE10hipError_tPvRmT0_T1_jT2_SS_T4_T3_P12ihipStream_tbEUlT_E_NS1_11comp_targetILNS1_3genE0ELNS1_11target_archE4294967295ELNS1_3gpuE0ELNS1_3repE0EEENS1_30default_config_static_selectorELNS0_4arch9wavefront6targetE1EEEvSR_,@function
_ZN7rocprim17ROCPRIM_400000_NS6detail17trampoline_kernelINS0_14default_configENS1_32segmented_reduce_config_selectorIN3c108BFloat16EEEZNS1_21segmented_reduce_implIS3_PKS6_PS6_PKiS6_N6hipcub16HIPCUB_304000_NS6detail27convert_result_type_wrapperISA_SB_N2at6native12_GLOBAL__N_19CustomSumEEEEE10hipError_tPvRmT0_T1_jT2_SS_T4_T3_P12ihipStream_tbEUlT_E_NS1_11comp_targetILNS1_3genE0ELNS1_11target_archE4294967295ELNS1_3gpuE0ELNS1_3repE0EEENS1_30default_config_static_selectorELNS0_4arch9wavefront6targetE1EEEvSR_: ; @_ZN7rocprim17ROCPRIM_400000_NS6detail17trampoline_kernelINS0_14default_configENS1_32segmented_reduce_config_selectorIN3c108BFloat16EEEZNS1_21segmented_reduce_implIS3_PKS6_PS6_PKiS6_N6hipcub16HIPCUB_304000_NS6detail27convert_result_type_wrapperISA_SB_N2at6native12_GLOBAL__N_19CustomSumEEEEE10hipError_tPvRmT0_T1_jT2_SS_T4_T3_P12ihipStream_tbEUlT_E_NS1_11comp_targetILNS1_3genE0ELNS1_11target_archE4294967295ELNS1_3gpuE0ELNS1_3repE0EEENS1_30default_config_static_selectorELNS0_4arch9wavefront6targetE1EEEvSR_
; %bb.0:
	.section	.rodata,"a",@progbits
	.p2align	6, 0x0
	.amdhsa_kernel _ZN7rocprim17ROCPRIM_400000_NS6detail17trampoline_kernelINS0_14default_configENS1_32segmented_reduce_config_selectorIN3c108BFloat16EEEZNS1_21segmented_reduce_implIS3_PKS6_PS6_PKiS6_N6hipcub16HIPCUB_304000_NS6detail27convert_result_type_wrapperISA_SB_N2at6native12_GLOBAL__N_19CustomSumEEEEE10hipError_tPvRmT0_T1_jT2_SS_T4_T3_P12ihipStream_tbEUlT_E_NS1_11comp_targetILNS1_3genE0ELNS1_11target_archE4294967295ELNS1_3gpuE0ELNS1_3repE0EEENS1_30default_config_static_selectorELNS0_4arch9wavefront6targetE1EEEvSR_
		.amdhsa_group_segment_fixed_size 0
		.amdhsa_private_segment_fixed_size 0
		.amdhsa_kernarg_size 48
		.amdhsa_user_sgpr_count 6
		.amdhsa_user_sgpr_private_segment_buffer 1
		.amdhsa_user_sgpr_dispatch_ptr 0
		.amdhsa_user_sgpr_queue_ptr 0
		.amdhsa_user_sgpr_kernarg_segment_ptr 1
		.amdhsa_user_sgpr_dispatch_id 0
		.amdhsa_user_sgpr_flat_scratch_init 0
		.amdhsa_user_sgpr_private_segment_size 0
		.amdhsa_uses_dynamic_stack 0
		.amdhsa_system_sgpr_private_segment_wavefront_offset 0
		.amdhsa_system_sgpr_workgroup_id_x 1
		.amdhsa_system_sgpr_workgroup_id_y 0
		.amdhsa_system_sgpr_workgroup_id_z 0
		.amdhsa_system_sgpr_workgroup_info 0
		.amdhsa_system_vgpr_workitem_id 0
		.amdhsa_next_free_vgpr 1
		.amdhsa_next_free_sgpr 0
		.amdhsa_reserve_vcc 0
		.amdhsa_reserve_flat_scratch 0
		.amdhsa_float_round_mode_32 0
		.amdhsa_float_round_mode_16_64 0
		.amdhsa_float_denorm_mode_32 3
		.amdhsa_float_denorm_mode_16_64 3
		.amdhsa_dx10_clamp 1
		.amdhsa_ieee_mode 1
		.amdhsa_fp16_overflow 0
		.amdhsa_exception_fp_ieee_invalid_op 0
		.amdhsa_exception_fp_denorm_src 0
		.amdhsa_exception_fp_ieee_div_zero 0
		.amdhsa_exception_fp_ieee_overflow 0
		.amdhsa_exception_fp_ieee_underflow 0
		.amdhsa_exception_fp_ieee_inexact 0
		.amdhsa_exception_int_div_zero 0
	.end_amdhsa_kernel
	.section	.text._ZN7rocprim17ROCPRIM_400000_NS6detail17trampoline_kernelINS0_14default_configENS1_32segmented_reduce_config_selectorIN3c108BFloat16EEEZNS1_21segmented_reduce_implIS3_PKS6_PS6_PKiS6_N6hipcub16HIPCUB_304000_NS6detail27convert_result_type_wrapperISA_SB_N2at6native12_GLOBAL__N_19CustomSumEEEEE10hipError_tPvRmT0_T1_jT2_SS_T4_T3_P12ihipStream_tbEUlT_E_NS1_11comp_targetILNS1_3genE0ELNS1_11target_archE4294967295ELNS1_3gpuE0ELNS1_3repE0EEENS1_30default_config_static_selectorELNS0_4arch9wavefront6targetE1EEEvSR_,"axG",@progbits,_ZN7rocprim17ROCPRIM_400000_NS6detail17trampoline_kernelINS0_14default_configENS1_32segmented_reduce_config_selectorIN3c108BFloat16EEEZNS1_21segmented_reduce_implIS3_PKS6_PS6_PKiS6_N6hipcub16HIPCUB_304000_NS6detail27convert_result_type_wrapperISA_SB_N2at6native12_GLOBAL__N_19CustomSumEEEEE10hipError_tPvRmT0_T1_jT2_SS_T4_T3_P12ihipStream_tbEUlT_E_NS1_11comp_targetILNS1_3genE0ELNS1_11target_archE4294967295ELNS1_3gpuE0ELNS1_3repE0EEENS1_30default_config_static_selectorELNS0_4arch9wavefront6targetE1EEEvSR_,comdat
.Lfunc_end119:
	.size	_ZN7rocprim17ROCPRIM_400000_NS6detail17trampoline_kernelINS0_14default_configENS1_32segmented_reduce_config_selectorIN3c108BFloat16EEEZNS1_21segmented_reduce_implIS3_PKS6_PS6_PKiS6_N6hipcub16HIPCUB_304000_NS6detail27convert_result_type_wrapperISA_SB_N2at6native12_GLOBAL__N_19CustomSumEEEEE10hipError_tPvRmT0_T1_jT2_SS_T4_T3_P12ihipStream_tbEUlT_E_NS1_11comp_targetILNS1_3genE0ELNS1_11target_archE4294967295ELNS1_3gpuE0ELNS1_3repE0EEENS1_30default_config_static_selectorELNS0_4arch9wavefront6targetE1EEEvSR_, .Lfunc_end119-_ZN7rocprim17ROCPRIM_400000_NS6detail17trampoline_kernelINS0_14default_configENS1_32segmented_reduce_config_selectorIN3c108BFloat16EEEZNS1_21segmented_reduce_implIS3_PKS6_PS6_PKiS6_N6hipcub16HIPCUB_304000_NS6detail27convert_result_type_wrapperISA_SB_N2at6native12_GLOBAL__N_19CustomSumEEEEE10hipError_tPvRmT0_T1_jT2_SS_T4_T3_P12ihipStream_tbEUlT_E_NS1_11comp_targetILNS1_3genE0ELNS1_11target_archE4294967295ELNS1_3gpuE0ELNS1_3repE0EEENS1_30default_config_static_selectorELNS0_4arch9wavefront6targetE1EEEvSR_
                                        ; -- End function
	.set _ZN7rocprim17ROCPRIM_400000_NS6detail17trampoline_kernelINS0_14default_configENS1_32segmented_reduce_config_selectorIN3c108BFloat16EEEZNS1_21segmented_reduce_implIS3_PKS6_PS6_PKiS6_N6hipcub16HIPCUB_304000_NS6detail27convert_result_type_wrapperISA_SB_N2at6native12_GLOBAL__N_19CustomSumEEEEE10hipError_tPvRmT0_T1_jT2_SS_T4_T3_P12ihipStream_tbEUlT_E_NS1_11comp_targetILNS1_3genE0ELNS1_11target_archE4294967295ELNS1_3gpuE0ELNS1_3repE0EEENS1_30default_config_static_selectorELNS0_4arch9wavefront6targetE1EEEvSR_.num_vgpr, 0
	.set _ZN7rocprim17ROCPRIM_400000_NS6detail17trampoline_kernelINS0_14default_configENS1_32segmented_reduce_config_selectorIN3c108BFloat16EEEZNS1_21segmented_reduce_implIS3_PKS6_PS6_PKiS6_N6hipcub16HIPCUB_304000_NS6detail27convert_result_type_wrapperISA_SB_N2at6native12_GLOBAL__N_19CustomSumEEEEE10hipError_tPvRmT0_T1_jT2_SS_T4_T3_P12ihipStream_tbEUlT_E_NS1_11comp_targetILNS1_3genE0ELNS1_11target_archE4294967295ELNS1_3gpuE0ELNS1_3repE0EEENS1_30default_config_static_selectorELNS0_4arch9wavefront6targetE1EEEvSR_.num_agpr, 0
	.set _ZN7rocprim17ROCPRIM_400000_NS6detail17trampoline_kernelINS0_14default_configENS1_32segmented_reduce_config_selectorIN3c108BFloat16EEEZNS1_21segmented_reduce_implIS3_PKS6_PS6_PKiS6_N6hipcub16HIPCUB_304000_NS6detail27convert_result_type_wrapperISA_SB_N2at6native12_GLOBAL__N_19CustomSumEEEEE10hipError_tPvRmT0_T1_jT2_SS_T4_T3_P12ihipStream_tbEUlT_E_NS1_11comp_targetILNS1_3genE0ELNS1_11target_archE4294967295ELNS1_3gpuE0ELNS1_3repE0EEENS1_30default_config_static_selectorELNS0_4arch9wavefront6targetE1EEEvSR_.numbered_sgpr, 0
	.set _ZN7rocprim17ROCPRIM_400000_NS6detail17trampoline_kernelINS0_14default_configENS1_32segmented_reduce_config_selectorIN3c108BFloat16EEEZNS1_21segmented_reduce_implIS3_PKS6_PS6_PKiS6_N6hipcub16HIPCUB_304000_NS6detail27convert_result_type_wrapperISA_SB_N2at6native12_GLOBAL__N_19CustomSumEEEEE10hipError_tPvRmT0_T1_jT2_SS_T4_T3_P12ihipStream_tbEUlT_E_NS1_11comp_targetILNS1_3genE0ELNS1_11target_archE4294967295ELNS1_3gpuE0ELNS1_3repE0EEENS1_30default_config_static_selectorELNS0_4arch9wavefront6targetE1EEEvSR_.num_named_barrier, 0
	.set _ZN7rocprim17ROCPRIM_400000_NS6detail17trampoline_kernelINS0_14default_configENS1_32segmented_reduce_config_selectorIN3c108BFloat16EEEZNS1_21segmented_reduce_implIS3_PKS6_PS6_PKiS6_N6hipcub16HIPCUB_304000_NS6detail27convert_result_type_wrapperISA_SB_N2at6native12_GLOBAL__N_19CustomSumEEEEE10hipError_tPvRmT0_T1_jT2_SS_T4_T3_P12ihipStream_tbEUlT_E_NS1_11comp_targetILNS1_3genE0ELNS1_11target_archE4294967295ELNS1_3gpuE0ELNS1_3repE0EEENS1_30default_config_static_selectorELNS0_4arch9wavefront6targetE1EEEvSR_.private_seg_size, 0
	.set _ZN7rocprim17ROCPRIM_400000_NS6detail17trampoline_kernelINS0_14default_configENS1_32segmented_reduce_config_selectorIN3c108BFloat16EEEZNS1_21segmented_reduce_implIS3_PKS6_PS6_PKiS6_N6hipcub16HIPCUB_304000_NS6detail27convert_result_type_wrapperISA_SB_N2at6native12_GLOBAL__N_19CustomSumEEEEE10hipError_tPvRmT0_T1_jT2_SS_T4_T3_P12ihipStream_tbEUlT_E_NS1_11comp_targetILNS1_3genE0ELNS1_11target_archE4294967295ELNS1_3gpuE0ELNS1_3repE0EEENS1_30default_config_static_selectorELNS0_4arch9wavefront6targetE1EEEvSR_.uses_vcc, 0
	.set _ZN7rocprim17ROCPRIM_400000_NS6detail17trampoline_kernelINS0_14default_configENS1_32segmented_reduce_config_selectorIN3c108BFloat16EEEZNS1_21segmented_reduce_implIS3_PKS6_PS6_PKiS6_N6hipcub16HIPCUB_304000_NS6detail27convert_result_type_wrapperISA_SB_N2at6native12_GLOBAL__N_19CustomSumEEEEE10hipError_tPvRmT0_T1_jT2_SS_T4_T3_P12ihipStream_tbEUlT_E_NS1_11comp_targetILNS1_3genE0ELNS1_11target_archE4294967295ELNS1_3gpuE0ELNS1_3repE0EEENS1_30default_config_static_selectorELNS0_4arch9wavefront6targetE1EEEvSR_.uses_flat_scratch, 0
	.set _ZN7rocprim17ROCPRIM_400000_NS6detail17trampoline_kernelINS0_14default_configENS1_32segmented_reduce_config_selectorIN3c108BFloat16EEEZNS1_21segmented_reduce_implIS3_PKS6_PS6_PKiS6_N6hipcub16HIPCUB_304000_NS6detail27convert_result_type_wrapperISA_SB_N2at6native12_GLOBAL__N_19CustomSumEEEEE10hipError_tPvRmT0_T1_jT2_SS_T4_T3_P12ihipStream_tbEUlT_E_NS1_11comp_targetILNS1_3genE0ELNS1_11target_archE4294967295ELNS1_3gpuE0ELNS1_3repE0EEENS1_30default_config_static_selectorELNS0_4arch9wavefront6targetE1EEEvSR_.has_dyn_sized_stack, 0
	.set _ZN7rocprim17ROCPRIM_400000_NS6detail17trampoline_kernelINS0_14default_configENS1_32segmented_reduce_config_selectorIN3c108BFloat16EEEZNS1_21segmented_reduce_implIS3_PKS6_PS6_PKiS6_N6hipcub16HIPCUB_304000_NS6detail27convert_result_type_wrapperISA_SB_N2at6native12_GLOBAL__N_19CustomSumEEEEE10hipError_tPvRmT0_T1_jT2_SS_T4_T3_P12ihipStream_tbEUlT_E_NS1_11comp_targetILNS1_3genE0ELNS1_11target_archE4294967295ELNS1_3gpuE0ELNS1_3repE0EEENS1_30default_config_static_selectorELNS0_4arch9wavefront6targetE1EEEvSR_.has_recursion, 0
	.set _ZN7rocprim17ROCPRIM_400000_NS6detail17trampoline_kernelINS0_14default_configENS1_32segmented_reduce_config_selectorIN3c108BFloat16EEEZNS1_21segmented_reduce_implIS3_PKS6_PS6_PKiS6_N6hipcub16HIPCUB_304000_NS6detail27convert_result_type_wrapperISA_SB_N2at6native12_GLOBAL__N_19CustomSumEEEEE10hipError_tPvRmT0_T1_jT2_SS_T4_T3_P12ihipStream_tbEUlT_E_NS1_11comp_targetILNS1_3genE0ELNS1_11target_archE4294967295ELNS1_3gpuE0ELNS1_3repE0EEENS1_30default_config_static_selectorELNS0_4arch9wavefront6targetE1EEEvSR_.has_indirect_call, 0
	.section	.AMDGPU.csdata,"",@progbits
; Kernel info:
; codeLenInByte = 0
; TotalNumSgprs: 4
; NumVgprs: 0
; ScratchSize: 0
; MemoryBound: 0
; FloatMode: 240
; IeeeMode: 1
; LDSByteSize: 0 bytes/workgroup (compile time only)
; SGPRBlocks: 0
; VGPRBlocks: 0
; NumSGPRsForWavesPerEU: 4
; NumVGPRsForWavesPerEU: 1
; Occupancy: 10
; WaveLimiterHint : 0
; COMPUTE_PGM_RSRC2:SCRATCH_EN: 0
; COMPUTE_PGM_RSRC2:USER_SGPR: 6
; COMPUTE_PGM_RSRC2:TRAP_HANDLER: 0
; COMPUTE_PGM_RSRC2:TGID_X_EN: 1
; COMPUTE_PGM_RSRC2:TGID_Y_EN: 0
; COMPUTE_PGM_RSRC2:TGID_Z_EN: 0
; COMPUTE_PGM_RSRC2:TIDIG_COMP_CNT: 0
	.section	.text._ZN7rocprim17ROCPRIM_400000_NS6detail17trampoline_kernelINS0_14default_configENS1_32segmented_reduce_config_selectorIN3c108BFloat16EEEZNS1_21segmented_reduce_implIS3_PKS6_PS6_PKiS6_N6hipcub16HIPCUB_304000_NS6detail27convert_result_type_wrapperISA_SB_N2at6native12_GLOBAL__N_19CustomSumEEEEE10hipError_tPvRmT0_T1_jT2_SS_T4_T3_P12ihipStream_tbEUlT_E_NS1_11comp_targetILNS1_3genE5ELNS1_11target_archE942ELNS1_3gpuE9ELNS1_3repE0EEENS1_30default_config_static_selectorELNS0_4arch9wavefront6targetE1EEEvSR_,"axG",@progbits,_ZN7rocprim17ROCPRIM_400000_NS6detail17trampoline_kernelINS0_14default_configENS1_32segmented_reduce_config_selectorIN3c108BFloat16EEEZNS1_21segmented_reduce_implIS3_PKS6_PS6_PKiS6_N6hipcub16HIPCUB_304000_NS6detail27convert_result_type_wrapperISA_SB_N2at6native12_GLOBAL__N_19CustomSumEEEEE10hipError_tPvRmT0_T1_jT2_SS_T4_T3_P12ihipStream_tbEUlT_E_NS1_11comp_targetILNS1_3genE5ELNS1_11target_archE942ELNS1_3gpuE9ELNS1_3repE0EEENS1_30default_config_static_selectorELNS0_4arch9wavefront6targetE1EEEvSR_,comdat
	.globl	_ZN7rocprim17ROCPRIM_400000_NS6detail17trampoline_kernelINS0_14default_configENS1_32segmented_reduce_config_selectorIN3c108BFloat16EEEZNS1_21segmented_reduce_implIS3_PKS6_PS6_PKiS6_N6hipcub16HIPCUB_304000_NS6detail27convert_result_type_wrapperISA_SB_N2at6native12_GLOBAL__N_19CustomSumEEEEE10hipError_tPvRmT0_T1_jT2_SS_T4_T3_P12ihipStream_tbEUlT_E_NS1_11comp_targetILNS1_3genE5ELNS1_11target_archE942ELNS1_3gpuE9ELNS1_3repE0EEENS1_30default_config_static_selectorELNS0_4arch9wavefront6targetE1EEEvSR_ ; -- Begin function _ZN7rocprim17ROCPRIM_400000_NS6detail17trampoline_kernelINS0_14default_configENS1_32segmented_reduce_config_selectorIN3c108BFloat16EEEZNS1_21segmented_reduce_implIS3_PKS6_PS6_PKiS6_N6hipcub16HIPCUB_304000_NS6detail27convert_result_type_wrapperISA_SB_N2at6native12_GLOBAL__N_19CustomSumEEEEE10hipError_tPvRmT0_T1_jT2_SS_T4_T3_P12ihipStream_tbEUlT_E_NS1_11comp_targetILNS1_3genE5ELNS1_11target_archE942ELNS1_3gpuE9ELNS1_3repE0EEENS1_30default_config_static_selectorELNS0_4arch9wavefront6targetE1EEEvSR_
	.p2align	8
	.type	_ZN7rocprim17ROCPRIM_400000_NS6detail17trampoline_kernelINS0_14default_configENS1_32segmented_reduce_config_selectorIN3c108BFloat16EEEZNS1_21segmented_reduce_implIS3_PKS6_PS6_PKiS6_N6hipcub16HIPCUB_304000_NS6detail27convert_result_type_wrapperISA_SB_N2at6native12_GLOBAL__N_19CustomSumEEEEE10hipError_tPvRmT0_T1_jT2_SS_T4_T3_P12ihipStream_tbEUlT_E_NS1_11comp_targetILNS1_3genE5ELNS1_11target_archE942ELNS1_3gpuE9ELNS1_3repE0EEENS1_30default_config_static_selectorELNS0_4arch9wavefront6targetE1EEEvSR_,@function
_ZN7rocprim17ROCPRIM_400000_NS6detail17trampoline_kernelINS0_14default_configENS1_32segmented_reduce_config_selectorIN3c108BFloat16EEEZNS1_21segmented_reduce_implIS3_PKS6_PS6_PKiS6_N6hipcub16HIPCUB_304000_NS6detail27convert_result_type_wrapperISA_SB_N2at6native12_GLOBAL__N_19CustomSumEEEEE10hipError_tPvRmT0_T1_jT2_SS_T4_T3_P12ihipStream_tbEUlT_E_NS1_11comp_targetILNS1_3genE5ELNS1_11target_archE942ELNS1_3gpuE9ELNS1_3repE0EEENS1_30default_config_static_selectorELNS0_4arch9wavefront6targetE1EEEvSR_: ; @_ZN7rocprim17ROCPRIM_400000_NS6detail17trampoline_kernelINS0_14default_configENS1_32segmented_reduce_config_selectorIN3c108BFloat16EEEZNS1_21segmented_reduce_implIS3_PKS6_PS6_PKiS6_N6hipcub16HIPCUB_304000_NS6detail27convert_result_type_wrapperISA_SB_N2at6native12_GLOBAL__N_19CustomSumEEEEE10hipError_tPvRmT0_T1_jT2_SS_T4_T3_P12ihipStream_tbEUlT_E_NS1_11comp_targetILNS1_3genE5ELNS1_11target_archE942ELNS1_3gpuE9ELNS1_3repE0EEENS1_30default_config_static_selectorELNS0_4arch9wavefront6targetE1EEEvSR_
; %bb.0:
	.section	.rodata,"a",@progbits
	.p2align	6, 0x0
	.amdhsa_kernel _ZN7rocprim17ROCPRIM_400000_NS6detail17trampoline_kernelINS0_14default_configENS1_32segmented_reduce_config_selectorIN3c108BFloat16EEEZNS1_21segmented_reduce_implIS3_PKS6_PS6_PKiS6_N6hipcub16HIPCUB_304000_NS6detail27convert_result_type_wrapperISA_SB_N2at6native12_GLOBAL__N_19CustomSumEEEEE10hipError_tPvRmT0_T1_jT2_SS_T4_T3_P12ihipStream_tbEUlT_E_NS1_11comp_targetILNS1_3genE5ELNS1_11target_archE942ELNS1_3gpuE9ELNS1_3repE0EEENS1_30default_config_static_selectorELNS0_4arch9wavefront6targetE1EEEvSR_
		.amdhsa_group_segment_fixed_size 0
		.amdhsa_private_segment_fixed_size 0
		.amdhsa_kernarg_size 48
		.amdhsa_user_sgpr_count 6
		.amdhsa_user_sgpr_private_segment_buffer 1
		.amdhsa_user_sgpr_dispatch_ptr 0
		.amdhsa_user_sgpr_queue_ptr 0
		.amdhsa_user_sgpr_kernarg_segment_ptr 1
		.amdhsa_user_sgpr_dispatch_id 0
		.amdhsa_user_sgpr_flat_scratch_init 0
		.amdhsa_user_sgpr_private_segment_size 0
		.amdhsa_uses_dynamic_stack 0
		.amdhsa_system_sgpr_private_segment_wavefront_offset 0
		.amdhsa_system_sgpr_workgroup_id_x 1
		.amdhsa_system_sgpr_workgroup_id_y 0
		.amdhsa_system_sgpr_workgroup_id_z 0
		.amdhsa_system_sgpr_workgroup_info 0
		.amdhsa_system_vgpr_workitem_id 0
		.amdhsa_next_free_vgpr 1
		.amdhsa_next_free_sgpr 0
		.amdhsa_reserve_vcc 0
		.amdhsa_reserve_flat_scratch 0
		.amdhsa_float_round_mode_32 0
		.amdhsa_float_round_mode_16_64 0
		.amdhsa_float_denorm_mode_32 3
		.amdhsa_float_denorm_mode_16_64 3
		.amdhsa_dx10_clamp 1
		.amdhsa_ieee_mode 1
		.amdhsa_fp16_overflow 0
		.amdhsa_exception_fp_ieee_invalid_op 0
		.amdhsa_exception_fp_denorm_src 0
		.amdhsa_exception_fp_ieee_div_zero 0
		.amdhsa_exception_fp_ieee_overflow 0
		.amdhsa_exception_fp_ieee_underflow 0
		.amdhsa_exception_fp_ieee_inexact 0
		.amdhsa_exception_int_div_zero 0
	.end_amdhsa_kernel
	.section	.text._ZN7rocprim17ROCPRIM_400000_NS6detail17trampoline_kernelINS0_14default_configENS1_32segmented_reduce_config_selectorIN3c108BFloat16EEEZNS1_21segmented_reduce_implIS3_PKS6_PS6_PKiS6_N6hipcub16HIPCUB_304000_NS6detail27convert_result_type_wrapperISA_SB_N2at6native12_GLOBAL__N_19CustomSumEEEEE10hipError_tPvRmT0_T1_jT2_SS_T4_T3_P12ihipStream_tbEUlT_E_NS1_11comp_targetILNS1_3genE5ELNS1_11target_archE942ELNS1_3gpuE9ELNS1_3repE0EEENS1_30default_config_static_selectorELNS0_4arch9wavefront6targetE1EEEvSR_,"axG",@progbits,_ZN7rocprim17ROCPRIM_400000_NS6detail17trampoline_kernelINS0_14default_configENS1_32segmented_reduce_config_selectorIN3c108BFloat16EEEZNS1_21segmented_reduce_implIS3_PKS6_PS6_PKiS6_N6hipcub16HIPCUB_304000_NS6detail27convert_result_type_wrapperISA_SB_N2at6native12_GLOBAL__N_19CustomSumEEEEE10hipError_tPvRmT0_T1_jT2_SS_T4_T3_P12ihipStream_tbEUlT_E_NS1_11comp_targetILNS1_3genE5ELNS1_11target_archE942ELNS1_3gpuE9ELNS1_3repE0EEENS1_30default_config_static_selectorELNS0_4arch9wavefront6targetE1EEEvSR_,comdat
.Lfunc_end120:
	.size	_ZN7rocprim17ROCPRIM_400000_NS6detail17trampoline_kernelINS0_14default_configENS1_32segmented_reduce_config_selectorIN3c108BFloat16EEEZNS1_21segmented_reduce_implIS3_PKS6_PS6_PKiS6_N6hipcub16HIPCUB_304000_NS6detail27convert_result_type_wrapperISA_SB_N2at6native12_GLOBAL__N_19CustomSumEEEEE10hipError_tPvRmT0_T1_jT2_SS_T4_T3_P12ihipStream_tbEUlT_E_NS1_11comp_targetILNS1_3genE5ELNS1_11target_archE942ELNS1_3gpuE9ELNS1_3repE0EEENS1_30default_config_static_selectorELNS0_4arch9wavefront6targetE1EEEvSR_, .Lfunc_end120-_ZN7rocprim17ROCPRIM_400000_NS6detail17trampoline_kernelINS0_14default_configENS1_32segmented_reduce_config_selectorIN3c108BFloat16EEEZNS1_21segmented_reduce_implIS3_PKS6_PS6_PKiS6_N6hipcub16HIPCUB_304000_NS6detail27convert_result_type_wrapperISA_SB_N2at6native12_GLOBAL__N_19CustomSumEEEEE10hipError_tPvRmT0_T1_jT2_SS_T4_T3_P12ihipStream_tbEUlT_E_NS1_11comp_targetILNS1_3genE5ELNS1_11target_archE942ELNS1_3gpuE9ELNS1_3repE0EEENS1_30default_config_static_selectorELNS0_4arch9wavefront6targetE1EEEvSR_
                                        ; -- End function
	.set _ZN7rocprim17ROCPRIM_400000_NS6detail17trampoline_kernelINS0_14default_configENS1_32segmented_reduce_config_selectorIN3c108BFloat16EEEZNS1_21segmented_reduce_implIS3_PKS6_PS6_PKiS6_N6hipcub16HIPCUB_304000_NS6detail27convert_result_type_wrapperISA_SB_N2at6native12_GLOBAL__N_19CustomSumEEEEE10hipError_tPvRmT0_T1_jT2_SS_T4_T3_P12ihipStream_tbEUlT_E_NS1_11comp_targetILNS1_3genE5ELNS1_11target_archE942ELNS1_3gpuE9ELNS1_3repE0EEENS1_30default_config_static_selectorELNS0_4arch9wavefront6targetE1EEEvSR_.num_vgpr, 0
	.set _ZN7rocprim17ROCPRIM_400000_NS6detail17trampoline_kernelINS0_14default_configENS1_32segmented_reduce_config_selectorIN3c108BFloat16EEEZNS1_21segmented_reduce_implIS3_PKS6_PS6_PKiS6_N6hipcub16HIPCUB_304000_NS6detail27convert_result_type_wrapperISA_SB_N2at6native12_GLOBAL__N_19CustomSumEEEEE10hipError_tPvRmT0_T1_jT2_SS_T4_T3_P12ihipStream_tbEUlT_E_NS1_11comp_targetILNS1_3genE5ELNS1_11target_archE942ELNS1_3gpuE9ELNS1_3repE0EEENS1_30default_config_static_selectorELNS0_4arch9wavefront6targetE1EEEvSR_.num_agpr, 0
	.set _ZN7rocprim17ROCPRIM_400000_NS6detail17trampoline_kernelINS0_14default_configENS1_32segmented_reduce_config_selectorIN3c108BFloat16EEEZNS1_21segmented_reduce_implIS3_PKS6_PS6_PKiS6_N6hipcub16HIPCUB_304000_NS6detail27convert_result_type_wrapperISA_SB_N2at6native12_GLOBAL__N_19CustomSumEEEEE10hipError_tPvRmT0_T1_jT2_SS_T4_T3_P12ihipStream_tbEUlT_E_NS1_11comp_targetILNS1_3genE5ELNS1_11target_archE942ELNS1_3gpuE9ELNS1_3repE0EEENS1_30default_config_static_selectorELNS0_4arch9wavefront6targetE1EEEvSR_.numbered_sgpr, 0
	.set _ZN7rocprim17ROCPRIM_400000_NS6detail17trampoline_kernelINS0_14default_configENS1_32segmented_reduce_config_selectorIN3c108BFloat16EEEZNS1_21segmented_reduce_implIS3_PKS6_PS6_PKiS6_N6hipcub16HIPCUB_304000_NS6detail27convert_result_type_wrapperISA_SB_N2at6native12_GLOBAL__N_19CustomSumEEEEE10hipError_tPvRmT0_T1_jT2_SS_T4_T3_P12ihipStream_tbEUlT_E_NS1_11comp_targetILNS1_3genE5ELNS1_11target_archE942ELNS1_3gpuE9ELNS1_3repE0EEENS1_30default_config_static_selectorELNS0_4arch9wavefront6targetE1EEEvSR_.num_named_barrier, 0
	.set _ZN7rocprim17ROCPRIM_400000_NS6detail17trampoline_kernelINS0_14default_configENS1_32segmented_reduce_config_selectorIN3c108BFloat16EEEZNS1_21segmented_reduce_implIS3_PKS6_PS6_PKiS6_N6hipcub16HIPCUB_304000_NS6detail27convert_result_type_wrapperISA_SB_N2at6native12_GLOBAL__N_19CustomSumEEEEE10hipError_tPvRmT0_T1_jT2_SS_T4_T3_P12ihipStream_tbEUlT_E_NS1_11comp_targetILNS1_3genE5ELNS1_11target_archE942ELNS1_3gpuE9ELNS1_3repE0EEENS1_30default_config_static_selectorELNS0_4arch9wavefront6targetE1EEEvSR_.private_seg_size, 0
	.set _ZN7rocprim17ROCPRIM_400000_NS6detail17trampoline_kernelINS0_14default_configENS1_32segmented_reduce_config_selectorIN3c108BFloat16EEEZNS1_21segmented_reduce_implIS3_PKS6_PS6_PKiS6_N6hipcub16HIPCUB_304000_NS6detail27convert_result_type_wrapperISA_SB_N2at6native12_GLOBAL__N_19CustomSumEEEEE10hipError_tPvRmT0_T1_jT2_SS_T4_T3_P12ihipStream_tbEUlT_E_NS1_11comp_targetILNS1_3genE5ELNS1_11target_archE942ELNS1_3gpuE9ELNS1_3repE0EEENS1_30default_config_static_selectorELNS0_4arch9wavefront6targetE1EEEvSR_.uses_vcc, 0
	.set _ZN7rocprim17ROCPRIM_400000_NS6detail17trampoline_kernelINS0_14default_configENS1_32segmented_reduce_config_selectorIN3c108BFloat16EEEZNS1_21segmented_reduce_implIS3_PKS6_PS6_PKiS6_N6hipcub16HIPCUB_304000_NS6detail27convert_result_type_wrapperISA_SB_N2at6native12_GLOBAL__N_19CustomSumEEEEE10hipError_tPvRmT0_T1_jT2_SS_T4_T3_P12ihipStream_tbEUlT_E_NS1_11comp_targetILNS1_3genE5ELNS1_11target_archE942ELNS1_3gpuE9ELNS1_3repE0EEENS1_30default_config_static_selectorELNS0_4arch9wavefront6targetE1EEEvSR_.uses_flat_scratch, 0
	.set _ZN7rocprim17ROCPRIM_400000_NS6detail17trampoline_kernelINS0_14default_configENS1_32segmented_reduce_config_selectorIN3c108BFloat16EEEZNS1_21segmented_reduce_implIS3_PKS6_PS6_PKiS6_N6hipcub16HIPCUB_304000_NS6detail27convert_result_type_wrapperISA_SB_N2at6native12_GLOBAL__N_19CustomSumEEEEE10hipError_tPvRmT0_T1_jT2_SS_T4_T3_P12ihipStream_tbEUlT_E_NS1_11comp_targetILNS1_3genE5ELNS1_11target_archE942ELNS1_3gpuE9ELNS1_3repE0EEENS1_30default_config_static_selectorELNS0_4arch9wavefront6targetE1EEEvSR_.has_dyn_sized_stack, 0
	.set _ZN7rocprim17ROCPRIM_400000_NS6detail17trampoline_kernelINS0_14default_configENS1_32segmented_reduce_config_selectorIN3c108BFloat16EEEZNS1_21segmented_reduce_implIS3_PKS6_PS6_PKiS6_N6hipcub16HIPCUB_304000_NS6detail27convert_result_type_wrapperISA_SB_N2at6native12_GLOBAL__N_19CustomSumEEEEE10hipError_tPvRmT0_T1_jT2_SS_T4_T3_P12ihipStream_tbEUlT_E_NS1_11comp_targetILNS1_3genE5ELNS1_11target_archE942ELNS1_3gpuE9ELNS1_3repE0EEENS1_30default_config_static_selectorELNS0_4arch9wavefront6targetE1EEEvSR_.has_recursion, 0
	.set _ZN7rocprim17ROCPRIM_400000_NS6detail17trampoline_kernelINS0_14default_configENS1_32segmented_reduce_config_selectorIN3c108BFloat16EEEZNS1_21segmented_reduce_implIS3_PKS6_PS6_PKiS6_N6hipcub16HIPCUB_304000_NS6detail27convert_result_type_wrapperISA_SB_N2at6native12_GLOBAL__N_19CustomSumEEEEE10hipError_tPvRmT0_T1_jT2_SS_T4_T3_P12ihipStream_tbEUlT_E_NS1_11comp_targetILNS1_3genE5ELNS1_11target_archE942ELNS1_3gpuE9ELNS1_3repE0EEENS1_30default_config_static_selectorELNS0_4arch9wavefront6targetE1EEEvSR_.has_indirect_call, 0
	.section	.AMDGPU.csdata,"",@progbits
; Kernel info:
; codeLenInByte = 0
; TotalNumSgprs: 4
; NumVgprs: 0
; ScratchSize: 0
; MemoryBound: 0
; FloatMode: 240
; IeeeMode: 1
; LDSByteSize: 0 bytes/workgroup (compile time only)
; SGPRBlocks: 0
; VGPRBlocks: 0
; NumSGPRsForWavesPerEU: 4
; NumVGPRsForWavesPerEU: 1
; Occupancy: 10
; WaveLimiterHint : 0
; COMPUTE_PGM_RSRC2:SCRATCH_EN: 0
; COMPUTE_PGM_RSRC2:USER_SGPR: 6
; COMPUTE_PGM_RSRC2:TRAP_HANDLER: 0
; COMPUTE_PGM_RSRC2:TGID_X_EN: 1
; COMPUTE_PGM_RSRC2:TGID_Y_EN: 0
; COMPUTE_PGM_RSRC2:TGID_Z_EN: 0
; COMPUTE_PGM_RSRC2:TIDIG_COMP_CNT: 0
	.section	.text._ZN7rocprim17ROCPRIM_400000_NS6detail17trampoline_kernelINS0_14default_configENS1_32segmented_reduce_config_selectorIN3c108BFloat16EEEZNS1_21segmented_reduce_implIS3_PKS6_PS6_PKiS6_N6hipcub16HIPCUB_304000_NS6detail27convert_result_type_wrapperISA_SB_N2at6native12_GLOBAL__N_19CustomSumEEEEE10hipError_tPvRmT0_T1_jT2_SS_T4_T3_P12ihipStream_tbEUlT_E_NS1_11comp_targetILNS1_3genE10ELNS1_11target_archE1201ELNS1_3gpuE5ELNS1_3repE0EEENS1_30default_config_static_selectorELNS0_4arch9wavefront6targetE1EEEvSR_,"axG",@progbits,_ZN7rocprim17ROCPRIM_400000_NS6detail17trampoline_kernelINS0_14default_configENS1_32segmented_reduce_config_selectorIN3c108BFloat16EEEZNS1_21segmented_reduce_implIS3_PKS6_PS6_PKiS6_N6hipcub16HIPCUB_304000_NS6detail27convert_result_type_wrapperISA_SB_N2at6native12_GLOBAL__N_19CustomSumEEEEE10hipError_tPvRmT0_T1_jT2_SS_T4_T3_P12ihipStream_tbEUlT_E_NS1_11comp_targetILNS1_3genE10ELNS1_11target_archE1201ELNS1_3gpuE5ELNS1_3repE0EEENS1_30default_config_static_selectorELNS0_4arch9wavefront6targetE1EEEvSR_,comdat
	.globl	_ZN7rocprim17ROCPRIM_400000_NS6detail17trampoline_kernelINS0_14default_configENS1_32segmented_reduce_config_selectorIN3c108BFloat16EEEZNS1_21segmented_reduce_implIS3_PKS6_PS6_PKiS6_N6hipcub16HIPCUB_304000_NS6detail27convert_result_type_wrapperISA_SB_N2at6native12_GLOBAL__N_19CustomSumEEEEE10hipError_tPvRmT0_T1_jT2_SS_T4_T3_P12ihipStream_tbEUlT_E_NS1_11comp_targetILNS1_3genE10ELNS1_11target_archE1201ELNS1_3gpuE5ELNS1_3repE0EEENS1_30default_config_static_selectorELNS0_4arch9wavefront6targetE1EEEvSR_ ; -- Begin function _ZN7rocprim17ROCPRIM_400000_NS6detail17trampoline_kernelINS0_14default_configENS1_32segmented_reduce_config_selectorIN3c108BFloat16EEEZNS1_21segmented_reduce_implIS3_PKS6_PS6_PKiS6_N6hipcub16HIPCUB_304000_NS6detail27convert_result_type_wrapperISA_SB_N2at6native12_GLOBAL__N_19CustomSumEEEEE10hipError_tPvRmT0_T1_jT2_SS_T4_T3_P12ihipStream_tbEUlT_E_NS1_11comp_targetILNS1_3genE10ELNS1_11target_archE1201ELNS1_3gpuE5ELNS1_3repE0EEENS1_30default_config_static_selectorELNS0_4arch9wavefront6targetE1EEEvSR_
	.p2align	8
	.type	_ZN7rocprim17ROCPRIM_400000_NS6detail17trampoline_kernelINS0_14default_configENS1_32segmented_reduce_config_selectorIN3c108BFloat16EEEZNS1_21segmented_reduce_implIS3_PKS6_PS6_PKiS6_N6hipcub16HIPCUB_304000_NS6detail27convert_result_type_wrapperISA_SB_N2at6native12_GLOBAL__N_19CustomSumEEEEE10hipError_tPvRmT0_T1_jT2_SS_T4_T3_P12ihipStream_tbEUlT_E_NS1_11comp_targetILNS1_3genE10ELNS1_11target_archE1201ELNS1_3gpuE5ELNS1_3repE0EEENS1_30default_config_static_selectorELNS0_4arch9wavefront6targetE1EEEvSR_,@function
_ZN7rocprim17ROCPRIM_400000_NS6detail17trampoline_kernelINS0_14default_configENS1_32segmented_reduce_config_selectorIN3c108BFloat16EEEZNS1_21segmented_reduce_implIS3_PKS6_PS6_PKiS6_N6hipcub16HIPCUB_304000_NS6detail27convert_result_type_wrapperISA_SB_N2at6native12_GLOBAL__N_19CustomSumEEEEE10hipError_tPvRmT0_T1_jT2_SS_T4_T3_P12ihipStream_tbEUlT_E_NS1_11comp_targetILNS1_3genE10ELNS1_11target_archE1201ELNS1_3gpuE5ELNS1_3repE0EEENS1_30default_config_static_selectorELNS0_4arch9wavefront6targetE1EEEvSR_: ; @_ZN7rocprim17ROCPRIM_400000_NS6detail17trampoline_kernelINS0_14default_configENS1_32segmented_reduce_config_selectorIN3c108BFloat16EEEZNS1_21segmented_reduce_implIS3_PKS6_PS6_PKiS6_N6hipcub16HIPCUB_304000_NS6detail27convert_result_type_wrapperISA_SB_N2at6native12_GLOBAL__N_19CustomSumEEEEE10hipError_tPvRmT0_T1_jT2_SS_T4_T3_P12ihipStream_tbEUlT_E_NS1_11comp_targetILNS1_3genE10ELNS1_11target_archE1201ELNS1_3gpuE5ELNS1_3repE0EEENS1_30default_config_static_selectorELNS0_4arch9wavefront6targetE1EEEvSR_
; %bb.0:
	.section	.rodata,"a",@progbits
	.p2align	6, 0x0
	.amdhsa_kernel _ZN7rocprim17ROCPRIM_400000_NS6detail17trampoline_kernelINS0_14default_configENS1_32segmented_reduce_config_selectorIN3c108BFloat16EEEZNS1_21segmented_reduce_implIS3_PKS6_PS6_PKiS6_N6hipcub16HIPCUB_304000_NS6detail27convert_result_type_wrapperISA_SB_N2at6native12_GLOBAL__N_19CustomSumEEEEE10hipError_tPvRmT0_T1_jT2_SS_T4_T3_P12ihipStream_tbEUlT_E_NS1_11comp_targetILNS1_3genE10ELNS1_11target_archE1201ELNS1_3gpuE5ELNS1_3repE0EEENS1_30default_config_static_selectorELNS0_4arch9wavefront6targetE1EEEvSR_
		.amdhsa_group_segment_fixed_size 0
		.amdhsa_private_segment_fixed_size 0
		.amdhsa_kernarg_size 48
		.amdhsa_user_sgpr_count 6
		.amdhsa_user_sgpr_private_segment_buffer 1
		.amdhsa_user_sgpr_dispatch_ptr 0
		.amdhsa_user_sgpr_queue_ptr 0
		.amdhsa_user_sgpr_kernarg_segment_ptr 1
		.amdhsa_user_sgpr_dispatch_id 0
		.amdhsa_user_sgpr_flat_scratch_init 0
		.amdhsa_user_sgpr_private_segment_size 0
		.amdhsa_uses_dynamic_stack 0
		.amdhsa_system_sgpr_private_segment_wavefront_offset 0
		.amdhsa_system_sgpr_workgroup_id_x 1
		.amdhsa_system_sgpr_workgroup_id_y 0
		.amdhsa_system_sgpr_workgroup_id_z 0
		.amdhsa_system_sgpr_workgroup_info 0
		.amdhsa_system_vgpr_workitem_id 0
		.amdhsa_next_free_vgpr 1
		.amdhsa_next_free_sgpr 0
		.amdhsa_reserve_vcc 0
		.amdhsa_reserve_flat_scratch 0
		.amdhsa_float_round_mode_32 0
		.amdhsa_float_round_mode_16_64 0
		.amdhsa_float_denorm_mode_32 3
		.amdhsa_float_denorm_mode_16_64 3
		.amdhsa_dx10_clamp 1
		.amdhsa_ieee_mode 1
		.amdhsa_fp16_overflow 0
		.amdhsa_exception_fp_ieee_invalid_op 0
		.amdhsa_exception_fp_denorm_src 0
		.amdhsa_exception_fp_ieee_div_zero 0
		.amdhsa_exception_fp_ieee_overflow 0
		.amdhsa_exception_fp_ieee_underflow 0
		.amdhsa_exception_fp_ieee_inexact 0
		.amdhsa_exception_int_div_zero 0
	.end_amdhsa_kernel
	.section	.text._ZN7rocprim17ROCPRIM_400000_NS6detail17trampoline_kernelINS0_14default_configENS1_32segmented_reduce_config_selectorIN3c108BFloat16EEEZNS1_21segmented_reduce_implIS3_PKS6_PS6_PKiS6_N6hipcub16HIPCUB_304000_NS6detail27convert_result_type_wrapperISA_SB_N2at6native12_GLOBAL__N_19CustomSumEEEEE10hipError_tPvRmT0_T1_jT2_SS_T4_T3_P12ihipStream_tbEUlT_E_NS1_11comp_targetILNS1_3genE10ELNS1_11target_archE1201ELNS1_3gpuE5ELNS1_3repE0EEENS1_30default_config_static_selectorELNS0_4arch9wavefront6targetE1EEEvSR_,"axG",@progbits,_ZN7rocprim17ROCPRIM_400000_NS6detail17trampoline_kernelINS0_14default_configENS1_32segmented_reduce_config_selectorIN3c108BFloat16EEEZNS1_21segmented_reduce_implIS3_PKS6_PS6_PKiS6_N6hipcub16HIPCUB_304000_NS6detail27convert_result_type_wrapperISA_SB_N2at6native12_GLOBAL__N_19CustomSumEEEEE10hipError_tPvRmT0_T1_jT2_SS_T4_T3_P12ihipStream_tbEUlT_E_NS1_11comp_targetILNS1_3genE10ELNS1_11target_archE1201ELNS1_3gpuE5ELNS1_3repE0EEENS1_30default_config_static_selectorELNS0_4arch9wavefront6targetE1EEEvSR_,comdat
.Lfunc_end121:
	.size	_ZN7rocprim17ROCPRIM_400000_NS6detail17trampoline_kernelINS0_14default_configENS1_32segmented_reduce_config_selectorIN3c108BFloat16EEEZNS1_21segmented_reduce_implIS3_PKS6_PS6_PKiS6_N6hipcub16HIPCUB_304000_NS6detail27convert_result_type_wrapperISA_SB_N2at6native12_GLOBAL__N_19CustomSumEEEEE10hipError_tPvRmT0_T1_jT2_SS_T4_T3_P12ihipStream_tbEUlT_E_NS1_11comp_targetILNS1_3genE10ELNS1_11target_archE1201ELNS1_3gpuE5ELNS1_3repE0EEENS1_30default_config_static_selectorELNS0_4arch9wavefront6targetE1EEEvSR_, .Lfunc_end121-_ZN7rocprim17ROCPRIM_400000_NS6detail17trampoline_kernelINS0_14default_configENS1_32segmented_reduce_config_selectorIN3c108BFloat16EEEZNS1_21segmented_reduce_implIS3_PKS6_PS6_PKiS6_N6hipcub16HIPCUB_304000_NS6detail27convert_result_type_wrapperISA_SB_N2at6native12_GLOBAL__N_19CustomSumEEEEE10hipError_tPvRmT0_T1_jT2_SS_T4_T3_P12ihipStream_tbEUlT_E_NS1_11comp_targetILNS1_3genE10ELNS1_11target_archE1201ELNS1_3gpuE5ELNS1_3repE0EEENS1_30default_config_static_selectorELNS0_4arch9wavefront6targetE1EEEvSR_
                                        ; -- End function
	.set _ZN7rocprim17ROCPRIM_400000_NS6detail17trampoline_kernelINS0_14default_configENS1_32segmented_reduce_config_selectorIN3c108BFloat16EEEZNS1_21segmented_reduce_implIS3_PKS6_PS6_PKiS6_N6hipcub16HIPCUB_304000_NS6detail27convert_result_type_wrapperISA_SB_N2at6native12_GLOBAL__N_19CustomSumEEEEE10hipError_tPvRmT0_T1_jT2_SS_T4_T3_P12ihipStream_tbEUlT_E_NS1_11comp_targetILNS1_3genE10ELNS1_11target_archE1201ELNS1_3gpuE5ELNS1_3repE0EEENS1_30default_config_static_selectorELNS0_4arch9wavefront6targetE1EEEvSR_.num_vgpr, 0
	.set _ZN7rocprim17ROCPRIM_400000_NS6detail17trampoline_kernelINS0_14default_configENS1_32segmented_reduce_config_selectorIN3c108BFloat16EEEZNS1_21segmented_reduce_implIS3_PKS6_PS6_PKiS6_N6hipcub16HIPCUB_304000_NS6detail27convert_result_type_wrapperISA_SB_N2at6native12_GLOBAL__N_19CustomSumEEEEE10hipError_tPvRmT0_T1_jT2_SS_T4_T3_P12ihipStream_tbEUlT_E_NS1_11comp_targetILNS1_3genE10ELNS1_11target_archE1201ELNS1_3gpuE5ELNS1_3repE0EEENS1_30default_config_static_selectorELNS0_4arch9wavefront6targetE1EEEvSR_.num_agpr, 0
	.set _ZN7rocprim17ROCPRIM_400000_NS6detail17trampoline_kernelINS0_14default_configENS1_32segmented_reduce_config_selectorIN3c108BFloat16EEEZNS1_21segmented_reduce_implIS3_PKS6_PS6_PKiS6_N6hipcub16HIPCUB_304000_NS6detail27convert_result_type_wrapperISA_SB_N2at6native12_GLOBAL__N_19CustomSumEEEEE10hipError_tPvRmT0_T1_jT2_SS_T4_T3_P12ihipStream_tbEUlT_E_NS1_11comp_targetILNS1_3genE10ELNS1_11target_archE1201ELNS1_3gpuE5ELNS1_3repE0EEENS1_30default_config_static_selectorELNS0_4arch9wavefront6targetE1EEEvSR_.numbered_sgpr, 0
	.set _ZN7rocprim17ROCPRIM_400000_NS6detail17trampoline_kernelINS0_14default_configENS1_32segmented_reduce_config_selectorIN3c108BFloat16EEEZNS1_21segmented_reduce_implIS3_PKS6_PS6_PKiS6_N6hipcub16HIPCUB_304000_NS6detail27convert_result_type_wrapperISA_SB_N2at6native12_GLOBAL__N_19CustomSumEEEEE10hipError_tPvRmT0_T1_jT2_SS_T4_T3_P12ihipStream_tbEUlT_E_NS1_11comp_targetILNS1_3genE10ELNS1_11target_archE1201ELNS1_3gpuE5ELNS1_3repE0EEENS1_30default_config_static_selectorELNS0_4arch9wavefront6targetE1EEEvSR_.num_named_barrier, 0
	.set _ZN7rocprim17ROCPRIM_400000_NS6detail17trampoline_kernelINS0_14default_configENS1_32segmented_reduce_config_selectorIN3c108BFloat16EEEZNS1_21segmented_reduce_implIS3_PKS6_PS6_PKiS6_N6hipcub16HIPCUB_304000_NS6detail27convert_result_type_wrapperISA_SB_N2at6native12_GLOBAL__N_19CustomSumEEEEE10hipError_tPvRmT0_T1_jT2_SS_T4_T3_P12ihipStream_tbEUlT_E_NS1_11comp_targetILNS1_3genE10ELNS1_11target_archE1201ELNS1_3gpuE5ELNS1_3repE0EEENS1_30default_config_static_selectorELNS0_4arch9wavefront6targetE1EEEvSR_.private_seg_size, 0
	.set _ZN7rocprim17ROCPRIM_400000_NS6detail17trampoline_kernelINS0_14default_configENS1_32segmented_reduce_config_selectorIN3c108BFloat16EEEZNS1_21segmented_reduce_implIS3_PKS6_PS6_PKiS6_N6hipcub16HIPCUB_304000_NS6detail27convert_result_type_wrapperISA_SB_N2at6native12_GLOBAL__N_19CustomSumEEEEE10hipError_tPvRmT0_T1_jT2_SS_T4_T3_P12ihipStream_tbEUlT_E_NS1_11comp_targetILNS1_3genE10ELNS1_11target_archE1201ELNS1_3gpuE5ELNS1_3repE0EEENS1_30default_config_static_selectorELNS0_4arch9wavefront6targetE1EEEvSR_.uses_vcc, 0
	.set _ZN7rocprim17ROCPRIM_400000_NS6detail17trampoline_kernelINS0_14default_configENS1_32segmented_reduce_config_selectorIN3c108BFloat16EEEZNS1_21segmented_reduce_implIS3_PKS6_PS6_PKiS6_N6hipcub16HIPCUB_304000_NS6detail27convert_result_type_wrapperISA_SB_N2at6native12_GLOBAL__N_19CustomSumEEEEE10hipError_tPvRmT0_T1_jT2_SS_T4_T3_P12ihipStream_tbEUlT_E_NS1_11comp_targetILNS1_3genE10ELNS1_11target_archE1201ELNS1_3gpuE5ELNS1_3repE0EEENS1_30default_config_static_selectorELNS0_4arch9wavefront6targetE1EEEvSR_.uses_flat_scratch, 0
	.set _ZN7rocprim17ROCPRIM_400000_NS6detail17trampoline_kernelINS0_14default_configENS1_32segmented_reduce_config_selectorIN3c108BFloat16EEEZNS1_21segmented_reduce_implIS3_PKS6_PS6_PKiS6_N6hipcub16HIPCUB_304000_NS6detail27convert_result_type_wrapperISA_SB_N2at6native12_GLOBAL__N_19CustomSumEEEEE10hipError_tPvRmT0_T1_jT2_SS_T4_T3_P12ihipStream_tbEUlT_E_NS1_11comp_targetILNS1_3genE10ELNS1_11target_archE1201ELNS1_3gpuE5ELNS1_3repE0EEENS1_30default_config_static_selectorELNS0_4arch9wavefront6targetE1EEEvSR_.has_dyn_sized_stack, 0
	.set _ZN7rocprim17ROCPRIM_400000_NS6detail17trampoline_kernelINS0_14default_configENS1_32segmented_reduce_config_selectorIN3c108BFloat16EEEZNS1_21segmented_reduce_implIS3_PKS6_PS6_PKiS6_N6hipcub16HIPCUB_304000_NS6detail27convert_result_type_wrapperISA_SB_N2at6native12_GLOBAL__N_19CustomSumEEEEE10hipError_tPvRmT0_T1_jT2_SS_T4_T3_P12ihipStream_tbEUlT_E_NS1_11comp_targetILNS1_3genE10ELNS1_11target_archE1201ELNS1_3gpuE5ELNS1_3repE0EEENS1_30default_config_static_selectorELNS0_4arch9wavefront6targetE1EEEvSR_.has_recursion, 0
	.set _ZN7rocprim17ROCPRIM_400000_NS6detail17trampoline_kernelINS0_14default_configENS1_32segmented_reduce_config_selectorIN3c108BFloat16EEEZNS1_21segmented_reduce_implIS3_PKS6_PS6_PKiS6_N6hipcub16HIPCUB_304000_NS6detail27convert_result_type_wrapperISA_SB_N2at6native12_GLOBAL__N_19CustomSumEEEEE10hipError_tPvRmT0_T1_jT2_SS_T4_T3_P12ihipStream_tbEUlT_E_NS1_11comp_targetILNS1_3genE10ELNS1_11target_archE1201ELNS1_3gpuE5ELNS1_3repE0EEENS1_30default_config_static_selectorELNS0_4arch9wavefront6targetE1EEEvSR_.has_indirect_call, 0
	.section	.AMDGPU.csdata,"",@progbits
; Kernel info:
; codeLenInByte = 0
; TotalNumSgprs: 4
; NumVgprs: 0
; ScratchSize: 0
; MemoryBound: 0
; FloatMode: 240
; IeeeMode: 1
; LDSByteSize: 0 bytes/workgroup (compile time only)
; SGPRBlocks: 0
; VGPRBlocks: 0
; NumSGPRsForWavesPerEU: 4
; NumVGPRsForWavesPerEU: 1
; Occupancy: 10
; WaveLimiterHint : 0
; COMPUTE_PGM_RSRC2:SCRATCH_EN: 0
; COMPUTE_PGM_RSRC2:USER_SGPR: 6
; COMPUTE_PGM_RSRC2:TRAP_HANDLER: 0
; COMPUTE_PGM_RSRC2:TGID_X_EN: 1
; COMPUTE_PGM_RSRC2:TGID_Y_EN: 0
; COMPUTE_PGM_RSRC2:TGID_Z_EN: 0
; COMPUTE_PGM_RSRC2:TIDIG_COMP_CNT: 0
	.section	.text._ZN7rocprim17ROCPRIM_400000_NS6detail17trampoline_kernelINS0_14default_configENS1_32segmented_reduce_config_selectorIN3c108BFloat16EEEZNS1_21segmented_reduce_implIS3_PKS6_PS6_PKiS6_N6hipcub16HIPCUB_304000_NS6detail27convert_result_type_wrapperISA_SB_N2at6native12_GLOBAL__N_19CustomSumEEEEE10hipError_tPvRmT0_T1_jT2_SS_T4_T3_P12ihipStream_tbEUlT_E_NS1_11comp_targetILNS1_3genE4ELNS1_11target_archE910ELNS1_3gpuE8ELNS1_3repE0EEENS1_30default_config_static_selectorELNS0_4arch9wavefront6targetE1EEEvSR_,"axG",@progbits,_ZN7rocprim17ROCPRIM_400000_NS6detail17trampoline_kernelINS0_14default_configENS1_32segmented_reduce_config_selectorIN3c108BFloat16EEEZNS1_21segmented_reduce_implIS3_PKS6_PS6_PKiS6_N6hipcub16HIPCUB_304000_NS6detail27convert_result_type_wrapperISA_SB_N2at6native12_GLOBAL__N_19CustomSumEEEEE10hipError_tPvRmT0_T1_jT2_SS_T4_T3_P12ihipStream_tbEUlT_E_NS1_11comp_targetILNS1_3genE4ELNS1_11target_archE910ELNS1_3gpuE8ELNS1_3repE0EEENS1_30default_config_static_selectorELNS0_4arch9wavefront6targetE1EEEvSR_,comdat
	.globl	_ZN7rocprim17ROCPRIM_400000_NS6detail17trampoline_kernelINS0_14default_configENS1_32segmented_reduce_config_selectorIN3c108BFloat16EEEZNS1_21segmented_reduce_implIS3_PKS6_PS6_PKiS6_N6hipcub16HIPCUB_304000_NS6detail27convert_result_type_wrapperISA_SB_N2at6native12_GLOBAL__N_19CustomSumEEEEE10hipError_tPvRmT0_T1_jT2_SS_T4_T3_P12ihipStream_tbEUlT_E_NS1_11comp_targetILNS1_3genE4ELNS1_11target_archE910ELNS1_3gpuE8ELNS1_3repE0EEENS1_30default_config_static_selectorELNS0_4arch9wavefront6targetE1EEEvSR_ ; -- Begin function _ZN7rocprim17ROCPRIM_400000_NS6detail17trampoline_kernelINS0_14default_configENS1_32segmented_reduce_config_selectorIN3c108BFloat16EEEZNS1_21segmented_reduce_implIS3_PKS6_PS6_PKiS6_N6hipcub16HIPCUB_304000_NS6detail27convert_result_type_wrapperISA_SB_N2at6native12_GLOBAL__N_19CustomSumEEEEE10hipError_tPvRmT0_T1_jT2_SS_T4_T3_P12ihipStream_tbEUlT_E_NS1_11comp_targetILNS1_3genE4ELNS1_11target_archE910ELNS1_3gpuE8ELNS1_3repE0EEENS1_30default_config_static_selectorELNS0_4arch9wavefront6targetE1EEEvSR_
	.p2align	8
	.type	_ZN7rocprim17ROCPRIM_400000_NS6detail17trampoline_kernelINS0_14default_configENS1_32segmented_reduce_config_selectorIN3c108BFloat16EEEZNS1_21segmented_reduce_implIS3_PKS6_PS6_PKiS6_N6hipcub16HIPCUB_304000_NS6detail27convert_result_type_wrapperISA_SB_N2at6native12_GLOBAL__N_19CustomSumEEEEE10hipError_tPvRmT0_T1_jT2_SS_T4_T3_P12ihipStream_tbEUlT_E_NS1_11comp_targetILNS1_3genE4ELNS1_11target_archE910ELNS1_3gpuE8ELNS1_3repE0EEENS1_30default_config_static_selectorELNS0_4arch9wavefront6targetE1EEEvSR_,@function
_ZN7rocprim17ROCPRIM_400000_NS6detail17trampoline_kernelINS0_14default_configENS1_32segmented_reduce_config_selectorIN3c108BFloat16EEEZNS1_21segmented_reduce_implIS3_PKS6_PS6_PKiS6_N6hipcub16HIPCUB_304000_NS6detail27convert_result_type_wrapperISA_SB_N2at6native12_GLOBAL__N_19CustomSumEEEEE10hipError_tPvRmT0_T1_jT2_SS_T4_T3_P12ihipStream_tbEUlT_E_NS1_11comp_targetILNS1_3genE4ELNS1_11target_archE910ELNS1_3gpuE8ELNS1_3repE0EEENS1_30default_config_static_selectorELNS0_4arch9wavefront6targetE1EEEvSR_: ; @_ZN7rocprim17ROCPRIM_400000_NS6detail17trampoline_kernelINS0_14default_configENS1_32segmented_reduce_config_selectorIN3c108BFloat16EEEZNS1_21segmented_reduce_implIS3_PKS6_PS6_PKiS6_N6hipcub16HIPCUB_304000_NS6detail27convert_result_type_wrapperISA_SB_N2at6native12_GLOBAL__N_19CustomSumEEEEE10hipError_tPvRmT0_T1_jT2_SS_T4_T3_P12ihipStream_tbEUlT_E_NS1_11comp_targetILNS1_3genE4ELNS1_11target_archE910ELNS1_3gpuE8ELNS1_3repE0EEENS1_30default_config_static_selectorELNS0_4arch9wavefront6targetE1EEEvSR_
; %bb.0:
	.section	.rodata,"a",@progbits
	.p2align	6, 0x0
	.amdhsa_kernel _ZN7rocprim17ROCPRIM_400000_NS6detail17trampoline_kernelINS0_14default_configENS1_32segmented_reduce_config_selectorIN3c108BFloat16EEEZNS1_21segmented_reduce_implIS3_PKS6_PS6_PKiS6_N6hipcub16HIPCUB_304000_NS6detail27convert_result_type_wrapperISA_SB_N2at6native12_GLOBAL__N_19CustomSumEEEEE10hipError_tPvRmT0_T1_jT2_SS_T4_T3_P12ihipStream_tbEUlT_E_NS1_11comp_targetILNS1_3genE4ELNS1_11target_archE910ELNS1_3gpuE8ELNS1_3repE0EEENS1_30default_config_static_selectorELNS0_4arch9wavefront6targetE1EEEvSR_
		.amdhsa_group_segment_fixed_size 0
		.amdhsa_private_segment_fixed_size 0
		.amdhsa_kernarg_size 48
		.amdhsa_user_sgpr_count 6
		.amdhsa_user_sgpr_private_segment_buffer 1
		.amdhsa_user_sgpr_dispatch_ptr 0
		.amdhsa_user_sgpr_queue_ptr 0
		.amdhsa_user_sgpr_kernarg_segment_ptr 1
		.amdhsa_user_sgpr_dispatch_id 0
		.amdhsa_user_sgpr_flat_scratch_init 0
		.amdhsa_user_sgpr_private_segment_size 0
		.amdhsa_uses_dynamic_stack 0
		.amdhsa_system_sgpr_private_segment_wavefront_offset 0
		.amdhsa_system_sgpr_workgroup_id_x 1
		.amdhsa_system_sgpr_workgroup_id_y 0
		.amdhsa_system_sgpr_workgroup_id_z 0
		.amdhsa_system_sgpr_workgroup_info 0
		.amdhsa_system_vgpr_workitem_id 0
		.amdhsa_next_free_vgpr 1
		.amdhsa_next_free_sgpr 0
		.amdhsa_reserve_vcc 0
		.amdhsa_reserve_flat_scratch 0
		.amdhsa_float_round_mode_32 0
		.amdhsa_float_round_mode_16_64 0
		.amdhsa_float_denorm_mode_32 3
		.amdhsa_float_denorm_mode_16_64 3
		.amdhsa_dx10_clamp 1
		.amdhsa_ieee_mode 1
		.amdhsa_fp16_overflow 0
		.amdhsa_exception_fp_ieee_invalid_op 0
		.amdhsa_exception_fp_denorm_src 0
		.amdhsa_exception_fp_ieee_div_zero 0
		.amdhsa_exception_fp_ieee_overflow 0
		.amdhsa_exception_fp_ieee_underflow 0
		.amdhsa_exception_fp_ieee_inexact 0
		.amdhsa_exception_int_div_zero 0
	.end_amdhsa_kernel
	.section	.text._ZN7rocprim17ROCPRIM_400000_NS6detail17trampoline_kernelINS0_14default_configENS1_32segmented_reduce_config_selectorIN3c108BFloat16EEEZNS1_21segmented_reduce_implIS3_PKS6_PS6_PKiS6_N6hipcub16HIPCUB_304000_NS6detail27convert_result_type_wrapperISA_SB_N2at6native12_GLOBAL__N_19CustomSumEEEEE10hipError_tPvRmT0_T1_jT2_SS_T4_T3_P12ihipStream_tbEUlT_E_NS1_11comp_targetILNS1_3genE4ELNS1_11target_archE910ELNS1_3gpuE8ELNS1_3repE0EEENS1_30default_config_static_selectorELNS0_4arch9wavefront6targetE1EEEvSR_,"axG",@progbits,_ZN7rocprim17ROCPRIM_400000_NS6detail17trampoline_kernelINS0_14default_configENS1_32segmented_reduce_config_selectorIN3c108BFloat16EEEZNS1_21segmented_reduce_implIS3_PKS6_PS6_PKiS6_N6hipcub16HIPCUB_304000_NS6detail27convert_result_type_wrapperISA_SB_N2at6native12_GLOBAL__N_19CustomSumEEEEE10hipError_tPvRmT0_T1_jT2_SS_T4_T3_P12ihipStream_tbEUlT_E_NS1_11comp_targetILNS1_3genE4ELNS1_11target_archE910ELNS1_3gpuE8ELNS1_3repE0EEENS1_30default_config_static_selectorELNS0_4arch9wavefront6targetE1EEEvSR_,comdat
.Lfunc_end122:
	.size	_ZN7rocprim17ROCPRIM_400000_NS6detail17trampoline_kernelINS0_14default_configENS1_32segmented_reduce_config_selectorIN3c108BFloat16EEEZNS1_21segmented_reduce_implIS3_PKS6_PS6_PKiS6_N6hipcub16HIPCUB_304000_NS6detail27convert_result_type_wrapperISA_SB_N2at6native12_GLOBAL__N_19CustomSumEEEEE10hipError_tPvRmT0_T1_jT2_SS_T4_T3_P12ihipStream_tbEUlT_E_NS1_11comp_targetILNS1_3genE4ELNS1_11target_archE910ELNS1_3gpuE8ELNS1_3repE0EEENS1_30default_config_static_selectorELNS0_4arch9wavefront6targetE1EEEvSR_, .Lfunc_end122-_ZN7rocprim17ROCPRIM_400000_NS6detail17trampoline_kernelINS0_14default_configENS1_32segmented_reduce_config_selectorIN3c108BFloat16EEEZNS1_21segmented_reduce_implIS3_PKS6_PS6_PKiS6_N6hipcub16HIPCUB_304000_NS6detail27convert_result_type_wrapperISA_SB_N2at6native12_GLOBAL__N_19CustomSumEEEEE10hipError_tPvRmT0_T1_jT2_SS_T4_T3_P12ihipStream_tbEUlT_E_NS1_11comp_targetILNS1_3genE4ELNS1_11target_archE910ELNS1_3gpuE8ELNS1_3repE0EEENS1_30default_config_static_selectorELNS0_4arch9wavefront6targetE1EEEvSR_
                                        ; -- End function
	.set _ZN7rocprim17ROCPRIM_400000_NS6detail17trampoline_kernelINS0_14default_configENS1_32segmented_reduce_config_selectorIN3c108BFloat16EEEZNS1_21segmented_reduce_implIS3_PKS6_PS6_PKiS6_N6hipcub16HIPCUB_304000_NS6detail27convert_result_type_wrapperISA_SB_N2at6native12_GLOBAL__N_19CustomSumEEEEE10hipError_tPvRmT0_T1_jT2_SS_T4_T3_P12ihipStream_tbEUlT_E_NS1_11comp_targetILNS1_3genE4ELNS1_11target_archE910ELNS1_3gpuE8ELNS1_3repE0EEENS1_30default_config_static_selectorELNS0_4arch9wavefront6targetE1EEEvSR_.num_vgpr, 0
	.set _ZN7rocprim17ROCPRIM_400000_NS6detail17trampoline_kernelINS0_14default_configENS1_32segmented_reduce_config_selectorIN3c108BFloat16EEEZNS1_21segmented_reduce_implIS3_PKS6_PS6_PKiS6_N6hipcub16HIPCUB_304000_NS6detail27convert_result_type_wrapperISA_SB_N2at6native12_GLOBAL__N_19CustomSumEEEEE10hipError_tPvRmT0_T1_jT2_SS_T4_T3_P12ihipStream_tbEUlT_E_NS1_11comp_targetILNS1_3genE4ELNS1_11target_archE910ELNS1_3gpuE8ELNS1_3repE0EEENS1_30default_config_static_selectorELNS0_4arch9wavefront6targetE1EEEvSR_.num_agpr, 0
	.set _ZN7rocprim17ROCPRIM_400000_NS6detail17trampoline_kernelINS0_14default_configENS1_32segmented_reduce_config_selectorIN3c108BFloat16EEEZNS1_21segmented_reduce_implIS3_PKS6_PS6_PKiS6_N6hipcub16HIPCUB_304000_NS6detail27convert_result_type_wrapperISA_SB_N2at6native12_GLOBAL__N_19CustomSumEEEEE10hipError_tPvRmT0_T1_jT2_SS_T4_T3_P12ihipStream_tbEUlT_E_NS1_11comp_targetILNS1_3genE4ELNS1_11target_archE910ELNS1_3gpuE8ELNS1_3repE0EEENS1_30default_config_static_selectorELNS0_4arch9wavefront6targetE1EEEvSR_.numbered_sgpr, 0
	.set _ZN7rocprim17ROCPRIM_400000_NS6detail17trampoline_kernelINS0_14default_configENS1_32segmented_reduce_config_selectorIN3c108BFloat16EEEZNS1_21segmented_reduce_implIS3_PKS6_PS6_PKiS6_N6hipcub16HIPCUB_304000_NS6detail27convert_result_type_wrapperISA_SB_N2at6native12_GLOBAL__N_19CustomSumEEEEE10hipError_tPvRmT0_T1_jT2_SS_T4_T3_P12ihipStream_tbEUlT_E_NS1_11comp_targetILNS1_3genE4ELNS1_11target_archE910ELNS1_3gpuE8ELNS1_3repE0EEENS1_30default_config_static_selectorELNS0_4arch9wavefront6targetE1EEEvSR_.num_named_barrier, 0
	.set _ZN7rocprim17ROCPRIM_400000_NS6detail17trampoline_kernelINS0_14default_configENS1_32segmented_reduce_config_selectorIN3c108BFloat16EEEZNS1_21segmented_reduce_implIS3_PKS6_PS6_PKiS6_N6hipcub16HIPCUB_304000_NS6detail27convert_result_type_wrapperISA_SB_N2at6native12_GLOBAL__N_19CustomSumEEEEE10hipError_tPvRmT0_T1_jT2_SS_T4_T3_P12ihipStream_tbEUlT_E_NS1_11comp_targetILNS1_3genE4ELNS1_11target_archE910ELNS1_3gpuE8ELNS1_3repE0EEENS1_30default_config_static_selectorELNS0_4arch9wavefront6targetE1EEEvSR_.private_seg_size, 0
	.set _ZN7rocprim17ROCPRIM_400000_NS6detail17trampoline_kernelINS0_14default_configENS1_32segmented_reduce_config_selectorIN3c108BFloat16EEEZNS1_21segmented_reduce_implIS3_PKS6_PS6_PKiS6_N6hipcub16HIPCUB_304000_NS6detail27convert_result_type_wrapperISA_SB_N2at6native12_GLOBAL__N_19CustomSumEEEEE10hipError_tPvRmT0_T1_jT2_SS_T4_T3_P12ihipStream_tbEUlT_E_NS1_11comp_targetILNS1_3genE4ELNS1_11target_archE910ELNS1_3gpuE8ELNS1_3repE0EEENS1_30default_config_static_selectorELNS0_4arch9wavefront6targetE1EEEvSR_.uses_vcc, 0
	.set _ZN7rocprim17ROCPRIM_400000_NS6detail17trampoline_kernelINS0_14default_configENS1_32segmented_reduce_config_selectorIN3c108BFloat16EEEZNS1_21segmented_reduce_implIS3_PKS6_PS6_PKiS6_N6hipcub16HIPCUB_304000_NS6detail27convert_result_type_wrapperISA_SB_N2at6native12_GLOBAL__N_19CustomSumEEEEE10hipError_tPvRmT0_T1_jT2_SS_T4_T3_P12ihipStream_tbEUlT_E_NS1_11comp_targetILNS1_3genE4ELNS1_11target_archE910ELNS1_3gpuE8ELNS1_3repE0EEENS1_30default_config_static_selectorELNS0_4arch9wavefront6targetE1EEEvSR_.uses_flat_scratch, 0
	.set _ZN7rocprim17ROCPRIM_400000_NS6detail17trampoline_kernelINS0_14default_configENS1_32segmented_reduce_config_selectorIN3c108BFloat16EEEZNS1_21segmented_reduce_implIS3_PKS6_PS6_PKiS6_N6hipcub16HIPCUB_304000_NS6detail27convert_result_type_wrapperISA_SB_N2at6native12_GLOBAL__N_19CustomSumEEEEE10hipError_tPvRmT0_T1_jT2_SS_T4_T3_P12ihipStream_tbEUlT_E_NS1_11comp_targetILNS1_3genE4ELNS1_11target_archE910ELNS1_3gpuE8ELNS1_3repE0EEENS1_30default_config_static_selectorELNS0_4arch9wavefront6targetE1EEEvSR_.has_dyn_sized_stack, 0
	.set _ZN7rocprim17ROCPRIM_400000_NS6detail17trampoline_kernelINS0_14default_configENS1_32segmented_reduce_config_selectorIN3c108BFloat16EEEZNS1_21segmented_reduce_implIS3_PKS6_PS6_PKiS6_N6hipcub16HIPCUB_304000_NS6detail27convert_result_type_wrapperISA_SB_N2at6native12_GLOBAL__N_19CustomSumEEEEE10hipError_tPvRmT0_T1_jT2_SS_T4_T3_P12ihipStream_tbEUlT_E_NS1_11comp_targetILNS1_3genE4ELNS1_11target_archE910ELNS1_3gpuE8ELNS1_3repE0EEENS1_30default_config_static_selectorELNS0_4arch9wavefront6targetE1EEEvSR_.has_recursion, 0
	.set _ZN7rocprim17ROCPRIM_400000_NS6detail17trampoline_kernelINS0_14default_configENS1_32segmented_reduce_config_selectorIN3c108BFloat16EEEZNS1_21segmented_reduce_implIS3_PKS6_PS6_PKiS6_N6hipcub16HIPCUB_304000_NS6detail27convert_result_type_wrapperISA_SB_N2at6native12_GLOBAL__N_19CustomSumEEEEE10hipError_tPvRmT0_T1_jT2_SS_T4_T3_P12ihipStream_tbEUlT_E_NS1_11comp_targetILNS1_3genE4ELNS1_11target_archE910ELNS1_3gpuE8ELNS1_3repE0EEENS1_30default_config_static_selectorELNS0_4arch9wavefront6targetE1EEEvSR_.has_indirect_call, 0
	.section	.AMDGPU.csdata,"",@progbits
; Kernel info:
; codeLenInByte = 0
; TotalNumSgprs: 4
; NumVgprs: 0
; ScratchSize: 0
; MemoryBound: 0
; FloatMode: 240
; IeeeMode: 1
; LDSByteSize: 0 bytes/workgroup (compile time only)
; SGPRBlocks: 0
; VGPRBlocks: 0
; NumSGPRsForWavesPerEU: 4
; NumVGPRsForWavesPerEU: 1
; Occupancy: 10
; WaveLimiterHint : 0
; COMPUTE_PGM_RSRC2:SCRATCH_EN: 0
; COMPUTE_PGM_RSRC2:USER_SGPR: 6
; COMPUTE_PGM_RSRC2:TRAP_HANDLER: 0
; COMPUTE_PGM_RSRC2:TGID_X_EN: 1
; COMPUTE_PGM_RSRC2:TGID_Y_EN: 0
; COMPUTE_PGM_RSRC2:TGID_Z_EN: 0
; COMPUTE_PGM_RSRC2:TIDIG_COMP_CNT: 0
	.section	.text._ZN7rocprim17ROCPRIM_400000_NS6detail17trampoline_kernelINS0_14default_configENS1_32segmented_reduce_config_selectorIN3c108BFloat16EEEZNS1_21segmented_reduce_implIS3_PKS6_PS6_PKiS6_N6hipcub16HIPCUB_304000_NS6detail27convert_result_type_wrapperISA_SB_N2at6native12_GLOBAL__N_19CustomSumEEEEE10hipError_tPvRmT0_T1_jT2_SS_T4_T3_P12ihipStream_tbEUlT_E_NS1_11comp_targetILNS1_3genE3ELNS1_11target_archE908ELNS1_3gpuE7ELNS1_3repE0EEENS1_30default_config_static_selectorELNS0_4arch9wavefront6targetE1EEEvSR_,"axG",@progbits,_ZN7rocprim17ROCPRIM_400000_NS6detail17trampoline_kernelINS0_14default_configENS1_32segmented_reduce_config_selectorIN3c108BFloat16EEEZNS1_21segmented_reduce_implIS3_PKS6_PS6_PKiS6_N6hipcub16HIPCUB_304000_NS6detail27convert_result_type_wrapperISA_SB_N2at6native12_GLOBAL__N_19CustomSumEEEEE10hipError_tPvRmT0_T1_jT2_SS_T4_T3_P12ihipStream_tbEUlT_E_NS1_11comp_targetILNS1_3genE3ELNS1_11target_archE908ELNS1_3gpuE7ELNS1_3repE0EEENS1_30default_config_static_selectorELNS0_4arch9wavefront6targetE1EEEvSR_,comdat
	.globl	_ZN7rocprim17ROCPRIM_400000_NS6detail17trampoline_kernelINS0_14default_configENS1_32segmented_reduce_config_selectorIN3c108BFloat16EEEZNS1_21segmented_reduce_implIS3_PKS6_PS6_PKiS6_N6hipcub16HIPCUB_304000_NS6detail27convert_result_type_wrapperISA_SB_N2at6native12_GLOBAL__N_19CustomSumEEEEE10hipError_tPvRmT0_T1_jT2_SS_T4_T3_P12ihipStream_tbEUlT_E_NS1_11comp_targetILNS1_3genE3ELNS1_11target_archE908ELNS1_3gpuE7ELNS1_3repE0EEENS1_30default_config_static_selectorELNS0_4arch9wavefront6targetE1EEEvSR_ ; -- Begin function _ZN7rocprim17ROCPRIM_400000_NS6detail17trampoline_kernelINS0_14default_configENS1_32segmented_reduce_config_selectorIN3c108BFloat16EEEZNS1_21segmented_reduce_implIS3_PKS6_PS6_PKiS6_N6hipcub16HIPCUB_304000_NS6detail27convert_result_type_wrapperISA_SB_N2at6native12_GLOBAL__N_19CustomSumEEEEE10hipError_tPvRmT0_T1_jT2_SS_T4_T3_P12ihipStream_tbEUlT_E_NS1_11comp_targetILNS1_3genE3ELNS1_11target_archE908ELNS1_3gpuE7ELNS1_3repE0EEENS1_30default_config_static_selectorELNS0_4arch9wavefront6targetE1EEEvSR_
	.p2align	8
	.type	_ZN7rocprim17ROCPRIM_400000_NS6detail17trampoline_kernelINS0_14default_configENS1_32segmented_reduce_config_selectorIN3c108BFloat16EEEZNS1_21segmented_reduce_implIS3_PKS6_PS6_PKiS6_N6hipcub16HIPCUB_304000_NS6detail27convert_result_type_wrapperISA_SB_N2at6native12_GLOBAL__N_19CustomSumEEEEE10hipError_tPvRmT0_T1_jT2_SS_T4_T3_P12ihipStream_tbEUlT_E_NS1_11comp_targetILNS1_3genE3ELNS1_11target_archE908ELNS1_3gpuE7ELNS1_3repE0EEENS1_30default_config_static_selectorELNS0_4arch9wavefront6targetE1EEEvSR_,@function
_ZN7rocprim17ROCPRIM_400000_NS6detail17trampoline_kernelINS0_14default_configENS1_32segmented_reduce_config_selectorIN3c108BFloat16EEEZNS1_21segmented_reduce_implIS3_PKS6_PS6_PKiS6_N6hipcub16HIPCUB_304000_NS6detail27convert_result_type_wrapperISA_SB_N2at6native12_GLOBAL__N_19CustomSumEEEEE10hipError_tPvRmT0_T1_jT2_SS_T4_T3_P12ihipStream_tbEUlT_E_NS1_11comp_targetILNS1_3genE3ELNS1_11target_archE908ELNS1_3gpuE7ELNS1_3repE0EEENS1_30default_config_static_selectorELNS0_4arch9wavefront6targetE1EEEvSR_: ; @_ZN7rocprim17ROCPRIM_400000_NS6detail17trampoline_kernelINS0_14default_configENS1_32segmented_reduce_config_selectorIN3c108BFloat16EEEZNS1_21segmented_reduce_implIS3_PKS6_PS6_PKiS6_N6hipcub16HIPCUB_304000_NS6detail27convert_result_type_wrapperISA_SB_N2at6native12_GLOBAL__N_19CustomSumEEEEE10hipError_tPvRmT0_T1_jT2_SS_T4_T3_P12ihipStream_tbEUlT_E_NS1_11comp_targetILNS1_3genE3ELNS1_11target_archE908ELNS1_3gpuE7ELNS1_3repE0EEENS1_30default_config_static_selectorELNS0_4arch9wavefront6targetE1EEEvSR_
; %bb.0:
	.section	.rodata,"a",@progbits
	.p2align	6, 0x0
	.amdhsa_kernel _ZN7rocprim17ROCPRIM_400000_NS6detail17trampoline_kernelINS0_14default_configENS1_32segmented_reduce_config_selectorIN3c108BFloat16EEEZNS1_21segmented_reduce_implIS3_PKS6_PS6_PKiS6_N6hipcub16HIPCUB_304000_NS6detail27convert_result_type_wrapperISA_SB_N2at6native12_GLOBAL__N_19CustomSumEEEEE10hipError_tPvRmT0_T1_jT2_SS_T4_T3_P12ihipStream_tbEUlT_E_NS1_11comp_targetILNS1_3genE3ELNS1_11target_archE908ELNS1_3gpuE7ELNS1_3repE0EEENS1_30default_config_static_selectorELNS0_4arch9wavefront6targetE1EEEvSR_
		.amdhsa_group_segment_fixed_size 0
		.amdhsa_private_segment_fixed_size 0
		.amdhsa_kernarg_size 48
		.amdhsa_user_sgpr_count 6
		.amdhsa_user_sgpr_private_segment_buffer 1
		.amdhsa_user_sgpr_dispatch_ptr 0
		.amdhsa_user_sgpr_queue_ptr 0
		.amdhsa_user_sgpr_kernarg_segment_ptr 1
		.amdhsa_user_sgpr_dispatch_id 0
		.amdhsa_user_sgpr_flat_scratch_init 0
		.amdhsa_user_sgpr_private_segment_size 0
		.amdhsa_uses_dynamic_stack 0
		.amdhsa_system_sgpr_private_segment_wavefront_offset 0
		.amdhsa_system_sgpr_workgroup_id_x 1
		.amdhsa_system_sgpr_workgroup_id_y 0
		.amdhsa_system_sgpr_workgroup_id_z 0
		.amdhsa_system_sgpr_workgroup_info 0
		.amdhsa_system_vgpr_workitem_id 0
		.amdhsa_next_free_vgpr 1
		.amdhsa_next_free_sgpr 0
		.amdhsa_reserve_vcc 0
		.amdhsa_reserve_flat_scratch 0
		.amdhsa_float_round_mode_32 0
		.amdhsa_float_round_mode_16_64 0
		.amdhsa_float_denorm_mode_32 3
		.amdhsa_float_denorm_mode_16_64 3
		.amdhsa_dx10_clamp 1
		.amdhsa_ieee_mode 1
		.amdhsa_fp16_overflow 0
		.amdhsa_exception_fp_ieee_invalid_op 0
		.amdhsa_exception_fp_denorm_src 0
		.amdhsa_exception_fp_ieee_div_zero 0
		.amdhsa_exception_fp_ieee_overflow 0
		.amdhsa_exception_fp_ieee_underflow 0
		.amdhsa_exception_fp_ieee_inexact 0
		.amdhsa_exception_int_div_zero 0
	.end_amdhsa_kernel
	.section	.text._ZN7rocprim17ROCPRIM_400000_NS6detail17trampoline_kernelINS0_14default_configENS1_32segmented_reduce_config_selectorIN3c108BFloat16EEEZNS1_21segmented_reduce_implIS3_PKS6_PS6_PKiS6_N6hipcub16HIPCUB_304000_NS6detail27convert_result_type_wrapperISA_SB_N2at6native12_GLOBAL__N_19CustomSumEEEEE10hipError_tPvRmT0_T1_jT2_SS_T4_T3_P12ihipStream_tbEUlT_E_NS1_11comp_targetILNS1_3genE3ELNS1_11target_archE908ELNS1_3gpuE7ELNS1_3repE0EEENS1_30default_config_static_selectorELNS0_4arch9wavefront6targetE1EEEvSR_,"axG",@progbits,_ZN7rocprim17ROCPRIM_400000_NS6detail17trampoline_kernelINS0_14default_configENS1_32segmented_reduce_config_selectorIN3c108BFloat16EEEZNS1_21segmented_reduce_implIS3_PKS6_PS6_PKiS6_N6hipcub16HIPCUB_304000_NS6detail27convert_result_type_wrapperISA_SB_N2at6native12_GLOBAL__N_19CustomSumEEEEE10hipError_tPvRmT0_T1_jT2_SS_T4_T3_P12ihipStream_tbEUlT_E_NS1_11comp_targetILNS1_3genE3ELNS1_11target_archE908ELNS1_3gpuE7ELNS1_3repE0EEENS1_30default_config_static_selectorELNS0_4arch9wavefront6targetE1EEEvSR_,comdat
.Lfunc_end123:
	.size	_ZN7rocprim17ROCPRIM_400000_NS6detail17trampoline_kernelINS0_14default_configENS1_32segmented_reduce_config_selectorIN3c108BFloat16EEEZNS1_21segmented_reduce_implIS3_PKS6_PS6_PKiS6_N6hipcub16HIPCUB_304000_NS6detail27convert_result_type_wrapperISA_SB_N2at6native12_GLOBAL__N_19CustomSumEEEEE10hipError_tPvRmT0_T1_jT2_SS_T4_T3_P12ihipStream_tbEUlT_E_NS1_11comp_targetILNS1_3genE3ELNS1_11target_archE908ELNS1_3gpuE7ELNS1_3repE0EEENS1_30default_config_static_selectorELNS0_4arch9wavefront6targetE1EEEvSR_, .Lfunc_end123-_ZN7rocprim17ROCPRIM_400000_NS6detail17trampoline_kernelINS0_14default_configENS1_32segmented_reduce_config_selectorIN3c108BFloat16EEEZNS1_21segmented_reduce_implIS3_PKS6_PS6_PKiS6_N6hipcub16HIPCUB_304000_NS6detail27convert_result_type_wrapperISA_SB_N2at6native12_GLOBAL__N_19CustomSumEEEEE10hipError_tPvRmT0_T1_jT2_SS_T4_T3_P12ihipStream_tbEUlT_E_NS1_11comp_targetILNS1_3genE3ELNS1_11target_archE908ELNS1_3gpuE7ELNS1_3repE0EEENS1_30default_config_static_selectorELNS0_4arch9wavefront6targetE1EEEvSR_
                                        ; -- End function
	.set _ZN7rocprim17ROCPRIM_400000_NS6detail17trampoline_kernelINS0_14default_configENS1_32segmented_reduce_config_selectorIN3c108BFloat16EEEZNS1_21segmented_reduce_implIS3_PKS6_PS6_PKiS6_N6hipcub16HIPCUB_304000_NS6detail27convert_result_type_wrapperISA_SB_N2at6native12_GLOBAL__N_19CustomSumEEEEE10hipError_tPvRmT0_T1_jT2_SS_T4_T3_P12ihipStream_tbEUlT_E_NS1_11comp_targetILNS1_3genE3ELNS1_11target_archE908ELNS1_3gpuE7ELNS1_3repE0EEENS1_30default_config_static_selectorELNS0_4arch9wavefront6targetE1EEEvSR_.num_vgpr, 0
	.set _ZN7rocprim17ROCPRIM_400000_NS6detail17trampoline_kernelINS0_14default_configENS1_32segmented_reduce_config_selectorIN3c108BFloat16EEEZNS1_21segmented_reduce_implIS3_PKS6_PS6_PKiS6_N6hipcub16HIPCUB_304000_NS6detail27convert_result_type_wrapperISA_SB_N2at6native12_GLOBAL__N_19CustomSumEEEEE10hipError_tPvRmT0_T1_jT2_SS_T4_T3_P12ihipStream_tbEUlT_E_NS1_11comp_targetILNS1_3genE3ELNS1_11target_archE908ELNS1_3gpuE7ELNS1_3repE0EEENS1_30default_config_static_selectorELNS0_4arch9wavefront6targetE1EEEvSR_.num_agpr, 0
	.set _ZN7rocprim17ROCPRIM_400000_NS6detail17trampoline_kernelINS0_14default_configENS1_32segmented_reduce_config_selectorIN3c108BFloat16EEEZNS1_21segmented_reduce_implIS3_PKS6_PS6_PKiS6_N6hipcub16HIPCUB_304000_NS6detail27convert_result_type_wrapperISA_SB_N2at6native12_GLOBAL__N_19CustomSumEEEEE10hipError_tPvRmT0_T1_jT2_SS_T4_T3_P12ihipStream_tbEUlT_E_NS1_11comp_targetILNS1_3genE3ELNS1_11target_archE908ELNS1_3gpuE7ELNS1_3repE0EEENS1_30default_config_static_selectorELNS0_4arch9wavefront6targetE1EEEvSR_.numbered_sgpr, 0
	.set _ZN7rocprim17ROCPRIM_400000_NS6detail17trampoline_kernelINS0_14default_configENS1_32segmented_reduce_config_selectorIN3c108BFloat16EEEZNS1_21segmented_reduce_implIS3_PKS6_PS6_PKiS6_N6hipcub16HIPCUB_304000_NS6detail27convert_result_type_wrapperISA_SB_N2at6native12_GLOBAL__N_19CustomSumEEEEE10hipError_tPvRmT0_T1_jT2_SS_T4_T3_P12ihipStream_tbEUlT_E_NS1_11comp_targetILNS1_3genE3ELNS1_11target_archE908ELNS1_3gpuE7ELNS1_3repE0EEENS1_30default_config_static_selectorELNS0_4arch9wavefront6targetE1EEEvSR_.num_named_barrier, 0
	.set _ZN7rocprim17ROCPRIM_400000_NS6detail17trampoline_kernelINS0_14default_configENS1_32segmented_reduce_config_selectorIN3c108BFloat16EEEZNS1_21segmented_reduce_implIS3_PKS6_PS6_PKiS6_N6hipcub16HIPCUB_304000_NS6detail27convert_result_type_wrapperISA_SB_N2at6native12_GLOBAL__N_19CustomSumEEEEE10hipError_tPvRmT0_T1_jT2_SS_T4_T3_P12ihipStream_tbEUlT_E_NS1_11comp_targetILNS1_3genE3ELNS1_11target_archE908ELNS1_3gpuE7ELNS1_3repE0EEENS1_30default_config_static_selectorELNS0_4arch9wavefront6targetE1EEEvSR_.private_seg_size, 0
	.set _ZN7rocprim17ROCPRIM_400000_NS6detail17trampoline_kernelINS0_14default_configENS1_32segmented_reduce_config_selectorIN3c108BFloat16EEEZNS1_21segmented_reduce_implIS3_PKS6_PS6_PKiS6_N6hipcub16HIPCUB_304000_NS6detail27convert_result_type_wrapperISA_SB_N2at6native12_GLOBAL__N_19CustomSumEEEEE10hipError_tPvRmT0_T1_jT2_SS_T4_T3_P12ihipStream_tbEUlT_E_NS1_11comp_targetILNS1_3genE3ELNS1_11target_archE908ELNS1_3gpuE7ELNS1_3repE0EEENS1_30default_config_static_selectorELNS0_4arch9wavefront6targetE1EEEvSR_.uses_vcc, 0
	.set _ZN7rocprim17ROCPRIM_400000_NS6detail17trampoline_kernelINS0_14default_configENS1_32segmented_reduce_config_selectorIN3c108BFloat16EEEZNS1_21segmented_reduce_implIS3_PKS6_PS6_PKiS6_N6hipcub16HIPCUB_304000_NS6detail27convert_result_type_wrapperISA_SB_N2at6native12_GLOBAL__N_19CustomSumEEEEE10hipError_tPvRmT0_T1_jT2_SS_T4_T3_P12ihipStream_tbEUlT_E_NS1_11comp_targetILNS1_3genE3ELNS1_11target_archE908ELNS1_3gpuE7ELNS1_3repE0EEENS1_30default_config_static_selectorELNS0_4arch9wavefront6targetE1EEEvSR_.uses_flat_scratch, 0
	.set _ZN7rocprim17ROCPRIM_400000_NS6detail17trampoline_kernelINS0_14default_configENS1_32segmented_reduce_config_selectorIN3c108BFloat16EEEZNS1_21segmented_reduce_implIS3_PKS6_PS6_PKiS6_N6hipcub16HIPCUB_304000_NS6detail27convert_result_type_wrapperISA_SB_N2at6native12_GLOBAL__N_19CustomSumEEEEE10hipError_tPvRmT0_T1_jT2_SS_T4_T3_P12ihipStream_tbEUlT_E_NS1_11comp_targetILNS1_3genE3ELNS1_11target_archE908ELNS1_3gpuE7ELNS1_3repE0EEENS1_30default_config_static_selectorELNS0_4arch9wavefront6targetE1EEEvSR_.has_dyn_sized_stack, 0
	.set _ZN7rocprim17ROCPRIM_400000_NS6detail17trampoline_kernelINS0_14default_configENS1_32segmented_reduce_config_selectorIN3c108BFloat16EEEZNS1_21segmented_reduce_implIS3_PKS6_PS6_PKiS6_N6hipcub16HIPCUB_304000_NS6detail27convert_result_type_wrapperISA_SB_N2at6native12_GLOBAL__N_19CustomSumEEEEE10hipError_tPvRmT0_T1_jT2_SS_T4_T3_P12ihipStream_tbEUlT_E_NS1_11comp_targetILNS1_3genE3ELNS1_11target_archE908ELNS1_3gpuE7ELNS1_3repE0EEENS1_30default_config_static_selectorELNS0_4arch9wavefront6targetE1EEEvSR_.has_recursion, 0
	.set _ZN7rocprim17ROCPRIM_400000_NS6detail17trampoline_kernelINS0_14default_configENS1_32segmented_reduce_config_selectorIN3c108BFloat16EEEZNS1_21segmented_reduce_implIS3_PKS6_PS6_PKiS6_N6hipcub16HIPCUB_304000_NS6detail27convert_result_type_wrapperISA_SB_N2at6native12_GLOBAL__N_19CustomSumEEEEE10hipError_tPvRmT0_T1_jT2_SS_T4_T3_P12ihipStream_tbEUlT_E_NS1_11comp_targetILNS1_3genE3ELNS1_11target_archE908ELNS1_3gpuE7ELNS1_3repE0EEENS1_30default_config_static_selectorELNS0_4arch9wavefront6targetE1EEEvSR_.has_indirect_call, 0
	.section	.AMDGPU.csdata,"",@progbits
; Kernel info:
; codeLenInByte = 0
; TotalNumSgprs: 4
; NumVgprs: 0
; ScratchSize: 0
; MemoryBound: 0
; FloatMode: 240
; IeeeMode: 1
; LDSByteSize: 0 bytes/workgroup (compile time only)
; SGPRBlocks: 0
; VGPRBlocks: 0
; NumSGPRsForWavesPerEU: 4
; NumVGPRsForWavesPerEU: 1
; Occupancy: 10
; WaveLimiterHint : 0
; COMPUTE_PGM_RSRC2:SCRATCH_EN: 0
; COMPUTE_PGM_RSRC2:USER_SGPR: 6
; COMPUTE_PGM_RSRC2:TRAP_HANDLER: 0
; COMPUTE_PGM_RSRC2:TGID_X_EN: 1
; COMPUTE_PGM_RSRC2:TGID_Y_EN: 0
; COMPUTE_PGM_RSRC2:TGID_Z_EN: 0
; COMPUTE_PGM_RSRC2:TIDIG_COMP_CNT: 0
	.section	.text._ZN7rocprim17ROCPRIM_400000_NS6detail17trampoline_kernelINS0_14default_configENS1_32segmented_reduce_config_selectorIN3c108BFloat16EEEZNS1_21segmented_reduce_implIS3_PKS6_PS6_PKiS6_N6hipcub16HIPCUB_304000_NS6detail27convert_result_type_wrapperISA_SB_N2at6native12_GLOBAL__N_19CustomSumEEEEE10hipError_tPvRmT0_T1_jT2_SS_T4_T3_P12ihipStream_tbEUlT_E_NS1_11comp_targetILNS1_3genE2ELNS1_11target_archE906ELNS1_3gpuE6ELNS1_3repE0EEENS1_30default_config_static_selectorELNS0_4arch9wavefront6targetE1EEEvSR_,"axG",@progbits,_ZN7rocprim17ROCPRIM_400000_NS6detail17trampoline_kernelINS0_14default_configENS1_32segmented_reduce_config_selectorIN3c108BFloat16EEEZNS1_21segmented_reduce_implIS3_PKS6_PS6_PKiS6_N6hipcub16HIPCUB_304000_NS6detail27convert_result_type_wrapperISA_SB_N2at6native12_GLOBAL__N_19CustomSumEEEEE10hipError_tPvRmT0_T1_jT2_SS_T4_T3_P12ihipStream_tbEUlT_E_NS1_11comp_targetILNS1_3genE2ELNS1_11target_archE906ELNS1_3gpuE6ELNS1_3repE0EEENS1_30default_config_static_selectorELNS0_4arch9wavefront6targetE1EEEvSR_,comdat
	.globl	_ZN7rocprim17ROCPRIM_400000_NS6detail17trampoline_kernelINS0_14default_configENS1_32segmented_reduce_config_selectorIN3c108BFloat16EEEZNS1_21segmented_reduce_implIS3_PKS6_PS6_PKiS6_N6hipcub16HIPCUB_304000_NS6detail27convert_result_type_wrapperISA_SB_N2at6native12_GLOBAL__N_19CustomSumEEEEE10hipError_tPvRmT0_T1_jT2_SS_T4_T3_P12ihipStream_tbEUlT_E_NS1_11comp_targetILNS1_3genE2ELNS1_11target_archE906ELNS1_3gpuE6ELNS1_3repE0EEENS1_30default_config_static_selectorELNS0_4arch9wavefront6targetE1EEEvSR_ ; -- Begin function _ZN7rocprim17ROCPRIM_400000_NS6detail17trampoline_kernelINS0_14default_configENS1_32segmented_reduce_config_selectorIN3c108BFloat16EEEZNS1_21segmented_reduce_implIS3_PKS6_PS6_PKiS6_N6hipcub16HIPCUB_304000_NS6detail27convert_result_type_wrapperISA_SB_N2at6native12_GLOBAL__N_19CustomSumEEEEE10hipError_tPvRmT0_T1_jT2_SS_T4_T3_P12ihipStream_tbEUlT_E_NS1_11comp_targetILNS1_3genE2ELNS1_11target_archE906ELNS1_3gpuE6ELNS1_3repE0EEENS1_30default_config_static_selectorELNS0_4arch9wavefront6targetE1EEEvSR_
	.p2align	8
	.type	_ZN7rocprim17ROCPRIM_400000_NS6detail17trampoline_kernelINS0_14default_configENS1_32segmented_reduce_config_selectorIN3c108BFloat16EEEZNS1_21segmented_reduce_implIS3_PKS6_PS6_PKiS6_N6hipcub16HIPCUB_304000_NS6detail27convert_result_type_wrapperISA_SB_N2at6native12_GLOBAL__N_19CustomSumEEEEE10hipError_tPvRmT0_T1_jT2_SS_T4_T3_P12ihipStream_tbEUlT_E_NS1_11comp_targetILNS1_3genE2ELNS1_11target_archE906ELNS1_3gpuE6ELNS1_3repE0EEENS1_30default_config_static_selectorELNS0_4arch9wavefront6targetE1EEEvSR_,@function
_ZN7rocprim17ROCPRIM_400000_NS6detail17trampoline_kernelINS0_14default_configENS1_32segmented_reduce_config_selectorIN3c108BFloat16EEEZNS1_21segmented_reduce_implIS3_PKS6_PS6_PKiS6_N6hipcub16HIPCUB_304000_NS6detail27convert_result_type_wrapperISA_SB_N2at6native12_GLOBAL__N_19CustomSumEEEEE10hipError_tPvRmT0_T1_jT2_SS_T4_T3_P12ihipStream_tbEUlT_E_NS1_11comp_targetILNS1_3genE2ELNS1_11target_archE906ELNS1_3gpuE6ELNS1_3repE0EEENS1_30default_config_static_selectorELNS0_4arch9wavefront6targetE1EEEvSR_: ; @_ZN7rocprim17ROCPRIM_400000_NS6detail17trampoline_kernelINS0_14default_configENS1_32segmented_reduce_config_selectorIN3c108BFloat16EEEZNS1_21segmented_reduce_implIS3_PKS6_PS6_PKiS6_N6hipcub16HIPCUB_304000_NS6detail27convert_result_type_wrapperISA_SB_N2at6native12_GLOBAL__N_19CustomSumEEEEE10hipError_tPvRmT0_T1_jT2_SS_T4_T3_P12ihipStream_tbEUlT_E_NS1_11comp_targetILNS1_3genE2ELNS1_11target_archE906ELNS1_3gpuE6ELNS1_3repE0EEENS1_30default_config_static_selectorELNS0_4arch9wavefront6targetE1EEEvSR_
; %bb.0:
	s_load_dword s2, s[4:5], 0x28
	s_load_dwordx8 s[36:43], s[4:5], 0x0
	s_load_dwordx2 s[0:1], s[4:5], 0x20
	s_mov_b32 s7, 0
	v_cmp_eq_u32_e32 vcc, 0, v0
	s_waitcnt lgkmcnt(0)
	s_lshr_b32 s33, s2, 16
	s_lshl_b64 s[2:3], s[40:41], 2
	s_add_u32 s4, s42, s2
	s_addc_u32 s5, s43, s3
	s_add_u32 s8, s0, s2
	s_addc_u32 s9, s1, s3
	s_lshl_b64 s[0:1], s[6:7], 2
	s_add_u32 s2, s4, s0
	s_addc_u32 s3, s5, s1
	s_add_u32 s0, s8, s0
	s_addc_u32 s1, s9, s1
	s_load_dword s42, s[2:3], 0x0
	s_load_dword s48, s[0:1], 0x0
	s_waitcnt lgkmcnt(0)
	s_cmp_gt_i32 s48, s42
	s_cbranch_scc1 .LBB124_3
; %bb.1:
	s_and_b64 s[34:35], vcc, exec
	s_cbranch_execz .LBB124_4
; %bb.2:
	v_mov_b32_e32 v1, s33
	s_and_saveexec_b64 s[0:1], s[34:35]
	s_cbranch_execnz .LBB124_115
	s_branch .LBB124_116
.LBB124_3:
	s_mov_b64 s[34:35], 0
.LBB124_4:
	s_add_i32 s0, s42, 0x1000
	s_cmp_le_i32 s0, s48
	s_movk_i32 s1, 0x1000
	s_cbranch_scc0 .LBB124_61
; %bb.5:
	s_ashr_i32 s43, s42, 31
	s_lshl_b64 s[2:3], s[42:43], 1
	s_add_u32 s2, s36, s2
	s_addc_u32 s3, s37, s3
	v_lshlrev_b32_e32 v11, 1, v0
	global_load_ushort v16, v11, s[2:3] offset:512
	global_load_ushort v15, v11, s[2:3] offset:1024
	;; [unrolled: 1-line block ×7, first 2 shown]
	global_load_ushort v17, v11, s[2:3]
	v_mov_b32_e32 v1, s3
	v_add_co_u32_e32 v2, vcc, s2, v11
	v_addc_co_u32_e32 v1, vcc, 0, v1, vcc
	v_add_co_u32_e32 v21, vcc, s1, v2
	v_addc_co_u32_e32 v22, vcc, 0, v1, vcc
	global_load_ushort v7, v[21:22], off
	global_load_ushort v5, v[21:22], off offset:512
	global_load_ushort v4, v[21:22], off offset:1024
	;; [unrolled: 1-line block ×7, first 2 shown]
	s_movk_i32 s1, 0x7fff
	v_mov_b32_e32 v18, 0x7fc00000
	v_mov_b32_e32 v20, 0x7fc0
	s_add_i32 s2, s42, 0x2000
	s_cmp_ge_i32 s2, s48
	s_waitcnt vmcnt(15)
	v_lshlrev_b32_e32 v19, 16, v16
	s_waitcnt vmcnt(14)
	v_lshlrev_b32_e32 v22, 16, v15
	s_waitcnt vmcnt(13)
	v_lshlrev_b32_e32 v23, 16, v14
	s_waitcnt vmcnt(8)
	v_lshlrev_b32_e32 v21, 16, v17
	v_add_f32_e32 v19, v21, v19
	v_bfe_u32 v21, v19, 16, 1
	v_add3_u32 v21, v19, v21, s1
	v_and_b32_e32 v21, 0xffff0000, v21
	v_cmp_o_f32_e32 vcc, v19, v19
	v_cndmask_b32_e32 v21, v18, v21, vcc
	v_add_f32_e32 v21, v21, v22
	v_bfe_u32 v22, v21, 16, 1
	v_add3_u32 v22, v21, v22, s1
	v_and_b32_e32 v22, 0xffff0000, v22
	v_cmp_o_f32_e32 vcc, v21, v21
	v_cndmask_b32_e32 v22, v18, v22, vcc
	v_add_f32_e32 v22, v22, v23
	v_bfe_u32 v23, v22, 16, 1
	v_add3_u32 v23, v22, v23, s1
	v_and_b32_e32 v23, 0xffff0000, v23
	v_cmp_o_f32_e32 vcc, v22, v22
	v_lshlrev_b32_e32 v19, 16, v13
	v_cndmask_b32_e32 v23, v18, v23, vcc
	v_add_f32_e32 v19, v23, v19
	v_bfe_u32 v23, v19, 16, 1
	v_add3_u32 v23, v19, v23, s1
	v_and_b32_e32 v23, 0xffff0000, v23
	v_cmp_o_f32_e32 vcc, v19, v19
	v_lshlrev_b32_e32 v21, 16, v12
	;; [unrolled: 7-line block ×4, first 2 shown]
	v_cndmask_b32_e32 v23, v18, v23, vcc
	v_add_f32_e32 v19, v23, v19
	v_bfe_u32 v23, v19, 16, 1
	v_add3_u32 v23, v19, v23, s1
	v_and_b32_e32 v23, 0xffff0000, v23
	v_cmp_o_f32_e32 vcc, v19, v19
	s_waitcnt vmcnt(7)
	v_lshlrev_b32_e32 v21, 16, v7
	v_cndmask_b32_e32 v23, v18, v23, vcc
	v_add_f32_e32 v21, v23, v21
	v_bfe_u32 v23, v21, 16, 1
	v_add3_u32 v23, v21, v23, s1
	v_and_b32_e32 v23, 0xffff0000, v23
	v_cmp_o_f32_e32 vcc, v21, v21
	s_waitcnt vmcnt(6)
	v_lshlrev_b32_e32 v22, 16, v5
	;; [unrolled: 8-line block ×8, first 2 shown]
	v_cndmask_b32_e32 v19, v18, v21, vcc
	v_add_f32_e32 v19, v19, v22
	v_bfe_u32 v21, v19, 16, 1
	v_cmp_o_f32_e32 vcc, v19, v19
	v_add3_u32 v19, v19, v21, s1
	v_cndmask_b32_sdwa v19, v20, v19, vcc dst_sel:DWORD dst_unused:UNUSED_PAD src0_sel:DWORD src1_sel:WORD_1
	s_cbranch_scc1 .LBB124_8
; %bb.6:
	v_mov_b32_e32 v1, s37
	v_add_co_u32_e32 v21, vcc, s36, v11
	v_addc_co_u32_e32 v22, vcc, 0, v1, vcc
	s_movk_i32 s4, 0x1000
.LBB124_7:                              ; =>This Inner Loop Header: Depth=1
	s_mov_b32 s2, s0
	s_ashr_i32 s3, s0, 31
	s_add_i32 s5, s2, 0x2000
	s_lshl_b64 s[2:3], s[2:3], 1
	v_mov_b32_e32 v2, s3
	v_add_co_u32_e32 v1, vcc, s2, v21
	v_addc_co_u32_e32 v2, vcc, v22, v2, vcc
	global_load_ushort v17, v[1:2], off
	global_load_ushort v16, v[1:2], off offset:512
	global_load_ushort v15, v[1:2], off offset:1024
	;; [unrolled: 1-line block ×7, first 2 shown]
	v_add_co_u32_e32 v23, vcc, s4, v1
	v_addc_co_u32_e32 v24, vcc, 0, v2, vcc
	global_load_ushort v7, v[23:24], off
	global_load_ushort v5, v[23:24], off offset:512
	global_load_ushort v4, v[23:24], off offset:1024
	;; [unrolled: 1-line block ×7, first 2 shown]
	v_lshlrev_b32_e32 v19, 16, v19
	s_addk_i32 s0, 0x1000
	s_cmp_lt_i32 s5, s48
	s_waitcnt vmcnt(15)
	v_lshlrev_b32_e32 v23, 16, v17
	v_add_f32_e32 v19, v19, v23
	v_bfe_u32 v23, v19, 16, 1
	v_add3_u32 v23, v19, v23, s1
	v_and_b32_e32 v23, 0xffff0000, v23
	v_cmp_o_f32_e32 vcc, v19, v19
	s_waitcnt vmcnt(14)
	v_lshlrev_b32_e32 v24, 16, v16
	v_cndmask_b32_e32 v23, v18, v23, vcc
	v_add_f32_e32 v23, v23, v24
	v_bfe_u32 v24, v23, 16, 1
	v_add3_u32 v24, v23, v24, s1
	v_and_b32_e32 v24, 0xffff0000, v24
	v_cmp_o_f32_e32 vcc, v23, v23
	s_waitcnt vmcnt(13)
	v_lshlrev_b32_e32 v25, 16, v15
	v_cndmask_b32_e32 v24, v18, v24, vcc
	;; [unrolled: 8-line block ×15, first 2 shown]
	v_add_f32_e32 v19, v23, v19
	v_bfe_u32 v23, v19, 16, 1
	v_cmp_o_f32_e32 vcc, v19, v19
	v_add3_u32 v19, v19, v23, s1
	v_cndmask_b32_sdwa v19, v20, v19, vcc dst_sel:DWORD dst_unused:UNUSED_PAD src0_sel:DWORD src1_sel:WORD_1
	s_cbranch_scc1 .LBB124_7
.LBB124_8:
	s_ashr_i32 s1, s0, 31
	s_sub_i32 s43, s48, s0
	s_lshl_b64 s[0:1], s[0:1], 1
	s_add_u32 s44, s36, s0
	s_addc_u32 s45, s37, s1
	v_cmp_gt_u32_e32 vcc, s43, v0
	s_and_saveexec_b64 s[0:1], vcc
	s_cbranch_execz .LBB124_10
; %bb.9:
	global_load_ushort v17, v11, s[44:45]
.LBB124_10:
	s_or_b64 exec, exec, s[0:1]
	v_or_b32_e32 v18, 0x100, v0
	v_cmp_gt_u32_e64 s[30:31], s43, v18
	s_and_saveexec_b64 s[0:1], s[30:31]
	s_cbranch_execz .LBB124_12
; %bb.11:
	global_load_ushort v16, v11, s[44:45] offset:512
.LBB124_12:
	s_or_b64 exec, exec, s[0:1]
	v_or_b32_e32 v18, 0x200, v0
	v_cmp_gt_u32_e64 s[28:29], s43, v18
	s_and_saveexec_b64 s[0:1], s[28:29]
	s_cbranch_execz .LBB124_14
; %bb.13:
	global_load_ushort v15, v11, s[44:45] offset:1024
.LBB124_14:
	;; [unrolled: 8-line block ×7, first 2 shown]
	s_or_b64 exec, exec, s[0:1]
	v_or_b32_e32 v11, 0x800, v0
	v_cmp_gt_u32_e64 s[16:17], s43, v11
	s_and_saveexec_b64 s[0:1], s[16:17]
	s_cbranch_execz .LBB124_26
; %bb.25:
	v_lshlrev_b32_e32 v7, 1, v11
	global_load_ushort v7, v7, s[44:45]
.LBB124_26:
	s_or_b64 exec, exec, s[0:1]
	v_or_b32_e32 v11, 0x900, v0
	v_cmp_gt_u32_e64 s[14:15], s43, v11
	s_and_saveexec_b64 s[0:1], s[14:15]
	s_cbranch_execz .LBB124_28
; %bb.27:
	v_lshlrev_b32_e32 v5, 1, v11
	global_load_ushort v5, v5, s[44:45]
.LBB124_28:
	;; [unrolled: 9-line block ×7, first 2 shown]
	s_or_b64 exec, exec, s[0:1]
	v_or_b32_e32 v11, 0xf00, v0
	v_cmp_gt_u32_e64 s[0:1], s43, v11
	s_and_saveexec_b64 s[46:47], s[0:1]
	s_cbranch_execnz .LBB124_90
; %bb.39:
	s_or_b64 exec, exec, s[46:47]
	s_and_saveexec_b64 s[44:45], vcc
	s_cbranch_execnz .LBB124_91
.LBB124_40:
	s_or_b64 exec, exec, s[44:45]
	s_and_saveexec_b64 s[44:45], s[30:31]
	s_cbranch_execnz .LBB124_92
.LBB124_41:
	s_or_b64 exec, exec, s[44:45]
	s_and_saveexec_b64 s[30:31], s[28:29]
	s_cbranch_execnz .LBB124_93
.LBB124_42:
	s_or_b64 exec, exec, s[30:31]
	s_and_saveexec_b64 s[28:29], s[26:27]
	s_cbranch_execnz .LBB124_94
.LBB124_43:
	s_or_b64 exec, exec, s[28:29]
	s_and_saveexec_b64 s[26:27], s[24:25]
	s_cbranch_execnz .LBB124_95
.LBB124_44:
	s_or_b64 exec, exec, s[26:27]
	s_and_saveexec_b64 s[24:25], s[22:23]
	s_cbranch_execnz .LBB124_96
.LBB124_45:
	s_or_b64 exec, exec, s[24:25]
	s_and_saveexec_b64 s[22:23], s[20:21]
	s_cbranch_execnz .LBB124_97
.LBB124_46:
	s_or_b64 exec, exec, s[22:23]
	s_and_saveexec_b64 s[20:21], s[18:19]
	s_cbranch_execnz .LBB124_98
.LBB124_47:
	s_or_b64 exec, exec, s[20:21]
	s_and_saveexec_b64 s[18:19], s[16:17]
	s_cbranch_execnz .LBB124_99
.LBB124_48:
	s_or_b64 exec, exec, s[18:19]
	s_and_saveexec_b64 s[16:17], s[14:15]
	s_cbranch_execnz .LBB124_100
.LBB124_49:
	s_or_b64 exec, exec, s[16:17]
	s_and_saveexec_b64 s[14:15], s[12:13]
	s_cbranch_execnz .LBB124_101
.LBB124_50:
	s_or_b64 exec, exec, s[14:15]
	s_and_saveexec_b64 s[12:13], s[10:11]
	s_cbranch_execnz .LBB124_102
.LBB124_51:
	s_or_b64 exec, exec, s[12:13]
	s_and_saveexec_b64 s[10:11], s[8:9]
	s_cbranch_execnz .LBB124_103
.LBB124_52:
	s_or_b64 exec, exec, s[10:11]
	s_and_saveexec_b64 s[8:9], s[4:5]
	s_cbranch_execnz .LBB124_104
.LBB124_53:
	s_or_b64 exec, exec, s[8:9]
	s_and_saveexec_b64 s[4:5], s[2:3]
	s_cbranch_execnz .LBB124_105
.LBB124_54:
	s_or_b64 exec, exec, s[4:5]
	s_and_saveexec_b64 s[2:3], s[0:1]
	s_cbranch_execz .LBB124_56
.LBB124_55:
	s_waitcnt vmcnt(0)
	v_lshlrev_b32_e32 v1, 16, v19
	v_lshlrev_b32_e32 v2, 16, v6
	v_add_f32_e32 v1, v2, v1
	v_bfe_u32 v2, v1, 16, 1
	s_movk_i32 s0, 0x7fff
	v_add3_u32 v2, v1, v2, s0
	v_cmp_o_f32_e32 vcc, v1, v1
	v_mov_b32_e32 v1, 0x7fc0
	v_cndmask_b32_sdwa v19, v1, v2, vcc dst_sel:DWORD dst_unused:UNUSED_PAD src0_sel:DWORD src1_sel:WORD_1
.LBB124_56:
	s_or_b64 exec, exec, s[2:3]
	s_waitcnt vmcnt(0)
	v_and_b32_e32 v2, 0xffff, v19
	v_lshlrev_b32_e32 v3, 16, v19
	s_movk_i32 s0, 0x7fff
	v_mov_b32_dpp v2, v2 quad_perm:[1,0,3,2] row_mask:0xf bank_mask:0xf bound_ctrl:1
	v_lshlrev_b32_e32 v2, 16, v2
	v_add_f32_e32 v2, v3, v2
	v_bfe_u32 v3, v2, 16, 1
	v_add3_u32 v3, v2, v3, s0
	v_lshrrev_b32_e32 v3, 16, v3
	v_mov_b32_e32 v4, 0x7fc0
	v_cmp_o_f32_e32 vcc, v2, v2
	v_cndmask_b32_e32 v2, v4, v3, vcc
	v_mbcnt_lo_u32_b32 v1, -1, 0
	v_mbcnt_hi_u32_b32 v1, -1, v1
	v_mov_b32_dpp v3, v2 quad_perm:[2,3,0,1] row_mask:0xf bank_mask:0xf bound_ctrl:1
	v_lshlrev_b32_e32 v3, 16, v3
	v_lshlrev_b32_e32 v2, 16, v2
	v_add_f32_e32 v2, v3, v2
	v_bfe_u32 v3, v2, 16, 1
	v_add3_u32 v3, v2, v3, s0
	v_lshrrev_b32_e32 v3, 16, v3
	v_cmp_o_f32_e32 vcc, v2, v2
	v_cndmask_b32_e32 v2, v4, v3, vcc
	s_nop 1
	v_mov_b32_dpp v3, v2 row_ror:4 row_mask:0xf bank_mask:0xf bound_ctrl:1
	v_lshlrev_b32_e32 v3, 16, v3
	v_lshlrev_b32_e32 v2, 16, v2
	v_add_f32_e32 v2, v3, v2
	v_bfe_u32 v3, v2, 16, 1
	v_add3_u32 v3, v2, v3, s0
	v_lshrrev_b32_e32 v3, 16, v3
	v_cmp_o_f32_e32 vcc, v2, v2
	v_cndmask_b32_e32 v2, v4, v3, vcc
	s_nop 1
	v_mov_b32_dpp v3, v2 row_ror:8 row_mask:0xf bank_mask:0xf bound_ctrl:1
	v_lshlrev_b32_e32 v3, 16, v3
	v_lshlrev_b32_e32 v2, 16, v2
	v_add_f32_e32 v2, v3, v2
	v_bfe_u32 v3, v2, 16, 1
	v_add3_u32 v3, v2, v3, s0
	v_lshrrev_b32_e32 v3, 16, v3
	v_cmp_o_f32_e32 vcc, v2, v2
	v_cndmask_b32_e32 v2, v4, v3, vcc
	s_nop 1
	v_mov_b32_dpp v3, v2 row_bcast:15 row_mask:0xf bank_mask:0xf bound_ctrl:1
	v_lshlrev_b32_e32 v3, 16, v3
	v_lshlrev_b32_e32 v2, 16, v2
	v_add_f32_e32 v2, v3, v2
	v_bfe_u32 v3, v2, 16, 1
	v_add3_u32 v3, v2, v3, s0
	v_lshrrev_b32_e32 v3, 16, v3
	v_cmp_o_f32_e32 vcc, v2, v2
	v_cndmask_b32_e32 v2, v4, v3, vcc
	s_nop 1
	v_mov_b32_dpp v3, v2 row_bcast:31 row_mask:0xf bank_mask:0xf bound_ctrl:1
	v_lshlrev_b32_e32 v3, 16, v3
	v_lshlrev_b32_e32 v2, 16, v2
	v_add_f32_e32 v2, v3, v2
	v_bfe_u32 v3, v2, 16, 1
	v_add3_u32 v5, v2, v3, s0
	v_lshlrev_b32_e32 v3, 2, v1
	v_cmp_o_f32_e32 vcc, v2, v2
	v_or_b32_e32 v6, 0xfc, v3
	v_cndmask_b32_sdwa v2, v4, v5, vcc dst_sel:DWORD dst_unused:UNUSED_PAD src0_sel:DWORD src1_sel:WORD_1
	ds_bpermute_b32 v2, v6, v2
	v_cmp_eq_u32_e32 vcc, 0, v1
	s_and_saveexec_b64 s[0:1], vcc
	s_xor_b64 s[0:1], exec, s[0:1]
	s_cbranch_execz .LBB124_58
; %bb.57:
	v_lshrrev_b32_e32 v4, 5, v0
	v_and_b32_e32 v4, 6, v4
	s_waitcnt lgkmcnt(0)
	ds_write_b16 v4, v2
.LBB124_58:
	s_or_b64 exec, exec, s[0:1]
	v_cmp_gt_u32_e32 vcc, 64, v0
	s_waitcnt lgkmcnt(0)
	s_barrier
	s_and_saveexec_b64 s[0:1], vcc
	s_cbranch_execz .LBB124_60
; %bb.59:
	v_and_b32_e32 v2, 3, v1
	v_lshlrev_b32_e32 v4, 1, v2
	ds_read_u16 v4, v4
	v_cmp_ne_u32_e32 vcc, 3, v2
	v_addc_co_u32_e32 v1, vcc, 0, v1, vcc
	v_lshlrev_b32_e32 v1, 2, v1
	s_waitcnt lgkmcnt(0)
	ds_bpermute_b32 v1, v1, v4
	v_lshlrev_b32_e32 v4, 16, v4
	s_movk_i32 s2, 0x7fff
	v_or_b32_e32 v2, 8, v3
	v_mov_b32_e32 v3, 0x7fc0
	s_waitcnt lgkmcnt(0)
	v_lshlrev_b32_e32 v1, 16, v1
	v_add_f32_e32 v1, v4, v1
	v_bfe_u32 v4, v1, 16, 1
	v_add3_u32 v4, v1, v4, s2
	v_lshrrev_b32_e32 v4, 16, v4
	v_cmp_o_f32_e32 vcc, v1, v1
	v_cndmask_b32_e32 v1, v3, v4, vcc
	ds_bpermute_b32 v2, v2, v1
	v_lshlrev_b32_e32 v1, 16, v1
	s_waitcnt lgkmcnt(0)
	v_lshlrev_b32_e32 v2, 16, v2
	v_add_f32_e32 v1, v2, v1
	v_bfe_u32 v2, v1, 16, 1
	v_cmp_o_f32_e32 vcc, v1, v1
	v_add3_u32 v1, v1, v2, s2
	v_cndmask_b32_sdwa v2, v3, v1, vcc dst_sel:DWORD dst_unused:UNUSED_PAD src0_sel:DWORD src1_sel:WORD_1
.LBB124_60:
	s_or_b64 exec, exec, s[0:1]
	s_branch .LBB124_112
.LBB124_61:
                                        ; implicit-def: $vgpr2
	s_cbranch_execz .LBB124_112
; %bb.62:
	s_sub_i32 s8, s48, s42
	v_cmp_gt_u32_e32 vcc, s8, v0
                                        ; implicit-def: $vgpr3
	s_and_saveexec_b64 s[0:1], vcc
	s_cbranch_execz .LBB124_68
; %bb.63:
	v_add_u32_e32 v1, s42, v0
	v_ashrrev_i32_e32 v2, 31, v1
	v_lshlrev_b64 v[2:3], 1, v[1:2]
	v_mov_b32_e32 v4, s37
	v_add_co_u32_e32 v2, vcc, s36, v2
	v_addc_co_u32_e32 v3, vcc, v4, v3, vcc
	global_load_ushort v3, v[2:3], off
	v_add_u32_e32 v1, 0x100, v1
	v_cmp_gt_i32_e32 vcc, s48, v1
	s_and_saveexec_b64 s[2:3], vcc
	s_cbranch_execz .LBB124_67
; %bb.64:
	s_mov_b64 s[4:5], 0
	v_mov_b32_e32 v4, s37
	s_movk_i32 s9, 0x7fff
	v_mov_b32_e32 v5, 0x7fc0
.LBB124_65:                             ; =>This Inner Loop Header: Depth=1
	v_ashrrev_i32_e32 v2, 31, v1
	v_lshlrev_b64 v[6:7], 1, v[1:2]
	s_waitcnt vmcnt(0)
	v_lshlrev_b32_e32 v3, 16, v3
	v_add_co_u32_e32 v6, vcc, s36, v6
	v_addc_co_u32_e32 v7, vcc, v4, v7, vcc
	global_load_ushort v2, v[6:7], off
	v_add_u32_e32 v1, 0x100, v1
	v_cmp_le_i32_e32 vcc, s48, v1
	s_or_b64 s[4:5], vcc, s[4:5]
	s_waitcnt vmcnt(0)
	v_lshlrev_b32_e32 v2, 16, v2
	v_add_f32_e32 v2, v3, v2
	v_bfe_u32 v3, v2, 16, 1
	v_cmp_o_f32_e32 vcc, v2, v2
	v_add3_u32 v2, v2, v3, s9
	v_cndmask_b32_sdwa v3, v5, v2, vcc dst_sel:DWORD dst_unused:UNUSED_PAD src0_sel:DWORD src1_sel:WORD_1
	s_andn2_b64 exec, exec, s[4:5]
	s_cbranch_execnz .LBB124_65
; %bb.66:
	s_or_b64 exec, exec, s[4:5]
.LBB124_67:
	s_or_b64 exec, exec, s[2:3]
.LBB124_68:
	s_or_b64 exec, exec, s[0:1]
	s_cmpk_lt_u32 s8, 0x100
	v_mbcnt_lo_u32_b32 v1, -1, 0
	s_cbranch_scc0 .LBB124_106
; %bb.69:
	v_mbcnt_hi_u32_b32 v4, -1, v1
	v_and_b32_e32 v5, 63, v4
	v_cmp_ne_u32_e32 vcc, 63, v5
	v_addc_co_u32_e32 v6, vcc, 0, v4, vcc
	v_lshlrev_b32_e32 v6, 2, v6
	s_waitcnt vmcnt(0)
	v_and_b32_e32 v7, 0xffff, v3
	ds_bpermute_b32 v8, v6, v7
	v_and_b32_e32 v2, 0xc0, v0
	v_sub_u32_e64 v6, s8, v2 clamp
	v_add_u32_e32 v2, 1, v5
	v_cmp_lt_u32_e32 vcc, v2, v6
	v_mov_b32_e32 v2, v3
	s_and_saveexec_b64 s[0:1], vcc
	s_cbranch_execz .LBB124_71
; %bb.70:
	v_lshlrev_b32_e32 v2, 16, v7
	s_waitcnt lgkmcnt(0)
	v_lshlrev_b32_e32 v7, 16, v8
	v_add_f32_e32 v2, v2, v7
	v_bfe_u32 v7, v2, 16, 1
	s_movk_i32 s2, 0x7fff
	v_add3_u32 v7, v2, v7, s2
	v_cmp_o_f32_e32 vcc, v2, v2
	v_mov_b32_e32 v2, 0x7fc0
	v_cndmask_b32_sdwa v2, v2, v7, vcc dst_sel:DWORD dst_unused:UNUSED_PAD src0_sel:DWORD src1_sel:WORD_1
	v_and_b32_e32 v7, 0xffff, v2
.LBB124_71:
	s_or_b64 exec, exec, s[0:1]
	v_cmp_gt_u32_e32 vcc, 62, v5
	s_waitcnt lgkmcnt(0)
	v_cndmask_b32_e64 v8, 0, 2, vcc
	v_add_lshl_u32 v8, v8, v4, 2
	ds_bpermute_b32 v8, v8, v7
	v_add_u32_e32 v9, 2, v5
	v_cmp_lt_u32_e32 vcc, v9, v6
	s_and_saveexec_b64 s[0:1], vcc
	s_cbranch_execz .LBB124_73
; %bb.72:
	v_lshlrev_b32_e32 v2, 16, v7
	s_waitcnt lgkmcnt(0)
	v_lshlrev_b32_e32 v7, 16, v8
	v_add_f32_e32 v2, v2, v7
	v_bfe_u32 v7, v2, 16, 1
	s_movk_i32 s2, 0x7fff
	v_add3_u32 v7, v2, v7, s2
	v_cmp_o_f32_e32 vcc, v2, v2
	v_mov_b32_e32 v2, 0x7fc0
	v_cndmask_b32_sdwa v2, v2, v7, vcc dst_sel:DWORD dst_unused:UNUSED_PAD src0_sel:DWORD src1_sel:WORD_1
	v_and_b32_e32 v7, 0xffff, v2
.LBB124_73:
	s_or_b64 exec, exec, s[0:1]
	v_cmp_gt_u32_e32 vcc, 60, v5
	s_waitcnt lgkmcnt(0)
	v_cndmask_b32_e64 v8, 0, 4, vcc
	v_add_lshl_u32 v8, v8, v4, 2
	ds_bpermute_b32 v8, v8, v7
	v_add_u32_e32 v9, 4, v5
	v_cmp_lt_u32_e32 vcc, v9, v6
	;; [unrolled: 23-line block ×4, first 2 shown]
	s_and_saveexec_b64 s[0:1], vcc
	s_cbranch_execz .LBB124_79
; %bb.78:
	v_lshlrev_b32_e32 v2, 16, v7
	s_waitcnt lgkmcnt(0)
	v_lshlrev_b32_e32 v7, 16, v8
	v_add_f32_e32 v2, v2, v7
	v_bfe_u32 v7, v2, 16, 1
	s_movk_i32 s2, 0x7fff
	v_add3_u32 v7, v2, v7, s2
	v_cmp_o_f32_e32 vcc, v2, v2
	v_mov_b32_e32 v2, 0x7fc0
	v_cndmask_b32_sdwa v2, v2, v7, vcc dst_sel:DWORD dst_unused:UNUSED_PAD src0_sel:DWORD src1_sel:WORD_1
	v_and_b32_e32 v7, 0xffff, v2
.LBB124_79:
	s_or_b64 exec, exec, s[0:1]
	s_waitcnt lgkmcnt(0)
	v_lshlrev_b32_e32 v8, 2, v4
	v_or_b32_e32 v9, 0x80, v8
	ds_bpermute_b32 v9, v9, v7
	v_add_u32_e32 v5, 32, v5
	v_cmp_lt_u32_e32 vcc, v5, v6
	s_and_saveexec_b64 s[0:1], vcc
	s_cbranch_execz .LBB124_81
; %bb.80:
	v_lshlrev_b32_e32 v2, 16, v7
	s_waitcnt lgkmcnt(0)
	v_lshlrev_b32_e32 v5, 16, v9
	v_add_f32_e32 v2, v2, v5
	v_bfe_u32 v5, v2, 16, 1
	s_movk_i32 s2, 0x7fff
	v_add3_u32 v5, v2, v5, s2
	v_cmp_o_f32_e32 vcc, v2, v2
	v_mov_b32_e32 v2, 0x7fc0
	v_cndmask_b32_sdwa v2, v2, v5, vcc dst_sel:DWORD dst_unused:UNUSED_PAD src0_sel:DWORD src1_sel:WORD_1
.LBB124_81:
	s_or_b64 exec, exec, s[0:1]
	v_cmp_eq_u32_e32 vcc, 0, v4
	s_and_saveexec_b64 s[0:1], vcc
; %bb.82:
	v_lshrrev_b32_e32 v5, 5, v0
	v_and_b32_e32 v5, 6, v5
	ds_write_b16 v5, v2
; %bb.83:
	s_or_b64 exec, exec, s[0:1]
	v_cmp_gt_u32_e32 vcc, 4, v0
	s_waitcnt lgkmcnt(0)
	s_barrier
	s_and_saveexec_b64 s[0:1], vcc
	s_cbranch_execz .LBB124_89
; %bb.84:
	v_lshlrev_b32_e32 v2, 1, v4
	ds_read_u16 v2, v2
	v_and_b32_e32 v5, 3, v4
	v_cmp_ne_u32_e32 vcc, 3, v5
	v_addc_co_u32_e32 v4, vcc, 0, v4, vcc
	v_lshlrev_b32_e32 v6, 2, v4
	s_waitcnt lgkmcnt(0)
	v_and_b32_e32 v4, 0xffff, v2
	ds_bpermute_b32 v6, v6, v4
	s_add_i32 s8, s8, 63
	s_lshr_b32 s4, s8, 6
	v_add_u32_e32 v7, 1, v5
	v_cmp_gt_u32_e32 vcc, s4, v7
	s_and_saveexec_b64 s[2:3], vcc
	s_cbranch_execz .LBB124_86
; %bb.85:
	v_lshlrev_b32_e32 v2, 16, v4
	s_waitcnt lgkmcnt(0)
	v_lshlrev_b32_e32 v4, 16, v6
	v_add_f32_e32 v2, v2, v4
	v_bfe_u32 v4, v2, 16, 1
	s_movk_i32 s5, 0x7fff
	v_add3_u32 v4, v2, v4, s5
	v_cmp_o_f32_e32 vcc, v2, v2
	v_mov_b32_e32 v2, 0x7fc0
	v_cndmask_b32_sdwa v2, v2, v4, vcc dst_sel:DWORD dst_unused:UNUSED_PAD src0_sel:DWORD src1_sel:WORD_1
	v_and_b32_e32 v4, 0xffff, v2
.LBB124_86:
	s_or_b64 exec, exec, s[2:3]
	s_waitcnt lgkmcnt(0)
	v_or_b32_e32 v6, 8, v8
	ds_bpermute_b32 v6, v6, v4
	v_add_u32_e32 v5, 2, v5
	v_cmp_gt_u32_e32 vcc, s4, v5
	s_and_saveexec_b64 s[2:3], vcc
	s_cbranch_execz .LBB124_88
; %bb.87:
	v_lshlrev_b32_e32 v2, 16, v4
	s_waitcnt lgkmcnt(0)
	v_lshlrev_b32_e32 v4, 16, v6
	v_add_f32_e32 v2, v2, v4
	v_bfe_u32 v4, v2, 16, 1
	s_movk_i32 s4, 0x7fff
	v_add3_u32 v4, v2, v4, s4
	v_cmp_o_f32_e32 vcc, v2, v2
	v_mov_b32_e32 v2, 0x7fc0
	v_cndmask_b32_sdwa v2, v2, v4, vcc dst_sel:DWORD dst_unused:UNUSED_PAD src0_sel:DWORD src1_sel:WORD_1
.LBB124_88:
	s_or_b64 exec, exec, s[2:3]
.LBB124_89:
	s_or_b64 exec, exec, s[0:1]
	s_branch .LBB124_112
.LBB124_90:
	v_lshlrev_b32_e32 v6, 1, v11
	global_load_ushort v6, v6, s[44:45]
	s_or_b64 exec, exec, s[46:47]
	s_and_saveexec_b64 s[44:45], vcc
	s_cbranch_execz .LBB124_40
.LBB124_91:
	v_lshlrev_b32_e32 v11, 16, v19
	s_waitcnt vmcnt(0)
	v_lshlrev_b32_e32 v17, 16, v17
	v_add_f32_e32 v11, v11, v17
	v_bfe_u32 v17, v11, 16, 1
	s_movk_i32 s43, 0x7fff
	v_add3_u32 v17, v11, v17, s43
	v_cmp_o_f32_e32 vcc, v11, v11
	v_mov_b32_e32 v11, 0x7fc0
	v_cndmask_b32_sdwa v19, v11, v17, vcc dst_sel:DWORD dst_unused:UNUSED_PAD src0_sel:DWORD src1_sel:WORD_1
	s_or_b64 exec, exec, s[44:45]
	s_and_saveexec_b64 s[44:45], s[30:31]
	s_cbranch_execz .LBB124_41
.LBB124_92:
	v_lshlrev_b32_e32 v11, 16, v19
	s_waitcnt vmcnt(0)
	v_lshlrev_b32_e32 v16, 16, v16
	v_add_f32_e32 v11, v16, v11
	v_bfe_u32 v16, v11, 16, 1
	s_movk_i32 s30, 0x7fff
	v_add3_u32 v16, v11, v16, s30
	v_cmp_o_f32_e32 vcc, v11, v11
	v_mov_b32_e32 v11, 0x7fc0
	v_cndmask_b32_sdwa v19, v11, v16, vcc dst_sel:DWORD dst_unused:UNUSED_PAD src0_sel:DWORD src1_sel:WORD_1
	s_or_b64 exec, exec, s[44:45]
	s_and_saveexec_b64 s[30:31], s[28:29]
	s_cbranch_execz .LBB124_42
.LBB124_93:
	v_lshlrev_b32_e32 v11, 16, v19
	s_waitcnt vmcnt(0)
	v_lshlrev_b32_e32 v15, 16, v15
	v_add_f32_e32 v11, v15, v11
	v_bfe_u32 v15, v11, 16, 1
	s_movk_i32 s28, 0x7fff
	v_add3_u32 v15, v11, v15, s28
	v_cmp_o_f32_e32 vcc, v11, v11
	v_mov_b32_e32 v11, 0x7fc0
	v_cndmask_b32_sdwa v19, v11, v15, vcc dst_sel:DWORD dst_unused:UNUSED_PAD src0_sel:DWORD src1_sel:WORD_1
	s_or_b64 exec, exec, s[30:31]
	s_and_saveexec_b64 s[28:29], s[26:27]
	s_cbranch_execz .LBB124_43
.LBB124_94:
	v_lshlrev_b32_e32 v11, 16, v19
	s_waitcnt vmcnt(0)
	v_lshlrev_b32_e32 v14, 16, v14
	v_add_f32_e32 v11, v14, v11
	v_bfe_u32 v14, v11, 16, 1
	s_movk_i32 s26, 0x7fff
	v_add3_u32 v14, v11, v14, s26
	v_cmp_o_f32_e32 vcc, v11, v11
	v_mov_b32_e32 v11, 0x7fc0
	v_cndmask_b32_sdwa v19, v11, v14, vcc dst_sel:DWORD dst_unused:UNUSED_PAD src0_sel:DWORD src1_sel:WORD_1
	s_or_b64 exec, exec, s[28:29]
	s_and_saveexec_b64 s[26:27], s[24:25]
	s_cbranch_execz .LBB124_44
.LBB124_95:
	v_lshlrev_b32_e32 v11, 16, v19
	s_waitcnt vmcnt(0)
	v_lshlrev_b32_e32 v13, 16, v13
	v_add_f32_e32 v11, v13, v11
	v_bfe_u32 v13, v11, 16, 1
	s_movk_i32 s24, 0x7fff
	v_add3_u32 v13, v11, v13, s24
	v_cmp_o_f32_e32 vcc, v11, v11
	v_mov_b32_e32 v11, 0x7fc0
	v_cndmask_b32_sdwa v19, v11, v13, vcc dst_sel:DWORD dst_unused:UNUSED_PAD src0_sel:DWORD src1_sel:WORD_1
	s_or_b64 exec, exec, s[26:27]
	s_and_saveexec_b64 s[24:25], s[22:23]
	s_cbranch_execz .LBB124_45
.LBB124_96:
	v_lshlrev_b32_e32 v11, 16, v19
	s_waitcnt vmcnt(0)
	v_lshlrev_b32_e32 v12, 16, v12
	v_add_f32_e32 v11, v12, v11
	v_bfe_u32 v12, v11, 16, 1
	s_movk_i32 s22, 0x7fff
	v_add3_u32 v12, v11, v12, s22
	v_cmp_o_f32_e32 vcc, v11, v11
	v_mov_b32_e32 v11, 0x7fc0
	v_cndmask_b32_sdwa v19, v11, v12, vcc dst_sel:DWORD dst_unused:UNUSED_PAD src0_sel:DWORD src1_sel:WORD_1
	s_or_b64 exec, exec, s[24:25]
	s_and_saveexec_b64 s[22:23], s[20:21]
	s_cbranch_execz .LBB124_46
.LBB124_97:
	v_lshlrev_b32_e32 v11, 16, v19
	s_waitcnt vmcnt(0)
	v_lshlrev_b32_e32 v10, 16, v10
	v_add_f32_e32 v10, v10, v11
	v_bfe_u32 v11, v10, 16, 1
	s_movk_i32 s20, 0x7fff
	v_add3_u32 v11, v10, v11, s20
	v_cmp_o_f32_e32 vcc, v10, v10
	v_mov_b32_e32 v10, 0x7fc0
	v_cndmask_b32_sdwa v19, v10, v11, vcc dst_sel:DWORD dst_unused:UNUSED_PAD src0_sel:DWORD src1_sel:WORD_1
	s_or_b64 exec, exec, s[22:23]
	s_and_saveexec_b64 s[20:21], s[18:19]
	s_cbranch_execz .LBB124_47
.LBB124_98:
	s_waitcnt vmcnt(0)
	v_lshlrev_b32_e32 v10, 16, v19
	v_lshlrev_b32_e32 v8, 16, v8
	v_add_f32_e32 v8, v8, v10
	v_bfe_u32 v10, v8, 16, 1
	s_movk_i32 s18, 0x7fff
	v_add3_u32 v10, v8, v10, s18
	v_cmp_o_f32_e32 vcc, v8, v8
	v_mov_b32_e32 v8, 0x7fc0
	v_cndmask_b32_sdwa v19, v8, v10, vcc dst_sel:DWORD dst_unused:UNUSED_PAD src0_sel:DWORD src1_sel:WORD_1
	s_or_b64 exec, exec, s[20:21]
	s_and_saveexec_b64 s[18:19], s[16:17]
	s_cbranch_execz .LBB124_48
.LBB124_99:
	s_waitcnt vmcnt(0)
	v_lshlrev_b32_e32 v8, 16, v19
	v_lshlrev_b32_e32 v7, 16, v7
	v_add_f32_e32 v7, v7, v8
	v_bfe_u32 v8, v7, 16, 1
	s_movk_i32 s16, 0x7fff
	v_add3_u32 v8, v7, v8, s16
	v_cmp_o_f32_e32 vcc, v7, v7
	v_mov_b32_e32 v7, 0x7fc0
	v_cndmask_b32_sdwa v19, v7, v8, vcc dst_sel:DWORD dst_unused:UNUSED_PAD src0_sel:DWORD src1_sel:WORD_1
	s_or_b64 exec, exec, s[18:19]
	s_and_saveexec_b64 s[16:17], s[14:15]
	s_cbranch_execz .LBB124_49
.LBB124_100:
	s_waitcnt vmcnt(0)
	v_lshlrev_b32_e32 v7, 16, v19
	v_lshlrev_b32_e32 v5, 16, v5
	v_add_f32_e32 v5, v5, v7
	v_bfe_u32 v7, v5, 16, 1
	s_movk_i32 s14, 0x7fff
	v_add3_u32 v7, v5, v7, s14
	v_cmp_o_f32_e32 vcc, v5, v5
	v_mov_b32_e32 v5, 0x7fc0
	v_cndmask_b32_sdwa v19, v5, v7, vcc dst_sel:DWORD dst_unused:UNUSED_PAD src0_sel:DWORD src1_sel:WORD_1
	s_or_b64 exec, exec, s[16:17]
	s_and_saveexec_b64 s[14:15], s[12:13]
	s_cbranch_execz .LBB124_50
.LBB124_101:
	s_waitcnt vmcnt(0)
	v_lshlrev_b32_e32 v5, 16, v19
	v_lshlrev_b32_e32 v4, 16, v4
	v_add_f32_e32 v4, v4, v5
	v_bfe_u32 v5, v4, 16, 1
	s_movk_i32 s12, 0x7fff
	v_add3_u32 v5, v4, v5, s12
	v_cmp_o_f32_e32 vcc, v4, v4
	v_mov_b32_e32 v4, 0x7fc0
	v_cndmask_b32_sdwa v19, v4, v5, vcc dst_sel:DWORD dst_unused:UNUSED_PAD src0_sel:DWORD src1_sel:WORD_1
	s_or_b64 exec, exec, s[14:15]
	s_and_saveexec_b64 s[12:13], s[10:11]
	s_cbranch_execz .LBB124_51
.LBB124_102:
	s_waitcnt vmcnt(0)
	v_lshlrev_b32_e32 v4, 16, v19
	v_lshlrev_b32_e32 v3, 16, v3
	v_add_f32_e32 v3, v3, v4
	v_bfe_u32 v4, v3, 16, 1
	s_movk_i32 s10, 0x7fff
	v_add3_u32 v4, v3, v4, s10
	v_cmp_o_f32_e32 vcc, v3, v3
	v_mov_b32_e32 v3, 0x7fc0
	v_cndmask_b32_sdwa v19, v3, v4, vcc dst_sel:DWORD dst_unused:UNUSED_PAD src0_sel:DWORD src1_sel:WORD_1
	s_or_b64 exec, exec, s[12:13]
	s_and_saveexec_b64 s[10:11], s[8:9]
	s_cbranch_execz .LBB124_52
.LBB124_103:
	s_waitcnt vmcnt(0)
	v_lshlrev_b32_e32 v3, 16, v19
	v_lshlrev_b32_e32 v2, 16, v2
	v_add_f32_e32 v2, v2, v3
	v_bfe_u32 v3, v2, 16, 1
	s_movk_i32 s8, 0x7fff
	v_add3_u32 v3, v2, v3, s8
	v_cmp_o_f32_e32 vcc, v2, v2
	v_mov_b32_e32 v2, 0x7fc0
	v_cndmask_b32_sdwa v19, v2, v3, vcc dst_sel:DWORD dst_unused:UNUSED_PAD src0_sel:DWORD src1_sel:WORD_1
	s_or_b64 exec, exec, s[10:11]
	s_and_saveexec_b64 s[8:9], s[4:5]
	s_cbranch_execz .LBB124_53
.LBB124_104:
	s_waitcnt vmcnt(0)
	v_lshlrev_b32_e32 v2, 16, v19
	v_lshlrev_b32_e32 v1, 16, v1
	v_add_f32_e32 v1, v1, v2
	v_bfe_u32 v2, v1, 16, 1
	s_movk_i32 s4, 0x7fff
	v_add3_u32 v2, v1, v2, s4
	v_cmp_o_f32_e32 vcc, v1, v1
	v_mov_b32_e32 v1, 0x7fc0
	v_cndmask_b32_sdwa v19, v1, v2, vcc dst_sel:DWORD dst_unused:UNUSED_PAD src0_sel:DWORD src1_sel:WORD_1
	s_or_b64 exec, exec, s[8:9]
	s_and_saveexec_b64 s[4:5], s[2:3]
	s_cbranch_execz .LBB124_54
.LBB124_105:
	s_waitcnt vmcnt(0)
	v_lshlrev_b32_e32 v1, 16, v19
	v_lshlrev_b32_e32 v2, 16, v9
	v_add_f32_e32 v1, v2, v1
	v_bfe_u32 v2, v1, 16, 1
	s_movk_i32 s2, 0x7fff
	v_add3_u32 v2, v1, v2, s2
	v_cmp_o_f32_e32 vcc, v1, v1
	v_mov_b32_e32 v1, 0x7fc0
	v_cndmask_b32_sdwa v19, v1, v2, vcc dst_sel:DWORD dst_unused:UNUSED_PAD src0_sel:DWORD src1_sel:WORD_1
	s_or_b64 exec, exec, s[4:5]
	s_and_saveexec_b64 s[2:3], s[0:1]
	s_cbranch_execnz .LBB124_55
	s_branch .LBB124_56
.LBB124_106:
                                        ; implicit-def: $vgpr2
	s_cbranch_execz .LBB124_112
; %bb.107:
	s_waitcnt vmcnt(0)
	v_and_b32_e32 v2, 0xffff, v3
	v_lshlrev_b32_e32 v3, 16, v3
	s_movk_i32 s0, 0x7fff
	v_mov_b32_dpp v2, v2 quad_perm:[1,0,3,2] row_mask:0xf bank_mask:0xf bound_ctrl:1
	v_lshlrev_b32_e32 v2, 16, v2
	v_add_f32_e32 v2, v3, v2
	v_bfe_u32 v3, v2, 16, 1
	v_add3_u32 v3, v2, v3, s0
	v_lshrrev_b32_e32 v3, 16, v3
	v_mov_b32_e32 v4, 0x7fc0
	v_cmp_o_f32_e32 vcc, v2, v2
	v_cndmask_b32_e32 v2, v4, v3, vcc
	v_mbcnt_hi_u32_b32 v1, -1, v1
	s_nop 0
	v_mov_b32_dpp v3, v2 quad_perm:[2,3,0,1] row_mask:0xf bank_mask:0xf bound_ctrl:1
	v_lshlrev_b32_e32 v3, 16, v3
	v_lshlrev_b32_e32 v2, 16, v2
	v_add_f32_e32 v2, v3, v2
	v_bfe_u32 v3, v2, 16, 1
	v_add3_u32 v3, v2, v3, s0
	v_lshrrev_b32_e32 v3, 16, v3
	v_cmp_o_f32_e32 vcc, v2, v2
	v_cndmask_b32_e32 v2, v4, v3, vcc
	s_nop 1
	v_mov_b32_dpp v3, v2 row_ror:4 row_mask:0xf bank_mask:0xf bound_ctrl:1
	v_lshlrev_b32_e32 v3, 16, v3
	v_lshlrev_b32_e32 v2, 16, v2
	v_add_f32_e32 v2, v3, v2
	v_bfe_u32 v3, v2, 16, 1
	v_add3_u32 v3, v2, v3, s0
	v_lshrrev_b32_e32 v3, 16, v3
	v_cmp_o_f32_e32 vcc, v2, v2
	v_cndmask_b32_e32 v2, v4, v3, vcc
	s_nop 1
	v_mov_b32_dpp v3, v2 row_ror:8 row_mask:0xf bank_mask:0xf bound_ctrl:1
	v_lshlrev_b32_e32 v3, 16, v3
	v_lshlrev_b32_e32 v2, 16, v2
	v_add_f32_e32 v2, v3, v2
	v_bfe_u32 v3, v2, 16, 1
	v_add3_u32 v3, v2, v3, s0
	v_lshrrev_b32_e32 v3, 16, v3
	v_cmp_o_f32_e32 vcc, v2, v2
	v_cndmask_b32_e32 v2, v4, v3, vcc
	s_nop 1
	v_mov_b32_dpp v3, v2 row_bcast:15 row_mask:0xf bank_mask:0xf bound_ctrl:1
	v_lshlrev_b32_e32 v3, 16, v3
	v_lshlrev_b32_e32 v2, 16, v2
	v_add_f32_e32 v2, v3, v2
	v_bfe_u32 v3, v2, 16, 1
	v_add3_u32 v3, v2, v3, s0
	v_lshrrev_b32_e32 v3, 16, v3
	v_cmp_o_f32_e32 vcc, v2, v2
	v_cndmask_b32_e32 v2, v4, v3, vcc
	s_nop 1
	v_mov_b32_dpp v3, v2 row_bcast:31 row_mask:0xf bank_mask:0xf bound_ctrl:1
	v_lshlrev_b32_e32 v3, 16, v3
	v_lshlrev_b32_e32 v2, 16, v2
	v_add_f32_e32 v2, v3, v2
	v_bfe_u32 v3, v2, 16, 1
	v_add3_u32 v5, v2, v3, s0
	v_lshlrev_b32_e32 v3, 2, v1
	v_cmp_o_f32_e32 vcc, v2, v2
	s_waitcnt lgkmcnt(0)
	v_or_b32_e32 v6, 0xfc, v3
	v_cndmask_b32_sdwa v2, v4, v5, vcc dst_sel:DWORD dst_unused:UNUSED_PAD src0_sel:DWORD src1_sel:WORD_1
	ds_bpermute_b32 v2, v6, v2
	v_cmp_eq_u32_e32 vcc, 0, v1
	s_and_saveexec_b64 s[0:1], vcc
	s_cbranch_execz .LBB124_109
; %bb.108:
	v_lshrrev_b32_e32 v4, 5, v0
	v_and_b32_e32 v4, 6, v4
	s_waitcnt lgkmcnt(0)
	ds_write_b16 v4, v2
.LBB124_109:
	s_or_b64 exec, exec, s[0:1]
	v_cmp_gt_u32_e32 vcc, 64, v0
	s_waitcnt lgkmcnt(0)
	s_barrier
	s_and_saveexec_b64 s[0:1], vcc
	s_cbranch_execz .LBB124_111
; %bb.110:
	v_and_b32_e32 v2, 3, v1
	v_lshlrev_b32_e32 v4, 1, v2
	ds_read_u16 v4, v4
	v_cmp_ne_u32_e32 vcc, 3, v2
	v_addc_co_u32_e32 v1, vcc, 0, v1, vcc
	v_lshlrev_b32_e32 v1, 2, v1
	s_waitcnt lgkmcnt(0)
	ds_bpermute_b32 v1, v1, v4
	v_lshlrev_b32_e32 v4, 16, v4
	s_movk_i32 s2, 0x7fff
	v_or_b32_e32 v2, 8, v3
	v_mov_b32_e32 v3, 0x7fc0
	s_waitcnt lgkmcnt(0)
	v_lshlrev_b32_e32 v1, 16, v1
	v_add_f32_e32 v1, v4, v1
	v_bfe_u32 v4, v1, 16, 1
	v_add3_u32 v4, v1, v4, s2
	v_lshrrev_b32_e32 v4, 16, v4
	v_cmp_o_f32_e32 vcc, v1, v1
	v_cndmask_b32_e32 v1, v3, v4, vcc
	ds_bpermute_b32 v2, v2, v1
	v_lshlrev_b32_e32 v1, 16, v1
	s_waitcnt lgkmcnt(0)
	v_lshlrev_b32_e32 v2, 16, v2
	v_add_f32_e32 v1, v2, v1
	v_bfe_u32 v2, v1, 16, 1
	v_cmp_o_f32_e32 vcc, v1, v1
	v_add3_u32 v1, v1, v2, s2
	v_cndmask_b32_sdwa v2, v3, v1, vcc dst_sel:DWORD dst_unused:UNUSED_PAD src0_sel:DWORD src1_sel:WORD_1
.LBB124_111:
	s_or_b64 exec, exec, s[0:1]
.LBB124_112:
	v_cmp_eq_u32_e32 vcc, 0, v0
                                        ; implicit-def: $vgpr1
	s_and_saveexec_b64 s[0:1], vcc
	s_cbranch_execz .LBB124_114
; %bb.113:
	s_lshl_b32 s2, s33, 16
	v_lshlrev_b32_e32 v0, 16, v2
	v_add_f32_e32 v0, s2, v0
	v_bfe_u32 v1, v0, 16, 1
	s_movk_i32 s2, 0x7fff
	v_add3_u32 v1, v0, v1, s2
	v_cmp_o_f32_e32 vcc, v0, v0
	v_mov_b32_e32 v0, 0x7fc0
	v_cndmask_b32_sdwa v1, v0, v1, vcc dst_sel:DWORD dst_unused:UNUSED_PAD src0_sel:DWORD src1_sel:WORD_1
	s_or_b64 s[34:35], s[34:35], exec
.LBB124_114:
	s_or_b64 exec, exec, s[0:1]
	s_and_saveexec_b64 s[0:1], s[34:35]
	s_cbranch_execz .LBB124_116
.LBB124_115:
	s_lshl_b64 s[0:1], s[40:41], 1
	s_add_u32 s2, s38, s0
	s_addc_u32 s3, s39, s1
	s_lshl_b64 s[0:1], s[6:7], 1
	s_add_u32 s0, s2, s0
	s_addc_u32 s1, s3, s1
	v_mov_b32_e32 v0, 0
	global_store_short v0, v1, s[0:1]
.LBB124_116:
	s_endpgm
	.section	.rodata,"a",@progbits
	.p2align	6, 0x0
	.amdhsa_kernel _ZN7rocprim17ROCPRIM_400000_NS6detail17trampoline_kernelINS0_14default_configENS1_32segmented_reduce_config_selectorIN3c108BFloat16EEEZNS1_21segmented_reduce_implIS3_PKS6_PS6_PKiS6_N6hipcub16HIPCUB_304000_NS6detail27convert_result_type_wrapperISA_SB_N2at6native12_GLOBAL__N_19CustomSumEEEEE10hipError_tPvRmT0_T1_jT2_SS_T4_T3_P12ihipStream_tbEUlT_E_NS1_11comp_targetILNS1_3genE2ELNS1_11target_archE906ELNS1_3gpuE6ELNS1_3repE0EEENS1_30default_config_static_selectorELNS0_4arch9wavefront6targetE1EEEvSR_
		.amdhsa_group_segment_fixed_size 8
		.amdhsa_private_segment_fixed_size 0
		.amdhsa_kernarg_size 48
		.amdhsa_user_sgpr_count 6
		.amdhsa_user_sgpr_private_segment_buffer 1
		.amdhsa_user_sgpr_dispatch_ptr 0
		.amdhsa_user_sgpr_queue_ptr 0
		.amdhsa_user_sgpr_kernarg_segment_ptr 1
		.amdhsa_user_sgpr_dispatch_id 0
		.amdhsa_user_sgpr_flat_scratch_init 0
		.amdhsa_user_sgpr_private_segment_size 0
		.amdhsa_uses_dynamic_stack 0
		.amdhsa_system_sgpr_private_segment_wavefront_offset 0
		.amdhsa_system_sgpr_workgroup_id_x 1
		.amdhsa_system_sgpr_workgroup_id_y 0
		.amdhsa_system_sgpr_workgroup_id_z 0
		.amdhsa_system_sgpr_workgroup_info 0
		.amdhsa_system_vgpr_workitem_id 0
		.amdhsa_next_free_vgpr 26
		.amdhsa_next_free_sgpr 49
		.amdhsa_reserve_vcc 1
		.amdhsa_reserve_flat_scratch 0
		.amdhsa_float_round_mode_32 0
		.amdhsa_float_round_mode_16_64 0
		.amdhsa_float_denorm_mode_32 3
		.amdhsa_float_denorm_mode_16_64 3
		.amdhsa_dx10_clamp 1
		.amdhsa_ieee_mode 1
		.amdhsa_fp16_overflow 0
		.amdhsa_exception_fp_ieee_invalid_op 0
		.amdhsa_exception_fp_denorm_src 0
		.amdhsa_exception_fp_ieee_div_zero 0
		.amdhsa_exception_fp_ieee_overflow 0
		.amdhsa_exception_fp_ieee_underflow 0
		.amdhsa_exception_fp_ieee_inexact 0
		.amdhsa_exception_int_div_zero 0
	.end_amdhsa_kernel
	.section	.text._ZN7rocprim17ROCPRIM_400000_NS6detail17trampoline_kernelINS0_14default_configENS1_32segmented_reduce_config_selectorIN3c108BFloat16EEEZNS1_21segmented_reduce_implIS3_PKS6_PS6_PKiS6_N6hipcub16HIPCUB_304000_NS6detail27convert_result_type_wrapperISA_SB_N2at6native12_GLOBAL__N_19CustomSumEEEEE10hipError_tPvRmT0_T1_jT2_SS_T4_T3_P12ihipStream_tbEUlT_E_NS1_11comp_targetILNS1_3genE2ELNS1_11target_archE906ELNS1_3gpuE6ELNS1_3repE0EEENS1_30default_config_static_selectorELNS0_4arch9wavefront6targetE1EEEvSR_,"axG",@progbits,_ZN7rocprim17ROCPRIM_400000_NS6detail17trampoline_kernelINS0_14default_configENS1_32segmented_reduce_config_selectorIN3c108BFloat16EEEZNS1_21segmented_reduce_implIS3_PKS6_PS6_PKiS6_N6hipcub16HIPCUB_304000_NS6detail27convert_result_type_wrapperISA_SB_N2at6native12_GLOBAL__N_19CustomSumEEEEE10hipError_tPvRmT0_T1_jT2_SS_T4_T3_P12ihipStream_tbEUlT_E_NS1_11comp_targetILNS1_3genE2ELNS1_11target_archE906ELNS1_3gpuE6ELNS1_3repE0EEENS1_30default_config_static_selectorELNS0_4arch9wavefront6targetE1EEEvSR_,comdat
.Lfunc_end124:
	.size	_ZN7rocprim17ROCPRIM_400000_NS6detail17trampoline_kernelINS0_14default_configENS1_32segmented_reduce_config_selectorIN3c108BFloat16EEEZNS1_21segmented_reduce_implIS3_PKS6_PS6_PKiS6_N6hipcub16HIPCUB_304000_NS6detail27convert_result_type_wrapperISA_SB_N2at6native12_GLOBAL__N_19CustomSumEEEEE10hipError_tPvRmT0_T1_jT2_SS_T4_T3_P12ihipStream_tbEUlT_E_NS1_11comp_targetILNS1_3genE2ELNS1_11target_archE906ELNS1_3gpuE6ELNS1_3repE0EEENS1_30default_config_static_selectorELNS0_4arch9wavefront6targetE1EEEvSR_, .Lfunc_end124-_ZN7rocprim17ROCPRIM_400000_NS6detail17trampoline_kernelINS0_14default_configENS1_32segmented_reduce_config_selectorIN3c108BFloat16EEEZNS1_21segmented_reduce_implIS3_PKS6_PS6_PKiS6_N6hipcub16HIPCUB_304000_NS6detail27convert_result_type_wrapperISA_SB_N2at6native12_GLOBAL__N_19CustomSumEEEEE10hipError_tPvRmT0_T1_jT2_SS_T4_T3_P12ihipStream_tbEUlT_E_NS1_11comp_targetILNS1_3genE2ELNS1_11target_archE906ELNS1_3gpuE6ELNS1_3repE0EEENS1_30default_config_static_selectorELNS0_4arch9wavefront6targetE1EEEvSR_
                                        ; -- End function
	.set _ZN7rocprim17ROCPRIM_400000_NS6detail17trampoline_kernelINS0_14default_configENS1_32segmented_reduce_config_selectorIN3c108BFloat16EEEZNS1_21segmented_reduce_implIS3_PKS6_PS6_PKiS6_N6hipcub16HIPCUB_304000_NS6detail27convert_result_type_wrapperISA_SB_N2at6native12_GLOBAL__N_19CustomSumEEEEE10hipError_tPvRmT0_T1_jT2_SS_T4_T3_P12ihipStream_tbEUlT_E_NS1_11comp_targetILNS1_3genE2ELNS1_11target_archE906ELNS1_3gpuE6ELNS1_3repE0EEENS1_30default_config_static_selectorELNS0_4arch9wavefront6targetE1EEEvSR_.num_vgpr, 26
	.set _ZN7rocprim17ROCPRIM_400000_NS6detail17trampoline_kernelINS0_14default_configENS1_32segmented_reduce_config_selectorIN3c108BFloat16EEEZNS1_21segmented_reduce_implIS3_PKS6_PS6_PKiS6_N6hipcub16HIPCUB_304000_NS6detail27convert_result_type_wrapperISA_SB_N2at6native12_GLOBAL__N_19CustomSumEEEEE10hipError_tPvRmT0_T1_jT2_SS_T4_T3_P12ihipStream_tbEUlT_E_NS1_11comp_targetILNS1_3genE2ELNS1_11target_archE906ELNS1_3gpuE6ELNS1_3repE0EEENS1_30default_config_static_selectorELNS0_4arch9wavefront6targetE1EEEvSR_.num_agpr, 0
	.set _ZN7rocprim17ROCPRIM_400000_NS6detail17trampoline_kernelINS0_14default_configENS1_32segmented_reduce_config_selectorIN3c108BFloat16EEEZNS1_21segmented_reduce_implIS3_PKS6_PS6_PKiS6_N6hipcub16HIPCUB_304000_NS6detail27convert_result_type_wrapperISA_SB_N2at6native12_GLOBAL__N_19CustomSumEEEEE10hipError_tPvRmT0_T1_jT2_SS_T4_T3_P12ihipStream_tbEUlT_E_NS1_11comp_targetILNS1_3genE2ELNS1_11target_archE906ELNS1_3gpuE6ELNS1_3repE0EEENS1_30default_config_static_selectorELNS0_4arch9wavefront6targetE1EEEvSR_.numbered_sgpr, 49
	.set _ZN7rocprim17ROCPRIM_400000_NS6detail17trampoline_kernelINS0_14default_configENS1_32segmented_reduce_config_selectorIN3c108BFloat16EEEZNS1_21segmented_reduce_implIS3_PKS6_PS6_PKiS6_N6hipcub16HIPCUB_304000_NS6detail27convert_result_type_wrapperISA_SB_N2at6native12_GLOBAL__N_19CustomSumEEEEE10hipError_tPvRmT0_T1_jT2_SS_T4_T3_P12ihipStream_tbEUlT_E_NS1_11comp_targetILNS1_3genE2ELNS1_11target_archE906ELNS1_3gpuE6ELNS1_3repE0EEENS1_30default_config_static_selectorELNS0_4arch9wavefront6targetE1EEEvSR_.num_named_barrier, 0
	.set _ZN7rocprim17ROCPRIM_400000_NS6detail17trampoline_kernelINS0_14default_configENS1_32segmented_reduce_config_selectorIN3c108BFloat16EEEZNS1_21segmented_reduce_implIS3_PKS6_PS6_PKiS6_N6hipcub16HIPCUB_304000_NS6detail27convert_result_type_wrapperISA_SB_N2at6native12_GLOBAL__N_19CustomSumEEEEE10hipError_tPvRmT0_T1_jT2_SS_T4_T3_P12ihipStream_tbEUlT_E_NS1_11comp_targetILNS1_3genE2ELNS1_11target_archE906ELNS1_3gpuE6ELNS1_3repE0EEENS1_30default_config_static_selectorELNS0_4arch9wavefront6targetE1EEEvSR_.private_seg_size, 0
	.set _ZN7rocprim17ROCPRIM_400000_NS6detail17trampoline_kernelINS0_14default_configENS1_32segmented_reduce_config_selectorIN3c108BFloat16EEEZNS1_21segmented_reduce_implIS3_PKS6_PS6_PKiS6_N6hipcub16HIPCUB_304000_NS6detail27convert_result_type_wrapperISA_SB_N2at6native12_GLOBAL__N_19CustomSumEEEEE10hipError_tPvRmT0_T1_jT2_SS_T4_T3_P12ihipStream_tbEUlT_E_NS1_11comp_targetILNS1_3genE2ELNS1_11target_archE906ELNS1_3gpuE6ELNS1_3repE0EEENS1_30default_config_static_selectorELNS0_4arch9wavefront6targetE1EEEvSR_.uses_vcc, 1
	.set _ZN7rocprim17ROCPRIM_400000_NS6detail17trampoline_kernelINS0_14default_configENS1_32segmented_reduce_config_selectorIN3c108BFloat16EEEZNS1_21segmented_reduce_implIS3_PKS6_PS6_PKiS6_N6hipcub16HIPCUB_304000_NS6detail27convert_result_type_wrapperISA_SB_N2at6native12_GLOBAL__N_19CustomSumEEEEE10hipError_tPvRmT0_T1_jT2_SS_T4_T3_P12ihipStream_tbEUlT_E_NS1_11comp_targetILNS1_3genE2ELNS1_11target_archE906ELNS1_3gpuE6ELNS1_3repE0EEENS1_30default_config_static_selectorELNS0_4arch9wavefront6targetE1EEEvSR_.uses_flat_scratch, 0
	.set _ZN7rocprim17ROCPRIM_400000_NS6detail17trampoline_kernelINS0_14default_configENS1_32segmented_reduce_config_selectorIN3c108BFloat16EEEZNS1_21segmented_reduce_implIS3_PKS6_PS6_PKiS6_N6hipcub16HIPCUB_304000_NS6detail27convert_result_type_wrapperISA_SB_N2at6native12_GLOBAL__N_19CustomSumEEEEE10hipError_tPvRmT0_T1_jT2_SS_T4_T3_P12ihipStream_tbEUlT_E_NS1_11comp_targetILNS1_3genE2ELNS1_11target_archE906ELNS1_3gpuE6ELNS1_3repE0EEENS1_30default_config_static_selectorELNS0_4arch9wavefront6targetE1EEEvSR_.has_dyn_sized_stack, 0
	.set _ZN7rocprim17ROCPRIM_400000_NS6detail17trampoline_kernelINS0_14default_configENS1_32segmented_reduce_config_selectorIN3c108BFloat16EEEZNS1_21segmented_reduce_implIS3_PKS6_PS6_PKiS6_N6hipcub16HIPCUB_304000_NS6detail27convert_result_type_wrapperISA_SB_N2at6native12_GLOBAL__N_19CustomSumEEEEE10hipError_tPvRmT0_T1_jT2_SS_T4_T3_P12ihipStream_tbEUlT_E_NS1_11comp_targetILNS1_3genE2ELNS1_11target_archE906ELNS1_3gpuE6ELNS1_3repE0EEENS1_30default_config_static_selectorELNS0_4arch9wavefront6targetE1EEEvSR_.has_recursion, 0
	.set _ZN7rocprim17ROCPRIM_400000_NS6detail17trampoline_kernelINS0_14default_configENS1_32segmented_reduce_config_selectorIN3c108BFloat16EEEZNS1_21segmented_reduce_implIS3_PKS6_PS6_PKiS6_N6hipcub16HIPCUB_304000_NS6detail27convert_result_type_wrapperISA_SB_N2at6native12_GLOBAL__N_19CustomSumEEEEE10hipError_tPvRmT0_T1_jT2_SS_T4_T3_P12ihipStream_tbEUlT_E_NS1_11comp_targetILNS1_3genE2ELNS1_11target_archE906ELNS1_3gpuE6ELNS1_3repE0EEENS1_30default_config_static_selectorELNS0_4arch9wavefront6targetE1EEEvSR_.has_indirect_call, 0
	.section	.AMDGPU.csdata,"",@progbits
; Kernel info:
; codeLenInByte = 6316
; TotalNumSgprs: 53
; NumVgprs: 26
; ScratchSize: 0
; MemoryBound: 0
; FloatMode: 240
; IeeeMode: 1
; LDSByteSize: 8 bytes/workgroup (compile time only)
; SGPRBlocks: 6
; VGPRBlocks: 6
; NumSGPRsForWavesPerEU: 53
; NumVGPRsForWavesPerEU: 26
; Occupancy: 9
; WaveLimiterHint : 1
; COMPUTE_PGM_RSRC2:SCRATCH_EN: 0
; COMPUTE_PGM_RSRC2:USER_SGPR: 6
; COMPUTE_PGM_RSRC2:TRAP_HANDLER: 0
; COMPUTE_PGM_RSRC2:TGID_X_EN: 1
; COMPUTE_PGM_RSRC2:TGID_Y_EN: 0
; COMPUTE_PGM_RSRC2:TGID_Z_EN: 0
; COMPUTE_PGM_RSRC2:TIDIG_COMP_CNT: 0
	.section	.text._ZN7rocprim17ROCPRIM_400000_NS6detail17trampoline_kernelINS0_14default_configENS1_32segmented_reduce_config_selectorIN3c108BFloat16EEEZNS1_21segmented_reduce_implIS3_PKS6_PS6_PKiS6_N6hipcub16HIPCUB_304000_NS6detail27convert_result_type_wrapperISA_SB_N2at6native12_GLOBAL__N_19CustomSumEEEEE10hipError_tPvRmT0_T1_jT2_SS_T4_T3_P12ihipStream_tbEUlT_E_NS1_11comp_targetILNS1_3genE9ELNS1_11target_archE1100ELNS1_3gpuE3ELNS1_3repE0EEENS1_30default_config_static_selectorELNS0_4arch9wavefront6targetE1EEEvSR_,"axG",@progbits,_ZN7rocprim17ROCPRIM_400000_NS6detail17trampoline_kernelINS0_14default_configENS1_32segmented_reduce_config_selectorIN3c108BFloat16EEEZNS1_21segmented_reduce_implIS3_PKS6_PS6_PKiS6_N6hipcub16HIPCUB_304000_NS6detail27convert_result_type_wrapperISA_SB_N2at6native12_GLOBAL__N_19CustomSumEEEEE10hipError_tPvRmT0_T1_jT2_SS_T4_T3_P12ihipStream_tbEUlT_E_NS1_11comp_targetILNS1_3genE9ELNS1_11target_archE1100ELNS1_3gpuE3ELNS1_3repE0EEENS1_30default_config_static_selectorELNS0_4arch9wavefront6targetE1EEEvSR_,comdat
	.globl	_ZN7rocprim17ROCPRIM_400000_NS6detail17trampoline_kernelINS0_14default_configENS1_32segmented_reduce_config_selectorIN3c108BFloat16EEEZNS1_21segmented_reduce_implIS3_PKS6_PS6_PKiS6_N6hipcub16HIPCUB_304000_NS6detail27convert_result_type_wrapperISA_SB_N2at6native12_GLOBAL__N_19CustomSumEEEEE10hipError_tPvRmT0_T1_jT2_SS_T4_T3_P12ihipStream_tbEUlT_E_NS1_11comp_targetILNS1_3genE9ELNS1_11target_archE1100ELNS1_3gpuE3ELNS1_3repE0EEENS1_30default_config_static_selectorELNS0_4arch9wavefront6targetE1EEEvSR_ ; -- Begin function _ZN7rocprim17ROCPRIM_400000_NS6detail17trampoline_kernelINS0_14default_configENS1_32segmented_reduce_config_selectorIN3c108BFloat16EEEZNS1_21segmented_reduce_implIS3_PKS6_PS6_PKiS6_N6hipcub16HIPCUB_304000_NS6detail27convert_result_type_wrapperISA_SB_N2at6native12_GLOBAL__N_19CustomSumEEEEE10hipError_tPvRmT0_T1_jT2_SS_T4_T3_P12ihipStream_tbEUlT_E_NS1_11comp_targetILNS1_3genE9ELNS1_11target_archE1100ELNS1_3gpuE3ELNS1_3repE0EEENS1_30default_config_static_selectorELNS0_4arch9wavefront6targetE1EEEvSR_
	.p2align	8
	.type	_ZN7rocprim17ROCPRIM_400000_NS6detail17trampoline_kernelINS0_14default_configENS1_32segmented_reduce_config_selectorIN3c108BFloat16EEEZNS1_21segmented_reduce_implIS3_PKS6_PS6_PKiS6_N6hipcub16HIPCUB_304000_NS6detail27convert_result_type_wrapperISA_SB_N2at6native12_GLOBAL__N_19CustomSumEEEEE10hipError_tPvRmT0_T1_jT2_SS_T4_T3_P12ihipStream_tbEUlT_E_NS1_11comp_targetILNS1_3genE9ELNS1_11target_archE1100ELNS1_3gpuE3ELNS1_3repE0EEENS1_30default_config_static_selectorELNS0_4arch9wavefront6targetE1EEEvSR_,@function
_ZN7rocprim17ROCPRIM_400000_NS6detail17trampoline_kernelINS0_14default_configENS1_32segmented_reduce_config_selectorIN3c108BFloat16EEEZNS1_21segmented_reduce_implIS3_PKS6_PS6_PKiS6_N6hipcub16HIPCUB_304000_NS6detail27convert_result_type_wrapperISA_SB_N2at6native12_GLOBAL__N_19CustomSumEEEEE10hipError_tPvRmT0_T1_jT2_SS_T4_T3_P12ihipStream_tbEUlT_E_NS1_11comp_targetILNS1_3genE9ELNS1_11target_archE1100ELNS1_3gpuE3ELNS1_3repE0EEENS1_30default_config_static_selectorELNS0_4arch9wavefront6targetE1EEEvSR_: ; @_ZN7rocprim17ROCPRIM_400000_NS6detail17trampoline_kernelINS0_14default_configENS1_32segmented_reduce_config_selectorIN3c108BFloat16EEEZNS1_21segmented_reduce_implIS3_PKS6_PS6_PKiS6_N6hipcub16HIPCUB_304000_NS6detail27convert_result_type_wrapperISA_SB_N2at6native12_GLOBAL__N_19CustomSumEEEEE10hipError_tPvRmT0_T1_jT2_SS_T4_T3_P12ihipStream_tbEUlT_E_NS1_11comp_targetILNS1_3genE9ELNS1_11target_archE1100ELNS1_3gpuE3ELNS1_3repE0EEENS1_30default_config_static_selectorELNS0_4arch9wavefront6targetE1EEEvSR_
; %bb.0:
	.section	.rodata,"a",@progbits
	.p2align	6, 0x0
	.amdhsa_kernel _ZN7rocprim17ROCPRIM_400000_NS6detail17trampoline_kernelINS0_14default_configENS1_32segmented_reduce_config_selectorIN3c108BFloat16EEEZNS1_21segmented_reduce_implIS3_PKS6_PS6_PKiS6_N6hipcub16HIPCUB_304000_NS6detail27convert_result_type_wrapperISA_SB_N2at6native12_GLOBAL__N_19CustomSumEEEEE10hipError_tPvRmT0_T1_jT2_SS_T4_T3_P12ihipStream_tbEUlT_E_NS1_11comp_targetILNS1_3genE9ELNS1_11target_archE1100ELNS1_3gpuE3ELNS1_3repE0EEENS1_30default_config_static_selectorELNS0_4arch9wavefront6targetE1EEEvSR_
		.amdhsa_group_segment_fixed_size 0
		.amdhsa_private_segment_fixed_size 0
		.amdhsa_kernarg_size 48
		.amdhsa_user_sgpr_count 6
		.amdhsa_user_sgpr_private_segment_buffer 1
		.amdhsa_user_sgpr_dispatch_ptr 0
		.amdhsa_user_sgpr_queue_ptr 0
		.amdhsa_user_sgpr_kernarg_segment_ptr 1
		.amdhsa_user_sgpr_dispatch_id 0
		.amdhsa_user_sgpr_flat_scratch_init 0
		.amdhsa_user_sgpr_private_segment_size 0
		.amdhsa_uses_dynamic_stack 0
		.amdhsa_system_sgpr_private_segment_wavefront_offset 0
		.amdhsa_system_sgpr_workgroup_id_x 1
		.amdhsa_system_sgpr_workgroup_id_y 0
		.amdhsa_system_sgpr_workgroup_id_z 0
		.amdhsa_system_sgpr_workgroup_info 0
		.amdhsa_system_vgpr_workitem_id 0
		.amdhsa_next_free_vgpr 1
		.amdhsa_next_free_sgpr 0
		.amdhsa_reserve_vcc 0
		.amdhsa_reserve_flat_scratch 0
		.amdhsa_float_round_mode_32 0
		.amdhsa_float_round_mode_16_64 0
		.amdhsa_float_denorm_mode_32 3
		.amdhsa_float_denorm_mode_16_64 3
		.amdhsa_dx10_clamp 1
		.amdhsa_ieee_mode 1
		.amdhsa_fp16_overflow 0
		.amdhsa_exception_fp_ieee_invalid_op 0
		.amdhsa_exception_fp_denorm_src 0
		.amdhsa_exception_fp_ieee_div_zero 0
		.amdhsa_exception_fp_ieee_overflow 0
		.amdhsa_exception_fp_ieee_underflow 0
		.amdhsa_exception_fp_ieee_inexact 0
		.amdhsa_exception_int_div_zero 0
	.end_amdhsa_kernel
	.section	.text._ZN7rocprim17ROCPRIM_400000_NS6detail17trampoline_kernelINS0_14default_configENS1_32segmented_reduce_config_selectorIN3c108BFloat16EEEZNS1_21segmented_reduce_implIS3_PKS6_PS6_PKiS6_N6hipcub16HIPCUB_304000_NS6detail27convert_result_type_wrapperISA_SB_N2at6native12_GLOBAL__N_19CustomSumEEEEE10hipError_tPvRmT0_T1_jT2_SS_T4_T3_P12ihipStream_tbEUlT_E_NS1_11comp_targetILNS1_3genE9ELNS1_11target_archE1100ELNS1_3gpuE3ELNS1_3repE0EEENS1_30default_config_static_selectorELNS0_4arch9wavefront6targetE1EEEvSR_,"axG",@progbits,_ZN7rocprim17ROCPRIM_400000_NS6detail17trampoline_kernelINS0_14default_configENS1_32segmented_reduce_config_selectorIN3c108BFloat16EEEZNS1_21segmented_reduce_implIS3_PKS6_PS6_PKiS6_N6hipcub16HIPCUB_304000_NS6detail27convert_result_type_wrapperISA_SB_N2at6native12_GLOBAL__N_19CustomSumEEEEE10hipError_tPvRmT0_T1_jT2_SS_T4_T3_P12ihipStream_tbEUlT_E_NS1_11comp_targetILNS1_3genE9ELNS1_11target_archE1100ELNS1_3gpuE3ELNS1_3repE0EEENS1_30default_config_static_selectorELNS0_4arch9wavefront6targetE1EEEvSR_,comdat
.Lfunc_end125:
	.size	_ZN7rocprim17ROCPRIM_400000_NS6detail17trampoline_kernelINS0_14default_configENS1_32segmented_reduce_config_selectorIN3c108BFloat16EEEZNS1_21segmented_reduce_implIS3_PKS6_PS6_PKiS6_N6hipcub16HIPCUB_304000_NS6detail27convert_result_type_wrapperISA_SB_N2at6native12_GLOBAL__N_19CustomSumEEEEE10hipError_tPvRmT0_T1_jT2_SS_T4_T3_P12ihipStream_tbEUlT_E_NS1_11comp_targetILNS1_3genE9ELNS1_11target_archE1100ELNS1_3gpuE3ELNS1_3repE0EEENS1_30default_config_static_selectorELNS0_4arch9wavefront6targetE1EEEvSR_, .Lfunc_end125-_ZN7rocprim17ROCPRIM_400000_NS6detail17trampoline_kernelINS0_14default_configENS1_32segmented_reduce_config_selectorIN3c108BFloat16EEEZNS1_21segmented_reduce_implIS3_PKS6_PS6_PKiS6_N6hipcub16HIPCUB_304000_NS6detail27convert_result_type_wrapperISA_SB_N2at6native12_GLOBAL__N_19CustomSumEEEEE10hipError_tPvRmT0_T1_jT2_SS_T4_T3_P12ihipStream_tbEUlT_E_NS1_11comp_targetILNS1_3genE9ELNS1_11target_archE1100ELNS1_3gpuE3ELNS1_3repE0EEENS1_30default_config_static_selectorELNS0_4arch9wavefront6targetE1EEEvSR_
                                        ; -- End function
	.set _ZN7rocprim17ROCPRIM_400000_NS6detail17trampoline_kernelINS0_14default_configENS1_32segmented_reduce_config_selectorIN3c108BFloat16EEEZNS1_21segmented_reduce_implIS3_PKS6_PS6_PKiS6_N6hipcub16HIPCUB_304000_NS6detail27convert_result_type_wrapperISA_SB_N2at6native12_GLOBAL__N_19CustomSumEEEEE10hipError_tPvRmT0_T1_jT2_SS_T4_T3_P12ihipStream_tbEUlT_E_NS1_11comp_targetILNS1_3genE9ELNS1_11target_archE1100ELNS1_3gpuE3ELNS1_3repE0EEENS1_30default_config_static_selectorELNS0_4arch9wavefront6targetE1EEEvSR_.num_vgpr, 0
	.set _ZN7rocprim17ROCPRIM_400000_NS6detail17trampoline_kernelINS0_14default_configENS1_32segmented_reduce_config_selectorIN3c108BFloat16EEEZNS1_21segmented_reduce_implIS3_PKS6_PS6_PKiS6_N6hipcub16HIPCUB_304000_NS6detail27convert_result_type_wrapperISA_SB_N2at6native12_GLOBAL__N_19CustomSumEEEEE10hipError_tPvRmT0_T1_jT2_SS_T4_T3_P12ihipStream_tbEUlT_E_NS1_11comp_targetILNS1_3genE9ELNS1_11target_archE1100ELNS1_3gpuE3ELNS1_3repE0EEENS1_30default_config_static_selectorELNS0_4arch9wavefront6targetE1EEEvSR_.num_agpr, 0
	.set _ZN7rocprim17ROCPRIM_400000_NS6detail17trampoline_kernelINS0_14default_configENS1_32segmented_reduce_config_selectorIN3c108BFloat16EEEZNS1_21segmented_reduce_implIS3_PKS6_PS6_PKiS6_N6hipcub16HIPCUB_304000_NS6detail27convert_result_type_wrapperISA_SB_N2at6native12_GLOBAL__N_19CustomSumEEEEE10hipError_tPvRmT0_T1_jT2_SS_T4_T3_P12ihipStream_tbEUlT_E_NS1_11comp_targetILNS1_3genE9ELNS1_11target_archE1100ELNS1_3gpuE3ELNS1_3repE0EEENS1_30default_config_static_selectorELNS0_4arch9wavefront6targetE1EEEvSR_.numbered_sgpr, 0
	.set _ZN7rocprim17ROCPRIM_400000_NS6detail17trampoline_kernelINS0_14default_configENS1_32segmented_reduce_config_selectorIN3c108BFloat16EEEZNS1_21segmented_reduce_implIS3_PKS6_PS6_PKiS6_N6hipcub16HIPCUB_304000_NS6detail27convert_result_type_wrapperISA_SB_N2at6native12_GLOBAL__N_19CustomSumEEEEE10hipError_tPvRmT0_T1_jT2_SS_T4_T3_P12ihipStream_tbEUlT_E_NS1_11comp_targetILNS1_3genE9ELNS1_11target_archE1100ELNS1_3gpuE3ELNS1_3repE0EEENS1_30default_config_static_selectorELNS0_4arch9wavefront6targetE1EEEvSR_.num_named_barrier, 0
	.set _ZN7rocprim17ROCPRIM_400000_NS6detail17trampoline_kernelINS0_14default_configENS1_32segmented_reduce_config_selectorIN3c108BFloat16EEEZNS1_21segmented_reduce_implIS3_PKS6_PS6_PKiS6_N6hipcub16HIPCUB_304000_NS6detail27convert_result_type_wrapperISA_SB_N2at6native12_GLOBAL__N_19CustomSumEEEEE10hipError_tPvRmT0_T1_jT2_SS_T4_T3_P12ihipStream_tbEUlT_E_NS1_11comp_targetILNS1_3genE9ELNS1_11target_archE1100ELNS1_3gpuE3ELNS1_3repE0EEENS1_30default_config_static_selectorELNS0_4arch9wavefront6targetE1EEEvSR_.private_seg_size, 0
	.set _ZN7rocprim17ROCPRIM_400000_NS6detail17trampoline_kernelINS0_14default_configENS1_32segmented_reduce_config_selectorIN3c108BFloat16EEEZNS1_21segmented_reduce_implIS3_PKS6_PS6_PKiS6_N6hipcub16HIPCUB_304000_NS6detail27convert_result_type_wrapperISA_SB_N2at6native12_GLOBAL__N_19CustomSumEEEEE10hipError_tPvRmT0_T1_jT2_SS_T4_T3_P12ihipStream_tbEUlT_E_NS1_11comp_targetILNS1_3genE9ELNS1_11target_archE1100ELNS1_3gpuE3ELNS1_3repE0EEENS1_30default_config_static_selectorELNS0_4arch9wavefront6targetE1EEEvSR_.uses_vcc, 0
	.set _ZN7rocprim17ROCPRIM_400000_NS6detail17trampoline_kernelINS0_14default_configENS1_32segmented_reduce_config_selectorIN3c108BFloat16EEEZNS1_21segmented_reduce_implIS3_PKS6_PS6_PKiS6_N6hipcub16HIPCUB_304000_NS6detail27convert_result_type_wrapperISA_SB_N2at6native12_GLOBAL__N_19CustomSumEEEEE10hipError_tPvRmT0_T1_jT2_SS_T4_T3_P12ihipStream_tbEUlT_E_NS1_11comp_targetILNS1_3genE9ELNS1_11target_archE1100ELNS1_3gpuE3ELNS1_3repE0EEENS1_30default_config_static_selectorELNS0_4arch9wavefront6targetE1EEEvSR_.uses_flat_scratch, 0
	.set _ZN7rocprim17ROCPRIM_400000_NS6detail17trampoline_kernelINS0_14default_configENS1_32segmented_reduce_config_selectorIN3c108BFloat16EEEZNS1_21segmented_reduce_implIS3_PKS6_PS6_PKiS6_N6hipcub16HIPCUB_304000_NS6detail27convert_result_type_wrapperISA_SB_N2at6native12_GLOBAL__N_19CustomSumEEEEE10hipError_tPvRmT0_T1_jT2_SS_T4_T3_P12ihipStream_tbEUlT_E_NS1_11comp_targetILNS1_3genE9ELNS1_11target_archE1100ELNS1_3gpuE3ELNS1_3repE0EEENS1_30default_config_static_selectorELNS0_4arch9wavefront6targetE1EEEvSR_.has_dyn_sized_stack, 0
	.set _ZN7rocprim17ROCPRIM_400000_NS6detail17trampoline_kernelINS0_14default_configENS1_32segmented_reduce_config_selectorIN3c108BFloat16EEEZNS1_21segmented_reduce_implIS3_PKS6_PS6_PKiS6_N6hipcub16HIPCUB_304000_NS6detail27convert_result_type_wrapperISA_SB_N2at6native12_GLOBAL__N_19CustomSumEEEEE10hipError_tPvRmT0_T1_jT2_SS_T4_T3_P12ihipStream_tbEUlT_E_NS1_11comp_targetILNS1_3genE9ELNS1_11target_archE1100ELNS1_3gpuE3ELNS1_3repE0EEENS1_30default_config_static_selectorELNS0_4arch9wavefront6targetE1EEEvSR_.has_recursion, 0
	.set _ZN7rocprim17ROCPRIM_400000_NS6detail17trampoline_kernelINS0_14default_configENS1_32segmented_reduce_config_selectorIN3c108BFloat16EEEZNS1_21segmented_reduce_implIS3_PKS6_PS6_PKiS6_N6hipcub16HIPCUB_304000_NS6detail27convert_result_type_wrapperISA_SB_N2at6native12_GLOBAL__N_19CustomSumEEEEE10hipError_tPvRmT0_T1_jT2_SS_T4_T3_P12ihipStream_tbEUlT_E_NS1_11comp_targetILNS1_3genE9ELNS1_11target_archE1100ELNS1_3gpuE3ELNS1_3repE0EEENS1_30default_config_static_selectorELNS0_4arch9wavefront6targetE1EEEvSR_.has_indirect_call, 0
	.section	.AMDGPU.csdata,"",@progbits
; Kernel info:
; codeLenInByte = 0
; TotalNumSgprs: 4
; NumVgprs: 0
; ScratchSize: 0
; MemoryBound: 0
; FloatMode: 240
; IeeeMode: 1
; LDSByteSize: 0 bytes/workgroup (compile time only)
; SGPRBlocks: 0
; VGPRBlocks: 0
; NumSGPRsForWavesPerEU: 4
; NumVGPRsForWavesPerEU: 1
; Occupancy: 10
; WaveLimiterHint : 0
; COMPUTE_PGM_RSRC2:SCRATCH_EN: 0
; COMPUTE_PGM_RSRC2:USER_SGPR: 6
; COMPUTE_PGM_RSRC2:TRAP_HANDLER: 0
; COMPUTE_PGM_RSRC2:TGID_X_EN: 1
; COMPUTE_PGM_RSRC2:TGID_Y_EN: 0
; COMPUTE_PGM_RSRC2:TGID_Z_EN: 0
; COMPUTE_PGM_RSRC2:TIDIG_COMP_CNT: 0
	.section	.text._ZN7rocprim17ROCPRIM_400000_NS6detail17trampoline_kernelINS0_14default_configENS1_32segmented_reduce_config_selectorIN3c108BFloat16EEEZNS1_21segmented_reduce_implIS3_PKS6_PS6_PKiS6_N6hipcub16HIPCUB_304000_NS6detail27convert_result_type_wrapperISA_SB_N2at6native12_GLOBAL__N_19CustomSumEEEEE10hipError_tPvRmT0_T1_jT2_SS_T4_T3_P12ihipStream_tbEUlT_E_NS1_11comp_targetILNS1_3genE8ELNS1_11target_archE1030ELNS1_3gpuE2ELNS1_3repE0EEENS1_30default_config_static_selectorELNS0_4arch9wavefront6targetE1EEEvSR_,"axG",@progbits,_ZN7rocprim17ROCPRIM_400000_NS6detail17trampoline_kernelINS0_14default_configENS1_32segmented_reduce_config_selectorIN3c108BFloat16EEEZNS1_21segmented_reduce_implIS3_PKS6_PS6_PKiS6_N6hipcub16HIPCUB_304000_NS6detail27convert_result_type_wrapperISA_SB_N2at6native12_GLOBAL__N_19CustomSumEEEEE10hipError_tPvRmT0_T1_jT2_SS_T4_T3_P12ihipStream_tbEUlT_E_NS1_11comp_targetILNS1_3genE8ELNS1_11target_archE1030ELNS1_3gpuE2ELNS1_3repE0EEENS1_30default_config_static_selectorELNS0_4arch9wavefront6targetE1EEEvSR_,comdat
	.globl	_ZN7rocprim17ROCPRIM_400000_NS6detail17trampoline_kernelINS0_14default_configENS1_32segmented_reduce_config_selectorIN3c108BFloat16EEEZNS1_21segmented_reduce_implIS3_PKS6_PS6_PKiS6_N6hipcub16HIPCUB_304000_NS6detail27convert_result_type_wrapperISA_SB_N2at6native12_GLOBAL__N_19CustomSumEEEEE10hipError_tPvRmT0_T1_jT2_SS_T4_T3_P12ihipStream_tbEUlT_E_NS1_11comp_targetILNS1_3genE8ELNS1_11target_archE1030ELNS1_3gpuE2ELNS1_3repE0EEENS1_30default_config_static_selectorELNS0_4arch9wavefront6targetE1EEEvSR_ ; -- Begin function _ZN7rocprim17ROCPRIM_400000_NS6detail17trampoline_kernelINS0_14default_configENS1_32segmented_reduce_config_selectorIN3c108BFloat16EEEZNS1_21segmented_reduce_implIS3_PKS6_PS6_PKiS6_N6hipcub16HIPCUB_304000_NS6detail27convert_result_type_wrapperISA_SB_N2at6native12_GLOBAL__N_19CustomSumEEEEE10hipError_tPvRmT0_T1_jT2_SS_T4_T3_P12ihipStream_tbEUlT_E_NS1_11comp_targetILNS1_3genE8ELNS1_11target_archE1030ELNS1_3gpuE2ELNS1_3repE0EEENS1_30default_config_static_selectorELNS0_4arch9wavefront6targetE1EEEvSR_
	.p2align	8
	.type	_ZN7rocprim17ROCPRIM_400000_NS6detail17trampoline_kernelINS0_14default_configENS1_32segmented_reduce_config_selectorIN3c108BFloat16EEEZNS1_21segmented_reduce_implIS3_PKS6_PS6_PKiS6_N6hipcub16HIPCUB_304000_NS6detail27convert_result_type_wrapperISA_SB_N2at6native12_GLOBAL__N_19CustomSumEEEEE10hipError_tPvRmT0_T1_jT2_SS_T4_T3_P12ihipStream_tbEUlT_E_NS1_11comp_targetILNS1_3genE8ELNS1_11target_archE1030ELNS1_3gpuE2ELNS1_3repE0EEENS1_30default_config_static_selectorELNS0_4arch9wavefront6targetE1EEEvSR_,@function
_ZN7rocprim17ROCPRIM_400000_NS6detail17trampoline_kernelINS0_14default_configENS1_32segmented_reduce_config_selectorIN3c108BFloat16EEEZNS1_21segmented_reduce_implIS3_PKS6_PS6_PKiS6_N6hipcub16HIPCUB_304000_NS6detail27convert_result_type_wrapperISA_SB_N2at6native12_GLOBAL__N_19CustomSumEEEEE10hipError_tPvRmT0_T1_jT2_SS_T4_T3_P12ihipStream_tbEUlT_E_NS1_11comp_targetILNS1_3genE8ELNS1_11target_archE1030ELNS1_3gpuE2ELNS1_3repE0EEENS1_30default_config_static_selectorELNS0_4arch9wavefront6targetE1EEEvSR_: ; @_ZN7rocprim17ROCPRIM_400000_NS6detail17trampoline_kernelINS0_14default_configENS1_32segmented_reduce_config_selectorIN3c108BFloat16EEEZNS1_21segmented_reduce_implIS3_PKS6_PS6_PKiS6_N6hipcub16HIPCUB_304000_NS6detail27convert_result_type_wrapperISA_SB_N2at6native12_GLOBAL__N_19CustomSumEEEEE10hipError_tPvRmT0_T1_jT2_SS_T4_T3_P12ihipStream_tbEUlT_E_NS1_11comp_targetILNS1_3genE8ELNS1_11target_archE1030ELNS1_3gpuE2ELNS1_3repE0EEENS1_30default_config_static_selectorELNS0_4arch9wavefront6targetE1EEEvSR_
; %bb.0:
	.section	.rodata,"a",@progbits
	.p2align	6, 0x0
	.amdhsa_kernel _ZN7rocprim17ROCPRIM_400000_NS6detail17trampoline_kernelINS0_14default_configENS1_32segmented_reduce_config_selectorIN3c108BFloat16EEEZNS1_21segmented_reduce_implIS3_PKS6_PS6_PKiS6_N6hipcub16HIPCUB_304000_NS6detail27convert_result_type_wrapperISA_SB_N2at6native12_GLOBAL__N_19CustomSumEEEEE10hipError_tPvRmT0_T1_jT2_SS_T4_T3_P12ihipStream_tbEUlT_E_NS1_11comp_targetILNS1_3genE8ELNS1_11target_archE1030ELNS1_3gpuE2ELNS1_3repE0EEENS1_30default_config_static_selectorELNS0_4arch9wavefront6targetE1EEEvSR_
		.amdhsa_group_segment_fixed_size 0
		.amdhsa_private_segment_fixed_size 0
		.amdhsa_kernarg_size 48
		.amdhsa_user_sgpr_count 6
		.amdhsa_user_sgpr_private_segment_buffer 1
		.amdhsa_user_sgpr_dispatch_ptr 0
		.amdhsa_user_sgpr_queue_ptr 0
		.amdhsa_user_sgpr_kernarg_segment_ptr 1
		.amdhsa_user_sgpr_dispatch_id 0
		.amdhsa_user_sgpr_flat_scratch_init 0
		.amdhsa_user_sgpr_private_segment_size 0
		.amdhsa_uses_dynamic_stack 0
		.amdhsa_system_sgpr_private_segment_wavefront_offset 0
		.amdhsa_system_sgpr_workgroup_id_x 1
		.amdhsa_system_sgpr_workgroup_id_y 0
		.amdhsa_system_sgpr_workgroup_id_z 0
		.amdhsa_system_sgpr_workgroup_info 0
		.amdhsa_system_vgpr_workitem_id 0
		.amdhsa_next_free_vgpr 1
		.amdhsa_next_free_sgpr 0
		.amdhsa_reserve_vcc 0
		.amdhsa_reserve_flat_scratch 0
		.amdhsa_float_round_mode_32 0
		.amdhsa_float_round_mode_16_64 0
		.amdhsa_float_denorm_mode_32 3
		.amdhsa_float_denorm_mode_16_64 3
		.amdhsa_dx10_clamp 1
		.amdhsa_ieee_mode 1
		.amdhsa_fp16_overflow 0
		.amdhsa_exception_fp_ieee_invalid_op 0
		.amdhsa_exception_fp_denorm_src 0
		.amdhsa_exception_fp_ieee_div_zero 0
		.amdhsa_exception_fp_ieee_overflow 0
		.amdhsa_exception_fp_ieee_underflow 0
		.amdhsa_exception_fp_ieee_inexact 0
		.amdhsa_exception_int_div_zero 0
	.end_amdhsa_kernel
	.section	.text._ZN7rocprim17ROCPRIM_400000_NS6detail17trampoline_kernelINS0_14default_configENS1_32segmented_reduce_config_selectorIN3c108BFloat16EEEZNS1_21segmented_reduce_implIS3_PKS6_PS6_PKiS6_N6hipcub16HIPCUB_304000_NS6detail27convert_result_type_wrapperISA_SB_N2at6native12_GLOBAL__N_19CustomSumEEEEE10hipError_tPvRmT0_T1_jT2_SS_T4_T3_P12ihipStream_tbEUlT_E_NS1_11comp_targetILNS1_3genE8ELNS1_11target_archE1030ELNS1_3gpuE2ELNS1_3repE0EEENS1_30default_config_static_selectorELNS0_4arch9wavefront6targetE1EEEvSR_,"axG",@progbits,_ZN7rocprim17ROCPRIM_400000_NS6detail17trampoline_kernelINS0_14default_configENS1_32segmented_reduce_config_selectorIN3c108BFloat16EEEZNS1_21segmented_reduce_implIS3_PKS6_PS6_PKiS6_N6hipcub16HIPCUB_304000_NS6detail27convert_result_type_wrapperISA_SB_N2at6native12_GLOBAL__N_19CustomSumEEEEE10hipError_tPvRmT0_T1_jT2_SS_T4_T3_P12ihipStream_tbEUlT_E_NS1_11comp_targetILNS1_3genE8ELNS1_11target_archE1030ELNS1_3gpuE2ELNS1_3repE0EEENS1_30default_config_static_selectorELNS0_4arch9wavefront6targetE1EEEvSR_,comdat
.Lfunc_end126:
	.size	_ZN7rocprim17ROCPRIM_400000_NS6detail17trampoline_kernelINS0_14default_configENS1_32segmented_reduce_config_selectorIN3c108BFloat16EEEZNS1_21segmented_reduce_implIS3_PKS6_PS6_PKiS6_N6hipcub16HIPCUB_304000_NS6detail27convert_result_type_wrapperISA_SB_N2at6native12_GLOBAL__N_19CustomSumEEEEE10hipError_tPvRmT0_T1_jT2_SS_T4_T3_P12ihipStream_tbEUlT_E_NS1_11comp_targetILNS1_3genE8ELNS1_11target_archE1030ELNS1_3gpuE2ELNS1_3repE0EEENS1_30default_config_static_selectorELNS0_4arch9wavefront6targetE1EEEvSR_, .Lfunc_end126-_ZN7rocprim17ROCPRIM_400000_NS6detail17trampoline_kernelINS0_14default_configENS1_32segmented_reduce_config_selectorIN3c108BFloat16EEEZNS1_21segmented_reduce_implIS3_PKS6_PS6_PKiS6_N6hipcub16HIPCUB_304000_NS6detail27convert_result_type_wrapperISA_SB_N2at6native12_GLOBAL__N_19CustomSumEEEEE10hipError_tPvRmT0_T1_jT2_SS_T4_T3_P12ihipStream_tbEUlT_E_NS1_11comp_targetILNS1_3genE8ELNS1_11target_archE1030ELNS1_3gpuE2ELNS1_3repE0EEENS1_30default_config_static_selectorELNS0_4arch9wavefront6targetE1EEEvSR_
                                        ; -- End function
	.set _ZN7rocprim17ROCPRIM_400000_NS6detail17trampoline_kernelINS0_14default_configENS1_32segmented_reduce_config_selectorIN3c108BFloat16EEEZNS1_21segmented_reduce_implIS3_PKS6_PS6_PKiS6_N6hipcub16HIPCUB_304000_NS6detail27convert_result_type_wrapperISA_SB_N2at6native12_GLOBAL__N_19CustomSumEEEEE10hipError_tPvRmT0_T1_jT2_SS_T4_T3_P12ihipStream_tbEUlT_E_NS1_11comp_targetILNS1_3genE8ELNS1_11target_archE1030ELNS1_3gpuE2ELNS1_3repE0EEENS1_30default_config_static_selectorELNS0_4arch9wavefront6targetE1EEEvSR_.num_vgpr, 0
	.set _ZN7rocprim17ROCPRIM_400000_NS6detail17trampoline_kernelINS0_14default_configENS1_32segmented_reduce_config_selectorIN3c108BFloat16EEEZNS1_21segmented_reduce_implIS3_PKS6_PS6_PKiS6_N6hipcub16HIPCUB_304000_NS6detail27convert_result_type_wrapperISA_SB_N2at6native12_GLOBAL__N_19CustomSumEEEEE10hipError_tPvRmT0_T1_jT2_SS_T4_T3_P12ihipStream_tbEUlT_E_NS1_11comp_targetILNS1_3genE8ELNS1_11target_archE1030ELNS1_3gpuE2ELNS1_3repE0EEENS1_30default_config_static_selectorELNS0_4arch9wavefront6targetE1EEEvSR_.num_agpr, 0
	.set _ZN7rocprim17ROCPRIM_400000_NS6detail17trampoline_kernelINS0_14default_configENS1_32segmented_reduce_config_selectorIN3c108BFloat16EEEZNS1_21segmented_reduce_implIS3_PKS6_PS6_PKiS6_N6hipcub16HIPCUB_304000_NS6detail27convert_result_type_wrapperISA_SB_N2at6native12_GLOBAL__N_19CustomSumEEEEE10hipError_tPvRmT0_T1_jT2_SS_T4_T3_P12ihipStream_tbEUlT_E_NS1_11comp_targetILNS1_3genE8ELNS1_11target_archE1030ELNS1_3gpuE2ELNS1_3repE0EEENS1_30default_config_static_selectorELNS0_4arch9wavefront6targetE1EEEvSR_.numbered_sgpr, 0
	.set _ZN7rocprim17ROCPRIM_400000_NS6detail17trampoline_kernelINS0_14default_configENS1_32segmented_reduce_config_selectorIN3c108BFloat16EEEZNS1_21segmented_reduce_implIS3_PKS6_PS6_PKiS6_N6hipcub16HIPCUB_304000_NS6detail27convert_result_type_wrapperISA_SB_N2at6native12_GLOBAL__N_19CustomSumEEEEE10hipError_tPvRmT0_T1_jT2_SS_T4_T3_P12ihipStream_tbEUlT_E_NS1_11comp_targetILNS1_3genE8ELNS1_11target_archE1030ELNS1_3gpuE2ELNS1_3repE0EEENS1_30default_config_static_selectorELNS0_4arch9wavefront6targetE1EEEvSR_.num_named_barrier, 0
	.set _ZN7rocprim17ROCPRIM_400000_NS6detail17trampoline_kernelINS0_14default_configENS1_32segmented_reduce_config_selectorIN3c108BFloat16EEEZNS1_21segmented_reduce_implIS3_PKS6_PS6_PKiS6_N6hipcub16HIPCUB_304000_NS6detail27convert_result_type_wrapperISA_SB_N2at6native12_GLOBAL__N_19CustomSumEEEEE10hipError_tPvRmT0_T1_jT2_SS_T4_T3_P12ihipStream_tbEUlT_E_NS1_11comp_targetILNS1_3genE8ELNS1_11target_archE1030ELNS1_3gpuE2ELNS1_3repE0EEENS1_30default_config_static_selectorELNS0_4arch9wavefront6targetE1EEEvSR_.private_seg_size, 0
	.set _ZN7rocprim17ROCPRIM_400000_NS6detail17trampoline_kernelINS0_14default_configENS1_32segmented_reduce_config_selectorIN3c108BFloat16EEEZNS1_21segmented_reduce_implIS3_PKS6_PS6_PKiS6_N6hipcub16HIPCUB_304000_NS6detail27convert_result_type_wrapperISA_SB_N2at6native12_GLOBAL__N_19CustomSumEEEEE10hipError_tPvRmT0_T1_jT2_SS_T4_T3_P12ihipStream_tbEUlT_E_NS1_11comp_targetILNS1_3genE8ELNS1_11target_archE1030ELNS1_3gpuE2ELNS1_3repE0EEENS1_30default_config_static_selectorELNS0_4arch9wavefront6targetE1EEEvSR_.uses_vcc, 0
	.set _ZN7rocprim17ROCPRIM_400000_NS6detail17trampoline_kernelINS0_14default_configENS1_32segmented_reduce_config_selectorIN3c108BFloat16EEEZNS1_21segmented_reduce_implIS3_PKS6_PS6_PKiS6_N6hipcub16HIPCUB_304000_NS6detail27convert_result_type_wrapperISA_SB_N2at6native12_GLOBAL__N_19CustomSumEEEEE10hipError_tPvRmT0_T1_jT2_SS_T4_T3_P12ihipStream_tbEUlT_E_NS1_11comp_targetILNS1_3genE8ELNS1_11target_archE1030ELNS1_3gpuE2ELNS1_3repE0EEENS1_30default_config_static_selectorELNS0_4arch9wavefront6targetE1EEEvSR_.uses_flat_scratch, 0
	.set _ZN7rocprim17ROCPRIM_400000_NS6detail17trampoline_kernelINS0_14default_configENS1_32segmented_reduce_config_selectorIN3c108BFloat16EEEZNS1_21segmented_reduce_implIS3_PKS6_PS6_PKiS6_N6hipcub16HIPCUB_304000_NS6detail27convert_result_type_wrapperISA_SB_N2at6native12_GLOBAL__N_19CustomSumEEEEE10hipError_tPvRmT0_T1_jT2_SS_T4_T3_P12ihipStream_tbEUlT_E_NS1_11comp_targetILNS1_3genE8ELNS1_11target_archE1030ELNS1_3gpuE2ELNS1_3repE0EEENS1_30default_config_static_selectorELNS0_4arch9wavefront6targetE1EEEvSR_.has_dyn_sized_stack, 0
	.set _ZN7rocprim17ROCPRIM_400000_NS6detail17trampoline_kernelINS0_14default_configENS1_32segmented_reduce_config_selectorIN3c108BFloat16EEEZNS1_21segmented_reduce_implIS3_PKS6_PS6_PKiS6_N6hipcub16HIPCUB_304000_NS6detail27convert_result_type_wrapperISA_SB_N2at6native12_GLOBAL__N_19CustomSumEEEEE10hipError_tPvRmT0_T1_jT2_SS_T4_T3_P12ihipStream_tbEUlT_E_NS1_11comp_targetILNS1_3genE8ELNS1_11target_archE1030ELNS1_3gpuE2ELNS1_3repE0EEENS1_30default_config_static_selectorELNS0_4arch9wavefront6targetE1EEEvSR_.has_recursion, 0
	.set _ZN7rocprim17ROCPRIM_400000_NS6detail17trampoline_kernelINS0_14default_configENS1_32segmented_reduce_config_selectorIN3c108BFloat16EEEZNS1_21segmented_reduce_implIS3_PKS6_PS6_PKiS6_N6hipcub16HIPCUB_304000_NS6detail27convert_result_type_wrapperISA_SB_N2at6native12_GLOBAL__N_19CustomSumEEEEE10hipError_tPvRmT0_T1_jT2_SS_T4_T3_P12ihipStream_tbEUlT_E_NS1_11comp_targetILNS1_3genE8ELNS1_11target_archE1030ELNS1_3gpuE2ELNS1_3repE0EEENS1_30default_config_static_selectorELNS0_4arch9wavefront6targetE1EEEvSR_.has_indirect_call, 0
	.section	.AMDGPU.csdata,"",@progbits
; Kernel info:
; codeLenInByte = 0
; TotalNumSgprs: 4
; NumVgprs: 0
; ScratchSize: 0
; MemoryBound: 0
; FloatMode: 240
; IeeeMode: 1
; LDSByteSize: 0 bytes/workgroup (compile time only)
; SGPRBlocks: 0
; VGPRBlocks: 0
; NumSGPRsForWavesPerEU: 4
; NumVGPRsForWavesPerEU: 1
; Occupancy: 10
; WaveLimiterHint : 0
; COMPUTE_PGM_RSRC2:SCRATCH_EN: 0
; COMPUTE_PGM_RSRC2:USER_SGPR: 6
; COMPUTE_PGM_RSRC2:TRAP_HANDLER: 0
; COMPUTE_PGM_RSRC2:TGID_X_EN: 1
; COMPUTE_PGM_RSRC2:TGID_Y_EN: 0
; COMPUTE_PGM_RSRC2:TGID_Z_EN: 0
; COMPUTE_PGM_RSRC2:TIDIG_COMP_CNT: 0
	.section	.text._ZN2at6native12_GLOBAL__N_119post_sum_div_kernelIN3c108BFloat16EiEEvPT_PKT0_lbS5_,"axG",@progbits,_ZN2at6native12_GLOBAL__N_119post_sum_div_kernelIN3c108BFloat16EiEEvPT_PKT0_lbS5_,comdat
	.globl	_ZN2at6native12_GLOBAL__N_119post_sum_div_kernelIN3c108BFloat16EiEEvPT_PKT0_lbS5_ ; -- Begin function _ZN2at6native12_GLOBAL__N_119post_sum_div_kernelIN3c108BFloat16EiEEvPT_PKT0_lbS5_
	.p2align	8
	.type	_ZN2at6native12_GLOBAL__N_119post_sum_div_kernelIN3c108BFloat16EiEEvPT_PKT0_lbS5_,@function
_ZN2at6native12_GLOBAL__N_119post_sum_div_kernelIN3c108BFloat16EiEEvPT_PKT0_lbS5_: ; @_ZN2at6native12_GLOBAL__N_119post_sum_div_kernelIN3c108BFloat16EiEEvPT_PKT0_lbS5_
; %bb.0:
	s_load_dword s7, s[4:5], 0x2c
	s_load_dwordx2 s[2:3], s[4:5], 0x10
	s_add_u32 s0, s4, 32
	s_addc_u32 s1, s5, 0
	v_mov_b32_e32 v1, 0
	s_waitcnt lgkmcnt(0)
	s_and_b32 s7, s7, 0xffff
	v_mov_b32_e32 v2, s6
	v_mad_u64_u32 v[2:3], s[8:9], s7, v2, v[0:1]
	v_cmp_gt_i64_e32 vcc, s[2:3], v[2:3]
	s_and_saveexec_b64 s[8:9], vcc
	s_cbranch_execz .LBB127_12
; %bb.1:
	s_load_dword s6, s[4:5], 0x18
	s_load_dword s12, s[0:1], 0x0
	s_load_dwordx4 s[8:11], s[4:5], 0x0
	v_mov_b32_e32 v0, v1
	v_mov_b32_e32 v1, v2
	s_waitcnt lgkmcnt(0)
	s_and_b32 s0, 1, s6
	s_lshr_b32 s1, s6, 16
	s_mul_i32 s22, s12, s7
	s_cmp_eq_u32 s0, 1
	s_cselect_b32 s23, s1, 0x7fc0
	s_mov_b32 s24, s22
	s_mov_b64 s[4:5], 0
	v_mov_b32_e32 v6, s11
	s_movk_i32 s11, 0x7fff
	v_mov_b32_e32 v7, 0x7fc0
                                        ; implicit-def: $sgpr6_sgpr7
                                        ; implicit-def: $sgpr14_sgpr15
                                        ; implicit-def: $sgpr12_sgpr13
.LBB127_2:                              ; =>This Inner Loop Header: Depth=1
	v_ashrrev_i64 v[4:5], 30, v[0:1]
	s_or_b64 s[12:13], s[12:13], exec
	v_add_co_u32_e32 v4, vcc, s10, v4
	v_addc_co_u32_e32 v5, vcc, v6, v5, vcc
	global_load_dword v8, v[4:5], off
	s_or_b64 s[14:15], s[14:15], exec
	s_waitcnt vmcnt(0)
	v_cmp_lt_i32_e32 vcc, -1, v8
	s_and_saveexec_b64 s[16:17], vcc
	s_cbranch_execz .LBB127_10
; %bb.3:                                ;   in Loop: Header=BB127_2 Depth=1
	v_ashrrev_i32_e32 v5, 31, v1
	v_mov_b32_e32 v4, v1
	v_lshlrev_b64 v[4:5], 1, v[4:5]
	v_mov_b32_e32 v9, s9
	v_add_co_u32_e64 v4, s[0:1], s8, v4
	v_cmp_ne_u32_e32 vcc, 0, v8
	v_addc_co_u32_e64 v5, s[0:1], v9, v5, s[0:1]
	s_mov_b64 s[18:19], -1
	v_mov_b32_e32 v9, s23
	s_and_saveexec_b64 s[0:1], vcc
	s_cbranch_execz .LBB127_7
; %bb.4:                                ;   in Loop: Header=BB127_2 Depth=1
	global_load_ushort v9, v[4:5], off
	s_mov_b64 s[18:19], 0
	s_waitcnt vmcnt(0)
	v_lshlrev_b32_e32 v10, 16, v9
	v_cmp_o_f32_e32 vcc, v10, v10
                                        ; implicit-def: $vgpr9
	s_and_saveexec_b64 s[20:21], vcc
	s_cbranch_execz .LBB127_6
; %bb.5:                                ;   in Loop: Header=BB127_2 Depth=1
	v_cvt_f32_u32_e32 v8, v8
	s_mov_b64 s[18:19], exec
	v_bfe_u32 v9, v8, 16, 1
	v_add3_u32 v8, v8, v9, s11
	v_and_b32_e32 v8, 0xffff0000, v8
	v_div_scale_f32 v9, s[26:27], v8, v8, v10
	v_div_scale_f32 v11, vcc, v10, v8, v10
	v_rcp_f32_e32 v12, v9
	v_fma_f32 v13, -v9, v12, 1.0
	v_fmac_f32_e32 v12, v13, v12
	v_mul_f32_e32 v13, v11, v12
	v_fma_f32 v14, -v9, v13, v11
	v_fmac_f32_e32 v13, v14, v12
	v_fma_f32 v9, -v9, v13, v11
	v_div_fmas_f32 v9, v9, v12, v13
	v_div_fixup_f32 v8, v9, v8, v10
	v_bfe_u32 v9, v8, 16, 1
	v_cmp_o_f32_e32 vcc, v8, v8
	v_add3_u32 v8, v8, v9, s11
	v_cndmask_b32_sdwa v9, v7, v8, vcc dst_sel:DWORD dst_unused:UNUSED_PAD src0_sel:DWORD src1_sel:WORD_1
.LBB127_6:                              ;   in Loop: Header=BB127_2 Depth=1
	s_or_b64 exec, exec, s[20:21]
	s_orn2_b64 s[18:19], s[18:19], exec
.LBB127_7:                              ;   in Loop: Header=BB127_2 Depth=1
	s_or_b64 exec, exec, s[0:1]
	s_and_saveexec_b64 s[0:1], s[18:19]
	s_cbranch_execz .LBB127_9
; %bb.8:                                ;   in Loop: Header=BB127_2 Depth=1
	global_store_short v[4:5], v9, off
.LBB127_9:                              ;   in Loop: Header=BB127_2 Depth=1
	s_or_b64 exec, exec, s[0:1]
	v_add_co_u32_e32 v2, vcc, s22, v2
	v_addc_co_u32_e32 v3, vcc, 0, v3, vcc
	v_mov_b32_e32 v4, s24
	v_add_co_u32_e32 v0, vcc, 0, v0
	v_addc_co_u32_e32 v1, vcc, v1, v4, vcc
	v_cmp_le_i64_e32 vcc, s[2:3], v[2:3]
	s_andn2_b64 s[0:1], s[14:15], exec
	s_and_b64 s[14:15], vcc, exec
	s_andn2_b64 s[12:13], s[12:13], exec
	s_or_b64 s[14:15], s[0:1], s[14:15]
.LBB127_10:                             ;   in Loop: Header=BB127_2 Depth=1
	s_or_b64 exec, exec, s[16:17]
	s_and_b64 s[0:1], exec, s[14:15]
	s_or_b64 s[4:5], s[0:1], s[4:5]
	s_andn2_b64 s[0:1], s[6:7], exec
	s_and_b64 s[6:7], s[12:13], exec
	s_or_b64 s[6:7], s[0:1], s[6:7]
	s_andn2_b64 exec, exec, s[4:5]
	s_cbranch_execnz .LBB127_2
; %bb.11:
	s_or_b64 exec, exec, s[4:5]
	s_and_saveexec_b64 s[0:1], s[6:7]
	s_xor_b64 s[0:1], exec, s[0:1]
	s_cbranch_execnz .LBB127_13
.LBB127_12:
	s_endpgm
.LBB127_13:
	s_trap 2
	; divergent unreachable
	s_endpgm
	.section	.rodata,"a",@progbits
	.p2align	6, 0x0
	.amdhsa_kernel _ZN2at6native12_GLOBAL__N_119post_sum_div_kernelIN3c108BFloat16EiEEvPT_PKT0_lbS5_
		.amdhsa_group_segment_fixed_size 0
		.amdhsa_private_segment_fixed_size 0
		.amdhsa_kernarg_size 288
		.amdhsa_user_sgpr_count 6
		.amdhsa_user_sgpr_private_segment_buffer 1
		.amdhsa_user_sgpr_dispatch_ptr 0
		.amdhsa_user_sgpr_queue_ptr 0
		.amdhsa_user_sgpr_kernarg_segment_ptr 1
		.amdhsa_user_sgpr_dispatch_id 0
		.amdhsa_user_sgpr_flat_scratch_init 0
		.amdhsa_user_sgpr_private_segment_size 0
		.amdhsa_uses_dynamic_stack 0
		.amdhsa_system_sgpr_private_segment_wavefront_offset 0
		.amdhsa_system_sgpr_workgroup_id_x 1
		.amdhsa_system_sgpr_workgroup_id_y 0
		.amdhsa_system_sgpr_workgroup_id_z 0
		.amdhsa_system_sgpr_workgroup_info 0
		.amdhsa_system_vgpr_workitem_id 0
		.amdhsa_next_free_vgpr 15
		.amdhsa_next_free_sgpr 28
		.amdhsa_reserve_vcc 1
		.amdhsa_reserve_flat_scratch 0
		.amdhsa_float_round_mode_32 0
		.amdhsa_float_round_mode_16_64 0
		.amdhsa_float_denorm_mode_32 3
		.amdhsa_float_denorm_mode_16_64 3
		.amdhsa_dx10_clamp 1
		.amdhsa_ieee_mode 1
		.amdhsa_fp16_overflow 0
		.amdhsa_exception_fp_ieee_invalid_op 0
		.amdhsa_exception_fp_denorm_src 0
		.amdhsa_exception_fp_ieee_div_zero 0
		.amdhsa_exception_fp_ieee_overflow 0
		.amdhsa_exception_fp_ieee_underflow 0
		.amdhsa_exception_fp_ieee_inexact 0
		.amdhsa_exception_int_div_zero 0
	.end_amdhsa_kernel
	.section	.text._ZN2at6native12_GLOBAL__N_119post_sum_div_kernelIN3c108BFloat16EiEEvPT_PKT0_lbS5_,"axG",@progbits,_ZN2at6native12_GLOBAL__N_119post_sum_div_kernelIN3c108BFloat16EiEEvPT_PKT0_lbS5_,comdat
.Lfunc_end127:
	.size	_ZN2at6native12_GLOBAL__N_119post_sum_div_kernelIN3c108BFloat16EiEEvPT_PKT0_lbS5_, .Lfunc_end127-_ZN2at6native12_GLOBAL__N_119post_sum_div_kernelIN3c108BFloat16EiEEvPT_PKT0_lbS5_
                                        ; -- End function
	.set _ZN2at6native12_GLOBAL__N_119post_sum_div_kernelIN3c108BFloat16EiEEvPT_PKT0_lbS5_.num_vgpr, 15
	.set _ZN2at6native12_GLOBAL__N_119post_sum_div_kernelIN3c108BFloat16EiEEvPT_PKT0_lbS5_.num_agpr, 0
	.set _ZN2at6native12_GLOBAL__N_119post_sum_div_kernelIN3c108BFloat16EiEEvPT_PKT0_lbS5_.numbered_sgpr, 28
	.set _ZN2at6native12_GLOBAL__N_119post_sum_div_kernelIN3c108BFloat16EiEEvPT_PKT0_lbS5_.num_named_barrier, 0
	.set _ZN2at6native12_GLOBAL__N_119post_sum_div_kernelIN3c108BFloat16EiEEvPT_PKT0_lbS5_.private_seg_size, 0
	.set _ZN2at6native12_GLOBAL__N_119post_sum_div_kernelIN3c108BFloat16EiEEvPT_PKT0_lbS5_.uses_vcc, 1
	.set _ZN2at6native12_GLOBAL__N_119post_sum_div_kernelIN3c108BFloat16EiEEvPT_PKT0_lbS5_.uses_flat_scratch, 0
	.set _ZN2at6native12_GLOBAL__N_119post_sum_div_kernelIN3c108BFloat16EiEEvPT_PKT0_lbS5_.has_dyn_sized_stack, 0
	.set _ZN2at6native12_GLOBAL__N_119post_sum_div_kernelIN3c108BFloat16EiEEvPT_PKT0_lbS5_.has_recursion, 0
	.set _ZN2at6native12_GLOBAL__N_119post_sum_div_kernelIN3c108BFloat16EiEEvPT_PKT0_lbS5_.has_indirect_call, 0
	.section	.AMDGPU.csdata,"",@progbits
; Kernel info:
; codeLenInByte = 548
; TotalNumSgprs: 32
; NumVgprs: 15
; ScratchSize: 0
; MemoryBound: 0
; FloatMode: 240
; IeeeMode: 1
; LDSByteSize: 0 bytes/workgroup (compile time only)
; SGPRBlocks: 3
; VGPRBlocks: 3
; NumSGPRsForWavesPerEU: 32
; NumVGPRsForWavesPerEU: 15
; Occupancy: 10
; WaveLimiterHint : 0
; COMPUTE_PGM_RSRC2:SCRATCH_EN: 0
; COMPUTE_PGM_RSRC2:USER_SGPR: 6
; COMPUTE_PGM_RSRC2:TRAP_HANDLER: 0
; COMPUTE_PGM_RSRC2:TGID_X_EN: 1
; COMPUTE_PGM_RSRC2:TGID_Y_EN: 0
; COMPUTE_PGM_RSRC2:TGID_Z_EN: 0
; COMPUTE_PGM_RSRC2:TIDIG_COMP_CNT: 0
	.section	.text._ZN7rocprim17ROCPRIM_400000_NS6detail17trampoline_kernelINS0_14default_configENS1_32segmented_reduce_config_selectorIN3c108BFloat16EEEZNS1_21segmented_reduce_implIS3_PKS6_PS6_PKiS6_N6hipcub16HIPCUB_304000_NS6detail27convert_result_type_wrapperISA_SB_N2at6native12_GLOBAL__N_19CustomMinEEEEE10hipError_tPvRmT0_T1_jT2_SS_T4_T3_P12ihipStream_tbEUlT_E_NS1_11comp_targetILNS1_3genE0ELNS1_11target_archE4294967295ELNS1_3gpuE0ELNS1_3repE0EEENS1_30default_config_static_selectorELNS0_4arch9wavefront6targetE1EEEvSR_,"axG",@progbits,_ZN7rocprim17ROCPRIM_400000_NS6detail17trampoline_kernelINS0_14default_configENS1_32segmented_reduce_config_selectorIN3c108BFloat16EEEZNS1_21segmented_reduce_implIS3_PKS6_PS6_PKiS6_N6hipcub16HIPCUB_304000_NS6detail27convert_result_type_wrapperISA_SB_N2at6native12_GLOBAL__N_19CustomMinEEEEE10hipError_tPvRmT0_T1_jT2_SS_T4_T3_P12ihipStream_tbEUlT_E_NS1_11comp_targetILNS1_3genE0ELNS1_11target_archE4294967295ELNS1_3gpuE0ELNS1_3repE0EEENS1_30default_config_static_selectorELNS0_4arch9wavefront6targetE1EEEvSR_,comdat
	.globl	_ZN7rocprim17ROCPRIM_400000_NS6detail17trampoline_kernelINS0_14default_configENS1_32segmented_reduce_config_selectorIN3c108BFloat16EEEZNS1_21segmented_reduce_implIS3_PKS6_PS6_PKiS6_N6hipcub16HIPCUB_304000_NS6detail27convert_result_type_wrapperISA_SB_N2at6native12_GLOBAL__N_19CustomMinEEEEE10hipError_tPvRmT0_T1_jT2_SS_T4_T3_P12ihipStream_tbEUlT_E_NS1_11comp_targetILNS1_3genE0ELNS1_11target_archE4294967295ELNS1_3gpuE0ELNS1_3repE0EEENS1_30default_config_static_selectorELNS0_4arch9wavefront6targetE1EEEvSR_ ; -- Begin function _ZN7rocprim17ROCPRIM_400000_NS6detail17trampoline_kernelINS0_14default_configENS1_32segmented_reduce_config_selectorIN3c108BFloat16EEEZNS1_21segmented_reduce_implIS3_PKS6_PS6_PKiS6_N6hipcub16HIPCUB_304000_NS6detail27convert_result_type_wrapperISA_SB_N2at6native12_GLOBAL__N_19CustomMinEEEEE10hipError_tPvRmT0_T1_jT2_SS_T4_T3_P12ihipStream_tbEUlT_E_NS1_11comp_targetILNS1_3genE0ELNS1_11target_archE4294967295ELNS1_3gpuE0ELNS1_3repE0EEENS1_30default_config_static_selectorELNS0_4arch9wavefront6targetE1EEEvSR_
	.p2align	8
	.type	_ZN7rocprim17ROCPRIM_400000_NS6detail17trampoline_kernelINS0_14default_configENS1_32segmented_reduce_config_selectorIN3c108BFloat16EEEZNS1_21segmented_reduce_implIS3_PKS6_PS6_PKiS6_N6hipcub16HIPCUB_304000_NS6detail27convert_result_type_wrapperISA_SB_N2at6native12_GLOBAL__N_19CustomMinEEEEE10hipError_tPvRmT0_T1_jT2_SS_T4_T3_P12ihipStream_tbEUlT_E_NS1_11comp_targetILNS1_3genE0ELNS1_11target_archE4294967295ELNS1_3gpuE0ELNS1_3repE0EEENS1_30default_config_static_selectorELNS0_4arch9wavefront6targetE1EEEvSR_,@function
_ZN7rocprim17ROCPRIM_400000_NS6detail17trampoline_kernelINS0_14default_configENS1_32segmented_reduce_config_selectorIN3c108BFloat16EEEZNS1_21segmented_reduce_implIS3_PKS6_PS6_PKiS6_N6hipcub16HIPCUB_304000_NS6detail27convert_result_type_wrapperISA_SB_N2at6native12_GLOBAL__N_19CustomMinEEEEE10hipError_tPvRmT0_T1_jT2_SS_T4_T3_P12ihipStream_tbEUlT_E_NS1_11comp_targetILNS1_3genE0ELNS1_11target_archE4294967295ELNS1_3gpuE0ELNS1_3repE0EEENS1_30default_config_static_selectorELNS0_4arch9wavefront6targetE1EEEvSR_: ; @_ZN7rocprim17ROCPRIM_400000_NS6detail17trampoline_kernelINS0_14default_configENS1_32segmented_reduce_config_selectorIN3c108BFloat16EEEZNS1_21segmented_reduce_implIS3_PKS6_PS6_PKiS6_N6hipcub16HIPCUB_304000_NS6detail27convert_result_type_wrapperISA_SB_N2at6native12_GLOBAL__N_19CustomMinEEEEE10hipError_tPvRmT0_T1_jT2_SS_T4_T3_P12ihipStream_tbEUlT_E_NS1_11comp_targetILNS1_3genE0ELNS1_11target_archE4294967295ELNS1_3gpuE0ELNS1_3repE0EEENS1_30default_config_static_selectorELNS0_4arch9wavefront6targetE1EEEvSR_
; %bb.0:
	.section	.rodata,"a",@progbits
	.p2align	6, 0x0
	.amdhsa_kernel _ZN7rocprim17ROCPRIM_400000_NS6detail17trampoline_kernelINS0_14default_configENS1_32segmented_reduce_config_selectorIN3c108BFloat16EEEZNS1_21segmented_reduce_implIS3_PKS6_PS6_PKiS6_N6hipcub16HIPCUB_304000_NS6detail27convert_result_type_wrapperISA_SB_N2at6native12_GLOBAL__N_19CustomMinEEEEE10hipError_tPvRmT0_T1_jT2_SS_T4_T3_P12ihipStream_tbEUlT_E_NS1_11comp_targetILNS1_3genE0ELNS1_11target_archE4294967295ELNS1_3gpuE0ELNS1_3repE0EEENS1_30default_config_static_selectorELNS0_4arch9wavefront6targetE1EEEvSR_
		.amdhsa_group_segment_fixed_size 0
		.amdhsa_private_segment_fixed_size 0
		.amdhsa_kernarg_size 48
		.amdhsa_user_sgpr_count 6
		.amdhsa_user_sgpr_private_segment_buffer 1
		.amdhsa_user_sgpr_dispatch_ptr 0
		.amdhsa_user_sgpr_queue_ptr 0
		.amdhsa_user_sgpr_kernarg_segment_ptr 1
		.amdhsa_user_sgpr_dispatch_id 0
		.amdhsa_user_sgpr_flat_scratch_init 0
		.amdhsa_user_sgpr_private_segment_size 0
		.amdhsa_uses_dynamic_stack 0
		.amdhsa_system_sgpr_private_segment_wavefront_offset 0
		.amdhsa_system_sgpr_workgroup_id_x 1
		.amdhsa_system_sgpr_workgroup_id_y 0
		.amdhsa_system_sgpr_workgroup_id_z 0
		.amdhsa_system_sgpr_workgroup_info 0
		.amdhsa_system_vgpr_workitem_id 0
		.amdhsa_next_free_vgpr 1
		.amdhsa_next_free_sgpr 0
		.amdhsa_reserve_vcc 0
		.amdhsa_reserve_flat_scratch 0
		.amdhsa_float_round_mode_32 0
		.amdhsa_float_round_mode_16_64 0
		.amdhsa_float_denorm_mode_32 3
		.amdhsa_float_denorm_mode_16_64 3
		.amdhsa_dx10_clamp 1
		.amdhsa_ieee_mode 1
		.amdhsa_fp16_overflow 0
		.amdhsa_exception_fp_ieee_invalid_op 0
		.amdhsa_exception_fp_denorm_src 0
		.amdhsa_exception_fp_ieee_div_zero 0
		.amdhsa_exception_fp_ieee_overflow 0
		.amdhsa_exception_fp_ieee_underflow 0
		.amdhsa_exception_fp_ieee_inexact 0
		.amdhsa_exception_int_div_zero 0
	.end_amdhsa_kernel
	.section	.text._ZN7rocprim17ROCPRIM_400000_NS6detail17trampoline_kernelINS0_14default_configENS1_32segmented_reduce_config_selectorIN3c108BFloat16EEEZNS1_21segmented_reduce_implIS3_PKS6_PS6_PKiS6_N6hipcub16HIPCUB_304000_NS6detail27convert_result_type_wrapperISA_SB_N2at6native12_GLOBAL__N_19CustomMinEEEEE10hipError_tPvRmT0_T1_jT2_SS_T4_T3_P12ihipStream_tbEUlT_E_NS1_11comp_targetILNS1_3genE0ELNS1_11target_archE4294967295ELNS1_3gpuE0ELNS1_3repE0EEENS1_30default_config_static_selectorELNS0_4arch9wavefront6targetE1EEEvSR_,"axG",@progbits,_ZN7rocprim17ROCPRIM_400000_NS6detail17trampoline_kernelINS0_14default_configENS1_32segmented_reduce_config_selectorIN3c108BFloat16EEEZNS1_21segmented_reduce_implIS3_PKS6_PS6_PKiS6_N6hipcub16HIPCUB_304000_NS6detail27convert_result_type_wrapperISA_SB_N2at6native12_GLOBAL__N_19CustomMinEEEEE10hipError_tPvRmT0_T1_jT2_SS_T4_T3_P12ihipStream_tbEUlT_E_NS1_11comp_targetILNS1_3genE0ELNS1_11target_archE4294967295ELNS1_3gpuE0ELNS1_3repE0EEENS1_30default_config_static_selectorELNS0_4arch9wavefront6targetE1EEEvSR_,comdat
.Lfunc_end128:
	.size	_ZN7rocprim17ROCPRIM_400000_NS6detail17trampoline_kernelINS0_14default_configENS1_32segmented_reduce_config_selectorIN3c108BFloat16EEEZNS1_21segmented_reduce_implIS3_PKS6_PS6_PKiS6_N6hipcub16HIPCUB_304000_NS6detail27convert_result_type_wrapperISA_SB_N2at6native12_GLOBAL__N_19CustomMinEEEEE10hipError_tPvRmT0_T1_jT2_SS_T4_T3_P12ihipStream_tbEUlT_E_NS1_11comp_targetILNS1_3genE0ELNS1_11target_archE4294967295ELNS1_3gpuE0ELNS1_3repE0EEENS1_30default_config_static_selectorELNS0_4arch9wavefront6targetE1EEEvSR_, .Lfunc_end128-_ZN7rocprim17ROCPRIM_400000_NS6detail17trampoline_kernelINS0_14default_configENS1_32segmented_reduce_config_selectorIN3c108BFloat16EEEZNS1_21segmented_reduce_implIS3_PKS6_PS6_PKiS6_N6hipcub16HIPCUB_304000_NS6detail27convert_result_type_wrapperISA_SB_N2at6native12_GLOBAL__N_19CustomMinEEEEE10hipError_tPvRmT0_T1_jT2_SS_T4_T3_P12ihipStream_tbEUlT_E_NS1_11comp_targetILNS1_3genE0ELNS1_11target_archE4294967295ELNS1_3gpuE0ELNS1_3repE0EEENS1_30default_config_static_selectorELNS0_4arch9wavefront6targetE1EEEvSR_
                                        ; -- End function
	.set _ZN7rocprim17ROCPRIM_400000_NS6detail17trampoline_kernelINS0_14default_configENS1_32segmented_reduce_config_selectorIN3c108BFloat16EEEZNS1_21segmented_reduce_implIS3_PKS6_PS6_PKiS6_N6hipcub16HIPCUB_304000_NS6detail27convert_result_type_wrapperISA_SB_N2at6native12_GLOBAL__N_19CustomMinEEEEE10hipError_tPvRmT0_T1_jT2_SS_T4_T3_P12ihipStream_tbEUlT_E_NS1_11comp_targetILNS1_3genE0ELNS1_11target_archE4294967295ELNS1_3gpuE0ELNS1_3repE0EEENS1_30default_config_static_selectorELNS0_4arch9wavefront6targetE1EEEvSR_.num_vgpr, 0
	.set _ZN7rocprim17ROCPRIM_400000_NS6detail17trampoline_kernelINS0_14default_configENS1_32segmented_reduce_config_selectorIN3c108BFloat16EEEZNS1_21segmented_reduce_implIS3_PKS6_PS6_PKiS6_N6hipcub16HIPCUB_304000_NS6detail27convert_result_type_wrapperISA_SB_N2at6native12_GLOBAL__N_19CustomMinEEEEE10hipError_tPvRmT0_T1_jT2_SS_T4_T3_P12ihipStream_tbEUlT_E_NS1_11comp_targetILNS1_3genE0ELNS1_11target_archE4294967295ELNS1_3gpuE0ELNS1_3repE0EEENS1_30default_config_static_selectorELNS0_4arch9wavefront6targetE1EEEvSR_.num_agpr, 0
	.set _ZN7rocprim17ROCPRIM_400000_NS6detail17trampoline_kernelINS0_14default_configENS1_32segmented_reduce_config_selectorIN3c108BFloat16EEEZNS1_21segmented_reduce_implIS3_PKS6_PS6_PKiS6_N6hipcub16HIPCUB_304000_NS6detail27convert_result_type_wrapperISA_SB_N2at6native12_GLOBAL__N_19CustomMinEEEEE10hipError_tPvRmT0_T1_jT2_SS_T4_T3_P12ihipStream_tbEUlT_E_NS1_11comp_targetILNS1_3genE0ELNS1_11target_archE4294967295ELNS1_3gpuE0ELNS1_3repE0EEENS1_30default_config_static_selectorELNS0_4arch9wavefront6targetE1EEEvSR_.numbered_sgpr, 0
	.set _ZN7rocprim17ROCPRIM_400000_NS6detail17trampoline_kernelINS0_14default_configENS1_32segmented_reduce_config_selectorIN3c108BFloat16EEEZNS1_21segmented_reduce_implIS3_PKS6_PS6_PKiS6_N6hipcub16HIPCUB_304000_NS6detail27convert_result_type_wrapperISA_SB_N2at6native12_GLOBAL__N_19CustomMinEEEEE10hipError_tPvRmT0_T1_jT2_SS_T4_T3_P12ihipStream_tbEUlT_E_NS1_11comp_targetILNS1_3genE0ELNS1_11target_archE4294967295ELNS1_3gpuE0ELNS1_3repE0EEENS1_30default_config_static_selectorELNS0_4arch9wavefront6targetE1EEEvSR_.num_named_barrier, 0
	.set _ZN7rocprim17ROCPRIM_400000_NS6detail17trampoline_kernelINS0_14default_configENS1_32segmented_reduce_config_selectorIN3c108BFloat16EEEZNS1_21segmented_reduce_implIS3_PKS6_PS6_PKiS6_N6hipcub16HIPCUB_304000_NS6detail27convert_result_type_wrapperISA_SB_N2at6native12_GLOBAL__N_19CustomMinEEEEE10hipError_tPvRmT0_T1_jT2_SS_T4_T3_P12ihipStream_tbEUlT_E_NS1_11comp_targetILNS1_3genE0ELNS1_11target_archE4294967295ELNS1_3gpuE0ELNS1_3repE0EEENS1_30default_config_static_selectorELNS0_4arch9wavefront6targetE1EEEvSR_.private_seg_size, 0
	.set _ZN7rocprim17ROCPRIM_400000_NS6detail17trampoline_kernelINS0_14default_configENS1_32segmented_reduce_config_selectorIN3c108BFloat16EEEZNS1_21segmented_reduce_implIS3_PKS6_PS6_PKiS6_N6hipcub16HIPCUB_304000_NS6detail27convert_result_type_wrapperISA_SB_N2at6native12_GLOBAL__N_19CustomMinEEEEE10hipError_tPvRmT0_T1_jT2_SS_T4_T3_P12ihipStream_tbEUlT_E_NS1_11comp_targetILNS1_3genE0ELNS1_11target_archE4294967295ELNS1_3gpuE0ELNS1_3repE0EEENS1_30default_config_static_selectorELNS0_4arch9wavefront6targetE1EEEvSR_.uses_vcc, 0
	.set _ZN7rocprim17ROCPRIM_400000_NS6detail17trampoline_kernelINS0_14default_configENS1_32segmented_reduce_config_selectorIN3c108BFloat16EEEZNS1_21segmented_reduce_implIS3_PKS6_PS6_PKiS6_N6hipcub16HIPCUB_304000_NS6detail27convert_result_type_wrapperISA_SB_N2at6native12_GLOBAL__N_19CustomMinEEEEE10hipError_tPvRmT0_T1_jT2_SS_T4_T3_P12ihipStream_tbEUlT_E_NS1_11comp_targetILNS1_3genE0ELNS1_11target_archE4294967295ELNS1_3gpuE0ELNS1_3repE0EEENS1_30default_config_static_selectorELNS0_4arch9wavefront6targetE1EEEvSR_.uses_flat_scratch, 0
	.set _ZN7rocprim17ROCPRIM_400000_NS6detail17trampoline_kernelINS0_14default_configENS1_32segmented_reduce_config_selectorIN3c108BFloat16EEEZNS1_21segmented_reduce_implIS3_PKS6_PS6_PKiS6_N6hipcub16HIPCUB_304000_NS6detail27convert_result_type_wrapperISA_SB_N2at6native12_GLOBAL__N_19CustomMinEEEEE10hipError_tPvRmT0_T1_jT2_SS_T4_T3_P12ihipStream_tbEUlT_E_NS1_11comp_targetILNS1_3genE0ELNS1_11target_archE4294967295ELNS1_3gpuE0ELNS1_3repE0EEENS1_30default_config_static_selectorELNS0_4arch9wavefront6targetE1EEEvSR_.has_dyn_sized_stack, 0
	.set _ZN7rocprim17ROCPRIM_400000_NS6detail17trampoline_kernelINS0_14default_configENS1_32segmented_reduce_config_selectorIN3c108BFloat16EEEZNS1_21segmented_reduce_implIS3_PKS6_PS6_PKiS6_N6hipcub16HIPCUB_304000_NS6detail27convert_result_type_wrapperISA_SB_N2at6native12_GLOBAL__N_19CustomMinEEEEE10hipError_tPvRmT0_T1_jT2_SS_T4_T3_P12ihipStream_tbEUlT_E_NS1_11comp_targetILNS1_3genE0ELNS1_11target_archE4294967295ELNS1_3gpuE0ELNS1_3repE0EEENS1_30default_config_static_selectorELNS0_4arch9wavefront6targetE1EEEvSR_.has_recursion, 0
	.set _ZN7rocprim17ROCPRIM_400000_NS6detail17trampoline_kernelINS0_14default_configENS1_32segmented_reduce_config_selectorIN3c108BFloat16EEEZNS1_21segmented_reduce_implIS3_PKS6_PS6_PKiS6_N6hipcub16HIPCUB_304000_NS6detail27convert_result_type_wrapperISA_SB_N2at6native12_GLOBAL__N_19CustomMinEEEEE10hipError_tPvRmT0_T1_jT2_SS_T4_T3_P12ihipStream_tbEUlT_E_NS1_11comp_targetILNS1_3genE0ELNS1_11target_archE4294967295ELNS1_3gpuE0ELNS1_3repE0EEENS1_30default_config_static_selectorELNS0_4arch9wavefront6targetE1EEEvSR_.has_indirect_call, 0
	.section	.AMDGPU.csdata,"",@progbits
; Kernel info:
; codeLenInByte = 0
; TotalNumSgprs: 4
; NumVgprs: 0
; ScratchSize: 0
; MemoryBound: 0
; FloatMode: 240
; IeeeMode: 1
; LDSByteSize: 0 bytes/workgroup (compile time only)
; SGPRBlocks: 0
; VGPRBlocks: 0
; NumSGPRsForWavesPerEU: 4
; NumVGPRsForWavesPerEU: 1
; Occupancy: 10
; WaveLimiterHint : 0
; COMPUTE_PGM_RSRC2:SCRATCH_EN: 0
; COMPUTE_PGM_RSRC2:USER_SGPR: 6
; COMPUTE_PGM_RSRC2:TRAP_HANDLER: 0
; COMPUTE_PGM_RSRC2:TGID_X_EN: 1
; COMPUTE_PGM_RSRC2:TGID_Y_EN: 0
; COMPUTE_PGM_RSRC2:TGID_Z_EN: 0
; COMPUTE_PGM_RSRC2:TIDIG_COMP_CNT: 0
	.section	.text._ZN7rocprim17ROCPRIM_400000_NS6detail17trampoline_kernelINS0_14default_configENS1_32segmented_reduce_config_selectorIN3c108BFloat16EEEZNS1_21segmented_reduce_implIS3_PKS6_PS6_PKiS6_N6hipcub16HIPCUB_304000_NS6detail27convert_result_type_wrapperISA_SB_N2at6native12_GLOBAL__N_19CustomMinEEEEE10hipError_tPvRmT0_T1_jT2_SS_T4_T3_P12ihipStream_tbEUlT_E_NS1_11comp_targetILNS1_3genE5ELNS1_11target_archE942ELNS1_3gpuE9ELNS1_3repE0EEENS1_30default_config_static_selectorELNS0_4arch9wavefront6targetE1EEEvSR_,"axG",@progbits,_ZN7rocprim17ROCPRIM_400000_NS6detail17trampoline_kernelINS0_14default_configENS1_32segmented_reduce_config_selectorIN3c108BFloat16EEEZNS1_21segmented_reduce_implIS3_PKS6_PS6_PKiS6_N6hipcub16HIPCUB_304000_NS6detail27convert_result_type_wrapperISA_SB_N2at6native12_GLOBAL__N_19CustomMinEEEEE10hipError_tPvRmT0_T1_jT2_SS_T4_T3_P12ihipStream_tbEUlT_E_NS1_11comp_targetILNS1_3genE5ELNS1_11target_archE942ELNS1_3gpuE9ELNS1_3repE0EEENS1_30default_config_static_selectorELNS0_4arch9wavefront6targetE1EEEvSR_,comdat
	.globl	_ZN7rocprim17ROCPRIM_400000_NS6detail17trampoline_kernelINS0_14default_configENS1_32segmented_reduce_config_selectorIN3c108BFloat16EEEZNS1_21segmented_reduce_implIS3_PKS6_PS6_PKiS6_N6hipcub16HIPCUB_304000_NS6detail27convert_result_type_wrapperISA_SB_N2at6native12_GLOBAL__N_19CustomMinEEEEE10hipError_tPvRmT0_T1_jT2_SS_T4_T3_P12ihipStream_tbEUlT_E_NS1_11comp_targetILNS1_3genE5ELNS1_11target_archE942ELNS1_3gpuE9ELNS1_3repE0EEENS1_30default_config_static_selectorELNS0_4arch9wavefront6targetE1EEEvSR_ ; -- Begin function _ZN7rocprim17ROCPRIM_400000_NS6detail17trampoline_kernelINS0_14default_configENS1_32segmented_reduce_config_selectorIN3c108BFloat16EEEZNS1_21segmented_reduce_implIS3_PKS6_PS6_PKiS6_N6hipcub16HIPCUB_304000_NS6detail27convert_result_type_wrapperISA_SB_N2at6native12_GLOBAL__N_19CustomMinEEEEE10hipError_tPvRmT0_T1_jT2_SS_T4_T3_P12ihipStream_tbEUlT_E_NS1_11comp_targetILNS1_3genE5ELNS1_11target_archE942ELNS1_3gpuE9ELNS1_3repE0EEENS1_30default_config_static_selectorELNS0_4arch9wavefront6targetE1EEEvSR_
	.p2align	8
	.type	_ZN7rocprim17ROCPRIM_400000_NS6detail17trampoline_kernelINS0_14default_configENS1_32segmented_reduce_config_selectorIN3c108BFloat16EEEZNS1_21segmented_reduce_implIS3_PKS6_PS6_PKiS6_N6hipcub16HIPCUB_304000_NS6detail27convert_result_type_wrapperISA_SB_N2at6native12_GLOBAL__N_19CustomMinEEEEE10hipError_tPvRmT0_T1_jT2_SS_T4_T3_P12ihipStream_tbEUlT_E_NS1_11comp_targetILNS1_3genE5ELNS1_11target_archE942ELNS1_3gpuE9ELNS1_3repE0EEENS1_30default_config_static_selectorELNS0_4arch9wavefront6targetE1EEEvSR_,@function
_ZN7rocprim17ROCPRIM_400000_NS6detail17trampoline_kernelINS0_14default_configENS1_32segmented_reduce_config_selectorIN3c108BFloat16EEEZNS1_21segmented_reduce_implIS3_PKS6_PS6_PKiS6_N6hipcub16HIPCUB_304000_NS6detail27convert_result_type_wrapperISA_SB_N2at6native12_GLOBAL__N_19CustomMinEEEEE10hipError_tPvRmT0_T1_jT2_SS_T4_T3_P12ihipStream_tbEUlT_E_NS1_11comp_targetILNS1_3genE5ELNS1_11target_archE942ELNS1_3gpuE9ELNS1_3repE0EEENS1_30default_config_static_selectorELNS0_4arch9wavefront6targetE1EEEvSR_: ; @_ZN7rocprim17ROCPRIM_400000_NS6detail17trampoline_kernelINS0_14default_configENS1_32segmented_reduce_config_selectorIN3c108BFloat16EEEZNS1_21segmented_reduce_implIS3_PKS6_PS6_PKiS6_N6hipcub16HIPCUB_304000_NS6detail27convert_result_type_wrapperISA_SB_N2at6native12_GLOBAL__N_19CustomMinEEEEE10hipError_tPvRmT0_T1_jT2_SS_T4_T3_P12ihipStream_tbEUlT_E_NS1_11comp_targetILNS1_3genE5ELNS1_11target_archE942ELNS1_3gpuE9ELNS1_3repE0EEENS1_30default_config_static_selectorELNS0_4arch9wavefront6targetE1EEEvSR_
; %bb.0:
	.section	.rodata,"a",@progbits
	.p2align	6, 0x0
	.amdhsa_kernel _ZN7rocprim17ROCPRIM_400000_NS6detail17trampoline_kernelINS0_14default_configENS1_32segmented_reduce_config_selectorIN3c108BFloat16EEEZNS1_21segmented_reduce_implIS3_PKS6_PS6_PKiS6_N6hipcub16HIPCUB_304000_NS6detail27convert_result_type_wrapperISA_SB_N2at6native12_GLOBAL__N_19CustomMinEEEEE10hipError_tPvRmT0_T1_jT2_SS_T4_T3_P12ihipStream_tbEUlT_E_NS1_11comp_targetILNS1_3genE5ELNS1_11target_archE942ELNS1_3gpuE9ELNS1_3repE0EEENS1_30default_config_static_selectorELNS0_4arch9wavefront6targetE1EEEvSR_
		.amdhsa_group_segment_fixed_size 0
		.amdhsa_private_segment_fixed_size 0
		.amdhsa_kernarg_size 48
		.amdhsa_user_sgpr_count 6
		.amdhsa_user_sgpr_private_segment_buffer 1
		.amdhsa_user_sgpr_dispatch_ptr 0
		.amdhsa_user_sgpr_queue_ptr 0
		.amdhsa_user_sgpr_kernarg_segment_ptr 1
		.amdhsa_user_sgpr_dispatch_id 0
		.amdhsa_user_sgpr_flat_scratch_init 0
		.amdhsa_user_sgpr_private_segment_size 0
		.amdhsa_uses_dynamic_stack 0
		.amdhsa_system_sgpr_private_segment_wavefront_offset 0
		.amdhsa_system_sgpr_workgroup_id_x 1
		.amdhsa_system_sgpr_workgroup_id_y 0
		.amdhsa_system_sgpr_workgroup_id_z 0
		.amdhsa_system_sgpr_workgroup_info 0
		.amdhsa_system_vgpr_workitem_id 0
		.amdhsa_next_free_vgpr 1
		.amdhsa_next_free_sgpr 0
		.amdhsa_reserve_vcc 0
		.amdhsa_reserve_flat_scratch 0
		.amdhsa_float_round_mode_32 0
		.amdhsa_float_round_mode_16_64 0
		.amdhsa_float_denorm_mode_32 3
		.amdhsa_float_denorm_mode_16_64 3
		.amdhsa_dx10_clamp 1
		.amdhsa_ieee_mode 1
		.amdhsa_fp16_overflow 0
		.amdhsa_exception_fp_ieee_invalid_op 0
		.amdhsa_exception_fp_denorm_src 0
		.amdhsa_exception_fp_ieee_div_zero 0
		.amdhsa_exception_fp_ieee_overflow 0
		.amdhsa_exception_fp_ieee_underflow 0
		.amdhsa_exception_fp_ieee_inexact 0
		.amdhsa_exception_int_div_zero 0
	.end_amdhsa_kernel
	.section	.text._ZN7rocprim17ROCPRIM_400000_NS6detail17trampoline_kernelINS0_14default_configENS1_32segmented_reduce_config_selectorIN3c108BFloat16EEEZNS1_21segmented_reduce_implIS3_PKS6_PS6_PKiS6_N6hipcub16HIPCUB_304000_NS6detail27convert_result_type_wrapperISA_SB_N2at6native12_GLOBAL__N_19CustomMinEEEEE10hipError_tPvRmT0_T1_jT2_SS_T4_T3_P12ihipStream_tbEUlT_E_NS1_11comp_targetILNS1_3genE5ELNS1_11target_archE942ELNS1_3gpuE9ELNS1_3repE0EEENS1_30default_config_static_selectorELNS0_4arch9wavefront6targetE1EEEvSR_,"axG",@progbits,_ZN7rocprim17ROCPRIM_400000_NS6detail17trampoline_kernelINS0_14default_configENS1_32segmented_reduce_config_selectorIN3c108BFloat16EEEZNS1_21segmented_reduce_implIS3_PKS6_PS6_PKiS6_N6hipcub16HIPCUB_304000_NS6detail27convert_result_type_wrapperISA_SB_N2at6native12_GLOBAL__N_19CustomMinEEEEE10hipError_tPvRmT0_T1_jT2_SS_T4_T3_P12ihipStream_tbEUlT_E_NS1_11comp_targetILNS1_3genE5ELNS1_11target_archE942ELNS1_3gpuE9ELNS1_3repE0EEENS1_30default_config_static_selectorELNS0_4arch9wavefront6targetE1EEEvSR_,comdat
.Lfunc_end129:
	.size	_ZN7rocprim17ROCPRIM_400000_NS6detail17trampoline_kernelINS0_14default_configENS1_32segmented_reduce_config_selectorIN3c108BFloat16EEEZNS1_21segmented_reduce_implIS3_PKS6_PS6_PKiS6_N6hipcub16HIPCUB_304000_NS6detail27convert_result_type_wrapperISA_SB_N2at6native12_GLOBAL__N_19CustomMinEEEEE10hipError_tPvRmT0_T1_jT2_SS_T4_T3_P12ihipStream_tbEUlT_E_NS1_11comp_targetILNS1_3genE5ELNS1_11target_archE942ELNS1_3gpuE9ELNS1_3repE0EEENS1_30default_config_static_selectorELNS0_4arch9wavefront6targetE1EEEvSR_, .Lfunc_end129-_ZN7rocprim17ROCPRIM_400000_NS6detail17trampoline_kernelINS0_14default_configENS1_32segmented_reduce_config_selectorIN3c108BFloat16EEEZNS1_21segmented_reduce_implIS3_PKS6_PS6_PKiS6_N6hipcub16HIPCUB_304000_NS6detail27convert_result_type_wrapperISA_SB_N2at6native12_GLOBAL__N_19CustomMinEEEEE10hipError_tPvRmT0_T1_jT2_SS_T4_T3_P12ihipStream_tbEUlT_E_NS1_11comp_targetILNS1_3genE5ELNS1_11target_archE942ELNS1_3gpuE9ELNS1_3repE0EEENS1_30default_config_static_selectorELNS0_4arch9wavefront6targetE1EEEvSR_
                                        ; -- End function
	.set _ZN7rocprim17ROCPRIM_400000_NS6detail17trampoline_kernelINS0_14default_configENS1_32segmented_reduce_config_selectorIN3c108BFloat16EEEZNS1_21segmented_reduce_implIS3_PKS6_PS6_PKiS6_N6hipcub16HIPCUB_304000_NS6detail27convert_result_type_wrapperISA_SB_N2at6native12_GLOBAL__N_19CustomMinEEEEE10hipError_tPvRmT0_T1_jT2_SS_T4_T3_P12ihipStream_tbEUlT_E_NS1_11comp_targetILNS1_3genE5ELNS1_11target_archE942ELNS1_3gpuE9ELNS1_3repE0EEENS1_30default_config_static_selectorELNS0_4arch9wavefront6targetE1EEEvSR_.num_vgpr, 0
	.set _ZN7rocprim17ROCPRIM_400000_NS6detail17trampoline_kernelINS0_14default_configENS1_32segmented_reduce_config_selectorIN3c108BFloat16EEEZNS1_21segmented_reduce_implIS3_PKS6_PS6_PKiS6_N6hipcub16HIPCUB_304000_NS6detail27convert_result_type_wrapperISA_SB_N2at6native12_GLOBAL__N_19CustomMinEEEEE10hipError_tPvRmT0_T1_jT2_SS_T4_T3_P12ihipStream_tbEUlT_E_NS1_11comp_targetILNS1_3genE5ELNS1_11target_archE942ELNS1_3gpuE9ELNS1_3repE0EEENS1_30default_config_static_selectorELNS0_4arch9wavefront6targetE1EEEvSR_.num_agpr, 0
	.set _ZN7rocprim17ROCPRIM_400000_NS6detail17trampoline_kernelINS0_14default_configENS1_32segmented_reduce_config_selectorIN3c108BFloat16EEEZNS1_21segmented_reduce_implIS3_PKS6_PS6_PKiS6_N6hipcub16HIPCUB_304000_NS6detail27convert_result_type_wrapperISA_SB_N2at6native12_GLOBAL__N_19CustomMinEEEEE10hipError_tPvRmT0_T1_jT2_SS_T4_T3_P12ihipStream_tbEUlT_E_NS1_11comp_targetILNS1_3genE5ELNS1_11target_archE942ELNS1_3gpuE9ELNS1_3repE0EEENS1_30default_config_static_selectorELNS0_4arch9wavefront6targetE1EEEvSR_.numbered_sgpr, 0
	.set _ZN7rocprim17ROCPRIM_400000_NS6detail17trampoline_kernelINS0_14default_configENS1_32segmented_reduce_config_selectorIN3c108BFloat16EEEZNS1_21segmented_reduce_implIS3_PKS6_PS6_PKiS6_N6hipcub16HIPCUB_304000_NS6detail27convert_result_type_wrapperISA_SB_N2at6native12_GLOBAL__N_19CustomMinEEEEE10hipError_tPvRmT0_T1_jT2_SS_T4_T3_P12ihipStream_tbEUlT_E_NS1_11comp_targetILNS1_3genE5ELNS1_11target_archE942ELNS1_3gpuE9ELNS1_3repE0EEENS1_30default_config_static_selectorELNS0_4arch9wavefront6targetE1EEEvSR_.num_named_barrier, 0
	.set _ZN7rocprim17ROCPRIM_400000_NS6detail17trampoline_kernelINS0_14default_configENS1_32segmented_reduce_config_selectorIN3c108BFloat16EEEZNS1_21segmented_reduce_implIS3_PKS6_PS6_PKiS6_N6hipcub16HIPCUB_304000_NS6detail27convert_result_type_wrapperISA_SB_N2at6native12_GLOBAL__N_19CustomMinEEEEE10hipError_tPvRmT0_T1_jT2_SS_T4_T3_P12ihipStream_tbEUlT_E_NS1_11comp_targetILNS1_3genE5ELNS1_11target_archE942ELNS1_3gpuE9ELNS1_3repE0EEENS1_30default_config_static_selectorELNS0_4arch9wavefront6targetE1EEEvSR_.private_seg_size, 0
	.set _ZN7rocprim17ROCPRIM_400000_NS6detail17trampoline_kernelINS0_14default_configENS1_32segmented_reduce_config_selectorIN3c108BFloat16EEEZNS1_21segmented_reduce_implIS3_PKS6_PS6_PKiS6_N6hipcub16HIPCUB_304000_NS6detail27convert_result_type_wrapperISA_SB_N2at6native12_GLOBAL__N_19CustomMinEEEEE10hipError_tPvRmT0_T1_jT2_SS_T4_T3_P12ihipStream_tbEUlT_E_NS1_11comp_targetILNS1_3genE5ELNS1_11target_archE942ELNS1_3gpuE9ELNS1_3repE0EEENS1_30default_config_static_selectorELNS0_4arch9wavefront6targetE1EEEvSR_.uses_vcc, 0
	.set _ZN7rocprim17ROCPRIM_400000_NS6detail17trampoline_kernelINS0_14default_configENS1_32segmented_reduce_config_selectorIN3c108BFloat16EEEZNS1_21segmented_reduce_implIS3_PKS6_PS6_PKiS6_N6hipcub16HIPCUB_304000_NS6detail27convert_result_type_wrapperISA_SB_N2at6native12_GLOBAL__N_19CustomMinEEEEE10hipError_tPvRmT0_T1_jT2_SS_T4_T3_P12ihipStream_tbEUlT_E_NS1_11comp_targetILNS1_3genE5ELNS1_11target_archE942ELNS1_3gpuE9ELNS1_3repE0EEENS1_30default_config_static_selectorELNS0_4arch9wavefront6targetE1EEEvSR_.uses_flat_scratch, 0
	.set _ZN7rocprim17ROCPRIM_400000_NS6detail17trampoline_kernelINS0_14default_configENS1_32segmented_reduce_config_selectorIN3c108BFloat16EEEZNS1_21segmented_reduce_implIS3_PKS6_PS6_PKiS6_N6hipcub16HIPCUB_304000_NS6detail27convert_result_type_wrapperISA_SB_N2at6native12_GLOBAL__N_19CustomMinEEEEE10hipError_tPvRmT0_T1_jT2_SS_T4_T3_P12ihipStream_tbEUlT_E_NS1_11comp_targetILNS1_3genE5ELNS1_11target_archE942ELNS1_3gpuE9ELNS1_3repE0EEENS1_30default_config_static_selectorELNS0_4arch9wavefront6targetE1EEEvSR_.has_dyn_sized_stack, 0
	.set _ZN7rocprim17ROCPRIM_400000_NS6detail17trampoline_kernelINS0_14default_configENS1_32segmented_reduce_config_selectorIN3c108BFloat16EEEZNS1_21segmented_reduce_implIS3_PKS6_PS6_PKiS6_N6hipcub16HIPCUB_304000_NS6detail27convert_result_type_wrapperISA_SB_N2at6native12_GLOBAL__N_19CustomMinEEEEE10hipError_tPvRmT0_T1_jT2_SS_T4_T3_P12ihipStream_tbEUlT_E_NS1_11comp_targetILNS1_3genE5ELNS1_11target_archE942ELNS1_3gpuE9ELNS1_3repE0EEENS1_30default_config_static_selectorELNS0_4arch9wavefront6targetE1EEEvSR_.has_recursion, 0
	.set _ZN7rocprim17ROCPRIM_400000_NS6detail17trampoline_kernelINS0_14default_configENS1_32segmented_reduce_config_selectorIN3c108BFloat16EEEZNS1_21segmented_reduce_implIS3_PKS6_PS6_PKiS6_N6hipcub16HIPCUB_304000_NS6detail27convert_result_type_wrapperISA_SB_N2at6native12_GLOBAL__N_19CustomMinEEEEE10hipError_tPvRmT0_T1_jT2_SS_T4_T3_P12ihipStream_tbEUlT_E_NS1_11comp_targetILNS1_3genE5ELNS1_11target_archE942ELNS1_3gpuE9ELNS1_3repE0EEENS1_30default_config_static_selectorELNS0_4arch9wavefront6targetE1EEEvSR_.has_indirect_call, 0
	.section	.AMDGPU.csdata,"",@progbits
; Kernel info:
; codeLenInByte = 0
; TotalNumSgprs: 4
; NumVgprs: 0
; ScratchSize: 0
; MemoryBound: 0
; FloatMode: 240
; IeeeMode: 1
; LDSByteSize: 0 bytes/workgroup (compile time only)
; SGPRBlocks: 0
; VGPRBlocks: 0
; NumSGPRsForWavesPerEU: 4
; NumVGPRsForWavesPerEU: 1
; Occupancy: 10
; WaveLimiterHint : 0
; COMPUTE_PGM_RSRC2:SCRATCH_EN: 0
; COMPUTE_PGM_RSRC2:USER_SGPR: 6
; COMPUTE_PGM_RSRC2:TRAP_HANDLER: 0
; COMPUTE_PGM_RSRC2:TGID_X_EN: 1
; COMPUTE_PGM_RSRC2:TGID_Y_EN: 0
; COMPUTE_PGM_RSRC2:TGID_Z_EN: 0
; COMPUTE_PGM_RSRC2:TIDIG_COMP_CNT: 0
	.section	.text._ZN7rocprim17ROCPRIM_400000_NS6detail17trampoline_kernelINS0_14default_configENS1_32segmented_reduce_config_selectorIN3c108BFloat16EEEZNS1_21segmented_reduce_implIS3_PKS6_PS6_PKiS6_N6hipcub16HIPCUB_304000_NS6detail27convert_result_type_wrapperISA_SB_N2at6native12_GLOBAL__N_19CustomMinEEEEE10hipError_tPvRmT0_T1_jT2_SS_T4_T3_P12ihipStream_tbEUlT_E_NS1_11comp_targetILNS1_3genE10ELNS1_11target_archE1201ELNS1_3gpuE5ELNS1_3repE0EEENS1_30default_config_static_selectorELNS0_4arch9wavefront6targetE1EEEvSR_,"axG",@progbits,_ZN7rocprim17ROCPRIM_400000_NS6detail17trampoline_kernelINS0_14default_configENS1_32segmented_reduce_config_selectorIN3c108BFloat16EEEZNS1_21segmented_reduce_implIS3_PKS6_PS6_PKiS6_N6hipcub16HIPCUB_304000_NS6detail27convert_result_type_wrapperISA_SB_N2at6native12_GLOBAL__N_19CustomMinEEEEE10hipError_tPvRmT0_T1_jT2_SS_T4_T3_P12ihipStream_tbEUlT_E_NS1_11comp_targetILNS1_3genE10ELNS1_11target_archE1201ELNS1_3gpuE5ELNS1_3repE0EEENS1_30default_config_static_selectorELNS0_4arch9wavefront6targetE1EEEvSR_,comdat
	.globl	_ZN7rocprim17ROCPRIM_400000_NS6detail17trampoline_kernelINS0_14default_configENS1_32segmented_reduce_config_selectorIN3c108BFloat16EEEZNS1_21segmented_reduce_implIS3_PKS6_PS6_PKiS6_N6hipcub16HIPCUB_304000_NS6detail27convert_result_type_wrapperISA_SB_N2at6native12_GLOBAL__N_19CustomMinEEEEE10hipError_tPvRmT0_T1_jT2_SS_T4_T3_P12ihipStream_tbEUlT_E_NS1_11comp_targetILNS1_3genE10ELNS1_11target_archE1201ELNS1_3gpuE5ELNS1_3repE0EEENS1_30default_config_static_selectorELNS0_4arch9wavefront6targetE1EEEvSR_ ; -- Begin function _ZN7rocprim17ROCPRIM_400000_NS6detail17trampoline_kernelINS0_14default_configENS1_32segmented_reduce_config_selectorIN3c108BFloat16EEEZNS1_21segmented_reduce_implIS3_PKS6_PS6_PKiS6_N6hipcub16HIPCUB_304000_NS6detail27convert_result_type_wrapperISA_SB_N2at6native12_GLOBAL__N_19CustomMinEEEEE10hipError_tPvRmT0_T1_jT2_SS_T4_T3_P12ihipStream_tbEUlT_E_NS1_11comp_targetILNS1_3genE10ELNS1_11target_archE1201ELNS1_3gpuE5ELNS1_3repE0EEENS1_30default_config_static_selectorELNS0_4arch9wavefront6targetE1EEEvSR_
	.p2align	8
	.type	_ZN7rocprim17ROCPRIM_400000_NS6detail17trampoline_kernelINS0_14default_configENS1_32segmented_reduce_config_selectorIN3c108BFloat16EEEZNS1_21segmented_reduce_implIS3_PKS6_PS6_PKiS6_N6hipcub16HIPCUB_304000_NS6detail27convert_result_type_wrapperISA_SB_N2at6native12_GLOBAL__N_19CustomMinEEEEE10hipError_tPvRmT0_T1_jT2_SS_T4_T3_P12ihipStream_tbEUlT_E_NS1_11comp_targetILNS1_3genE10ELNS1_11target_archE1201ELNS1_3gpuE5ELNS1_3repE0EEENS1_30default_config_static_selectorELNS0_4arch9wavefront6targetE1EEEvSR_,@function
_ZN7rocprim17ROCPRIM_400000_NS6detail17trampoline_kernelINS0_14default_configENS1_32segmented_reduce_config_selectorIN3c108BFloat16EEEZNS1_21segmented_reduce_implIS3_PKS6_PS6_PKiS6_N6hipcub16HIPCUB_304000_NS6detail27convert_result_type_wrapperISA_SB_N2at6native12_GLOBAL__N_19CustomMinEEEEE10hipError_tPvRmT0_T1_jT2_SS_T4_T3_P12ihipStream_tbEUlT_E_NS1_11comp_targetILNS1_3genE10ELNS1_11target_archE1201ELNS1_3gpuE5ELNS1_3repE0EEENS1_30default_config_static_selectorELNS0_4arch9wavefront6targetE1EEEvSR_: ; @_ZN7rocprim17ROCPRIM_400000_NS6detail17trampoline_kernelINS0_14default_configENS1_32segmented_reduce_config_selectorIN3c108BFloat16EEEZNS1_21segmented_reduce_implIS3_PKS6_PS6_PKiS6_N6hipcub16HIPCUB_304000_NS6detail27convert_result_type_wrapperISA_SB_N2at6native12_GLOBAL__N_19CustomMinEEEEE10hipError_tPvRmT0_T1_jT2_SS_T4_T3_P12ihipStream_tbEUlT_E_NS1_11comp_targetILNS1_3genE10ELNS1_11target_archE1201ELNS1_3gpuE5ELNS1_3repE0EEENS1_30default_config_static_selectorELNS0_4arch9wavefront6targetE1EEEvSR_
; %bb.0:
	.section	.rodata,"a",@progbits
	.p2align	6, 0x0
	.amdhsa_kernel _ZN7rocprim17ROCPRIM_400000_NS6detail17trampoline_kernelINS0_14default_configENS1_32segmented_reduce_config_selectorIN3c108BFloat16EEEZNS1_21segmented_reduce_implIS3_PKS6_PS6_PKiS6_N6hipcub16HIPCUB_304000_NS6detail27convert_result_type_wrapperISA_SB_N2at6native12_GLOBAL__N_19CustomMinEEEEE10hipError_tPvRmT0_T1_jT2_SS_T4_T3_P12ihipStream_tbEUlT_E_NS1_11comp_targetILNS1_3genE10ELNS1_11target_archE1201ELNS1_3gpuE5ELNS1_3repE0EEENS1_30default_config_static_selectorELNS0_4arch9wavefront6targetE1EEEvSR_
		.amdhsa_group_segment_fixed_size 0
		.amdhsa_private_segment_fixed_size 0
		.amdhsa_kernarg_size 48
		.amdhsa_user_sgpr_count 6
		.amdhsa_user_sgpr_private_segment_buffer 1
		.amdhsa_user_sgpr_dispatch_ptr 0
		.amdhsa_user_sgpr_queue_ptr 0
		.amdhsa_user_sgpr_kernarg_segment_ptr 1
		.amdhsa_user_sgpr_dispatch_id 0
		.amdhsa_user_sgpr_flat_scratch_init 0
		.amdhsa_user_sgpr_private_segment_size 0
		.amdhsa_uses_dynamic_stack 0
		.amdhsa_system_sgpr_private_segment_wavefront_offset 0
		.amdhsa_system_sgpr_workgroup_id_x 1
		.amdhsa_system_sgpr_workgroup_id_y 0
		.amdhsa_system_sgpr_workgroup_id_z 0
		.amdhsa_system_sgpr_workgroup_info 0
		.amdhsa_system_vgpr_workitem_id 0
		.amdhsa_next_free_vgpr 1
		.amdhsa_next_free_sgpr 0
		.amdhsa_reserve_vcc 0
		.amdhsa_reserve_flat_scratch 0
		.amdhsa_float_round_mode_32 0
		.amdhsa_float_round_mode_16_64 0
		.amdhsa_float_denorm_mode_32 3
		.amdhsa_float_denorm_mode_16_64 3
		.amdhsa_dx10_clamp 1
		.amdhsa_ieee_mode 1
		.amdhsa_fp16_overflow 0
		.amdhsa_exception_fp_ieee_invalid_op 0
		.amdhsa_exception_fp_denorm_src 0
		.amdhsa_exception_fp_ieee_div_zero 0
		.amdhsa_exception_fp_ieee_overflow 0
		.amdhsa_exception_fp_ieee_underflow 0
		.amdhsa_exception_fp_ieee_inexact 0
		.amdhsa_exception_int_div_zero 0
	.end_amdhsa_kernel
	.section	.text._ZN7rocprim17ROCPRIM_400000_NS6detail17trampoline_kernelINS0_14default_configENS1_32segmented_reduce_config_selectorIN3c108BFloat16EEEZNS1_21segmented_reduce_implIS3_PKS6_PS6_PKiS6_N6hipcub16HIPCUB_304000_NS6detail27convert_result_type_wrapperISA_SB_N2at6native12_GLOBAL__N_19CustomMinEEEEE10hipError_tPvRmT0_T1_jT2_SS_T4_T3_P12ihipStream_tbEUlT_E_NS1_11comp_targetILNS1_3genE10ELNS1_11target_archE1201ELNS1_3gpuE5ELNS1_3repE0EEENS1_30default_config_static_selectorELNS0_4arch9wavefront6targetE1EEEvSR_,"axG",@progbits,_ZN7rocprim17ROCPRIM_400000_NS6detail17trampoline_kernelINS0_14default_configENS1_32segmented_reduce_config_selectorIN3c108BFloat16EEEZNS1_21segmented_reduce_implIS3_PKS6_PS6_PKiS6_N6hipcub16HIPCUB_304000_NS6detail27convert_result_type_wrapperISA_SB_N2at6native12_GLOBAL__N_19CustomMinEEEEE10hipError_tPvRmT0_T1_jT2_SS_T4_T3_P12ihipStream_tbEUlT_E_NS1_11comp_targetILNS1_3genE10ELNS1_11target_archE1201ELNS1_3gpuE5ELNS1_3repE0EEENS1_30default_config_static_selectorELNS0_4arch9wavefront6targetE1EEEvSR_,comdat
.Lfunc_end130:
	.size	_ZN7rocprim17ROCPRIM_400000_NS6detail17trampoline_kernelINS0_14default_configENS1_32segmented_reduce_config_selectorIN3c108BFloat16EEEZNS1_21segmented_reduce_implIS3_PKS6_PS6_PKiS6_N6hipcub16HIPCUB_304000_NS6detail27convert_result_type_wrapperISA_SB_N2at6native12_GLOBAL__N_19CustomMinEEEEE10hipError_tPvRmT0_T1_jT2_SS_T4_T3_P12ihipStream_tbEUlT_E_NS1_11comp_targetILNS1_3genE10ELNS1_11target_archE1201ELNS1_3gpuE5ELNS1_3repE0EEENS1_30default_config_static_selectorELNS0_4arch9wavefront6targetE1EEEvSR_, .Lfunc_end130-_ZN7rocprim17ROCPRIM_400000_NS6detail17trampoline_kernelINS0_14default_configENS1_32segmented_reduce_config_selectorIN3c108BFloat16EEEZNS1_21segmented_reduce_implIS3_PKS6_PS6_PKiS6_N6hipcub16HIPCUB_304000_NS6detail27convert_result_type_wrapperISA_SB_N2at6native12_GLOBAL__N_19CustomMinEEEEE10hipError_tPvRmT0_T1_jT2_SS_T4_T3_P12ihipStream_tbEUlT_E_NS1_11comp_targetILNS1_3genE10ELNS1_11target_archE1201ELNS1_3gpuE5ELNS1_3repE0EEENS1_30default_config_static_selectorELNS0_4arch9wavefront6targetE1EEEvSR_
                                        ; -- End function
	.set _ZN7rocprim17ROCPRIM_400000_NS6detail17trampoline_kernelINS0_14default_configENS1_32segmented_reduce_config_selectorIN3c108BFloat16EEEZNS1_21segmented_reduce_implIS3_PKS6_PS6_PKiS6_N6hipcub16HIPCUB_304000_NS6detail27convert_result_type_wrapperISA_SB_N2at6native12_GLOBAL__N_19CustomMinEEEEE10hipError_tPvRmT0_T1_jT2_SS_T4_T3_P12ihipStream_tbEUlT_E_NS1_11comp_targetILNS1_3genE10ELNS1_11target_archE1201ELNS1_3gpuE5ELNS1_3repE0EEENS1_30default_config_static_selectorELNS0_4arch9wavefront6targetE1EEEvSR_.num_vgpr, 0
	.set _ZN7rocprim17ROCPRIM_400000_NS6detail17trampoline_kernelINS0_14default_configENS1_32segmented_reduce_config_selectorIN3c108BFloat16EEEZNS1_21segmented_reduce_implIS3_PKS6_PS6_PKiS6_N6hipcub16HIPCUB_304000_NS6detail27convert_result_type_wrapperISA_SB_N2at6native12_GLOBAL__N_19CustomMinEEEEE10hipError_tPvRmT0_T1_jT2_SS_T4_T3_P12ihipStream_tbEUlT_E_NS1_11comp_targetILNS1_3genE10ELNS1_11target_archE1201ELNS1_3gpuE5ELNS1_3repE0EEENS1_30default_config_static_selectorELNS0_4arch9wavefront6targetE1EEEvSR_.num_agpr, 0
	.set _ZN7rocprim17ROCPRIM_400000_NS6detail17trampoline_kernelINS0_14default_configENS1_32segmented_reduce_config_selectorIN3c108BFloat16EEEZNS1_21segmented_reduce_implIS3_PKS6_PS6_PKiS6_N6hipcub16HIPCUB_304000_NS6detail27convert_result_type_wrapperISA_SB_N2at6native12_GLOBAL__N_19CustomMinEEEEE10hipError_tPvRmT0_T1_jT2_SS_T4_T3_P12ihipStream_tbEUlT_E_NS1_11comp_targetILNS1_3genE10ELNS1_11target_archE1201ELNS1_3gpuE5ELNS1_3repE0EEENS1_30default_config_static_selectorELNS0_4arch9wavefront6targetE1EEEvSR_.numbered_sgpr, 0
	.set _ZN7rocprim17ROCPRIM_400000_NS6detail17trampoline_kernelINS0_14default_configENS1_32segmented_reduce_config_selectorIN3c108BFloat16EEEZNS1_21segmented_reduce_implIS3_PKS6_PS6_PKiS6_N6hipcub16HIPCUB_304000_NS6detail27convert_result_type_wrapperISA_SB_N2at6native12_GLOBAL__N_19CustomMinEEEEE10hipError_tPvRmT0_T1_jT2_SS_T4_T3_P12ihipStream_tbEUlT_E_NS1_11comp_targetILNS1_3genE10ELNS1_11target_archE1201ELNS1_3gpuE5ELNS1_3repE0EEENS1_30default_config_static_selectorELNS0_4arch9wavefront6targetE1EEEvSR_.num_named_barrier, 0
	.set _ZN7rocprim17ROCPRIM_400000_NS6detail17trampoline_kernelINS0_14default_configENS1_32segmented_reduce_config_selectorIN3c108BFloat16EEEZNS1_21segmented_reduce_implIS3_PKS6_PS6_PKiS6_N6hipcub16HIPCUB_304000_NS6detail27convert_result_type_wrapperISA_SB_N2at6native12_GLOBAL__N_19CustomMinEEEEE10hipError_tPvRmT0_T1_jT2_SS_T4_T3_P12ihipStream_tbEUlT_E_NS1_11comp_targetILNS1_3genE10ELNS1_11target_archE1201ELNS1_3gpuE5ELNS1_3repE0EEENS1_30default_config_static_selectorELNS0_4arch9wavefront6targetE1EEEvSR_.private_seg_size, 0
	.set _ZN7rocprim17ROCPRIM_400000_NS6detail17trampoline_kernelINS0_14default_configENS1_32segmented_reduce_config_selectorIN3c108BFloat16EEEZNS1_21segmented_reduce_implIS3_PKS6_PS6_PKiS6_N6hipcub16HIPCUB_304000_NS6detail27convert_result_type_wrapperISA_SB_N2at6native12_GLOBAL__N_19CustomMinEEEEE10hipError_tPvRmT0_T1_jT2_SS_T4_T3_P12ihipStream_tbEUlT_E_NS1_11comp_targetILNS1_3genE10ELNS1_11target_archE1201ELNS1_3gpuE5ELNS1_3repE0EEENS1_30default_config_static_selectorELNS0_4arch9wavefront6targetE1EEEvSR_.uses_vcc, 0
	.set _ZN7rocprim17ROCPRIM_400000_NS6detail17trampoline_kernelINS0_14default_configENS1_32segmented_reduce_config_selectorIN3c108BFloat16EEEZNS1_21segmented_reduce_implIS3_PKS6_PS6_PKiS6_N6hipcub16HIPCUB_304000_NS6detail27convert_result_type_wrapperISA_SB_N2at6native12_GLOBAL__N_19CustomMinEEEEE10hipError_tPvRmT0_T1_jT2_SS_T4_T3_P12ihipStream_tbEUlT_E_NS1_11comp_targetILNS1_3genE10ELNS1_11target_archE1201ELNS1_3gpuE5ELNS1_3repE0EEENS1_30default_config_static_selectorELNS0_4arch9wavefront6targetE1EEEvSR_.uses_flat_scratch, 0
	.set _ZN7rocprim17ROCPRIM_400000_NS6detail17trampoline_kernelINS0_14default_configENS1_32segmented_reduce_config_selectorIN3c108BFloat16EEEZNS1_21segmented_reduce_implIS3_PKS6_PS6_PKiS6_N6hipcub16HIPCUB_304000_NS6detail27convert_result_type_wrapperISA_SB_N2at6native12_GLOBAL__N_19CustomMinEEEEE10hipError_tPvRmT0_T1_jT2_SS_T4_T3_P12ihipStream_tbEUlT_E_NS1_11comp_targetILNS1_3genE10ELNS1_11target_archE1201ELNS1_3gpuE5ELNS1_3repE0EEENS1_30default_config_static_selectorELNS0_4arch9wavefront6targetE1EEEvSR_.has_dyn_sized_stack, 0
	.set _ZN7rocprim17ROCPRIM_400000_NS6detail17trampoline_kernelINS0_14default_configENS1_32segmented_reduce_config_selectorIN3c108BFloat16EEEZNS1_21segmented_reduce_implIS3_PKS6_PS6_PKiS6_N6hipcub16HIPCUB_304000_NS6detail27convert_result_type_wrapperISA_SB_N2at6native12_GLOBAL__N_19CustomMinEEEEE10hipError_tPvRmT0_T1_jT2_SS_T4_T3_P12ihipStream_tbEUlT_E_NS1_11comp_targetILNS1_3genE10ELNS1_11target_archE1201ELNS1_3gpuE5ELNS1_3repE0EEENS1_30default_config_static_selectorELNS0_4arch9wavefront6targetE1EEEvSR_.has_recursion, 0
	.set _ZN7rocprim17ROCPRIM_400000_NS6detail17trampoline_kernelINS0_14default_configENS1_32segmented_reduce_config_selectorIN3c108BFloat16EEEZNS1_21segmented_reduce_implIS3_PKS6_PS6_PKiS6_N6hipcub16HIPCUB_304000_NS6detail27convert_result_type_wrapperISA_SB_N2at6native12_GLOBAL__N_19CustomMinEEEEE10hipError_tPvRmT0_T1_jT2_SS_T4_T3_P12ihipStream_tbEUlT_E_NS1_11comp_targetILNS1_3genE10ELNS1_11target_archE1201ELNS1_3gpuE5ELNS1_3repE0EEENS1_30default_config_static_selectorELNS0_4arch9wavefront6targetE1EEEvSR_.has_indirect_call, 0
	.section	.AMDGPU.csdata,"",@progbits
; Kernel info:
; codeLenInByte = 0
; TotalNumSgprs: 4
; NumVgprs: 0
; ScratchSize: 0
; MemoryBound: 0
; FloatMode: 240
; IeeeMode: 1
; LDSByteSize: 0 bytes/workgroup (compile time only)
; SGPRBlocks: 0
; VGPRBlocks: 0
; NumSGPRsForWavesPerEU: 4
; NumVGPRsForWavesPerEU: 1
; Occupancy: 10
; WaveLimiterHint : 0
; COMPUTE_PGM_RSRC2:SCRATCH_EN: 0
; COMPUTE_PGM_RSRC2:USER_SGPR: 6
; COMPUTE_PGM_RSRC2:TRAP_HANDLER: 0
; COMPUTE_PGM_RSRC2:TGID_X_EN: 1
; COMPUTE_PGM_RSRC2:TGID_Y_EN: 0
; COMPUTE_PGM_RSRC2:TGID_Z_EN: 0
; COMPUTE_PGM_RSRC2:TIDIG_COMP_CNT: 0
	.section	.text._ZN7rocprim17ROCPRIM_400000_NS6detail17trampoline_kernelINS0_14default_configENS1_32segmented_reduce_config_selectorIN3c108BFloat16EEEZNS1_21segmented_reduce_implIS3_PKS6_PS6_PKiS6_N6hipcub16HIPCUB_304000_NS6detail27convert_result_type_wrapperISA_SB_N2at6native12_GLOBAL__N_19CustomMinEEEEE10hipError_tPvRmT0_T1_jT2_SS_T4_T3_P12ihipStream_tbEUlT_E_NS1_11comp_targetILNS1_3genE4ELNS1_11target_archE910ELNS1_3gpuE8ELNS1_3repE0EEENS1_30default_config_static_selectorELNS0_4arch9wavefront6targetE1EEEvSR_,"axG",@progbits,_ZN7rocprim17ROCPRIM_400000_NS6detail17trampoline_kernelINS0_14default_configENS1_32segmented_reduce_config_selectorIN3c108BFloat16EEEZNS1_21segmented_reduce_implIS3_PKS6_PS6_PKiS6_N6hipcub16HIPCUB_304000_NS6detail27convert_result_type_wrapperISA_SB_N2at6native12_GLOBAL__N_19CustomMinEEEEE10hipError_tPvRmT0_T1_jT2_SS_T4_T3_P12ihipStream_tbEUlT_E_NS1_11comp_targetILNS1_3genE4ELNS1_11target_archE910ELNS1_3gpuE8ELNS1_3repE0EEENS1_30default_config_static_selectorELNS0_4arch9wavefront6targetE1EEEvSR_,comdat
	.globl	_ZN7rocprim17ROCPRIM_400000_NS6detail17trampoline_kernelINS0_14default_configENS1_32segmented_reduce_config_selectorIN3c108BFloat16EEEZNS1_21segmented_reduce_implIS3_PKS6_PS6_PKiS6_N6hipcub16HIPCUB_304000_NS6detail27convert_result_type_wrapperISA_SB_N2at6native12_GLOBAL__N_19CustomMinEEEEE10hipError_tPvRmT0_T1_jT2_SS_T4_T3_P12ihipStream_tbEUlT_E_NS1_11comp_targetILNS1_3genE4ELNS1_11target_archE910ELNS1_3gpuE8ELNS1_3repE0EEENS1_30default_config_static_selectorELNS0_4arch9wavefront6targetE1EEEvSR_ ; -- Begin function _ZN7rocprim17ROCPRIM_400000_NS6detail17trampoline_kernelINS0_14default_configENS1_32segmented_reduce_config_selectorIN3c108BFloat16EEEZNS1_21segmented_reduce_implIS3_PKS6_PS6_PKiS6_N6hipcub16HIPCUB_304000_NS6detail27convert_result_type_wrapperISA_SB_N2at6native12_GLOBAL__N_19CustomMinEEEEE10hipError_tPvRmT0_T1_jT2_SS_T4_T3_P12ihipStream_tbEUlT_E_NS1_11comp_targetILNS1_3genE4ELNS1_11target_archE910ELNS1_3gpuE8ELNS1_3repE0EEENS1_30default_config_static_selectorELNS0_4arch9wavefront6targetE1EEEvSR_
	.p2align	8
	.type	_ZN7rocprim17ROCPRIM_400000_NS6detail17trampoline_kernelINS0_14default_configENS1_32segmented_reduce_config_selectorIN3c108BFloat16EEEZNS1_21segmented_reduce_implIS3_PKS6_PS6_PKiS6_N6hipcub16HIPCUB_304000_NS6detail27convert_result_type_wrapperISA_SB_N2at6native12_GLOBAL__N_19CustomMinEEEEE10hipError_tPvRmT0_T1_jT2_SS_T4_T3_P12ihipStream_tbEUlT_E_NS1_11comp_targetILNS1_3genE4ELNS1_11target_archE910ELNS1_3gpuE8ELNS1_3repE0EEENS1_30default_config_static_selectorELNS0_4arch9wavefront6targetE1EEEvSR_,@function
_ZN7rocprim17ROCPRIM_400000_NS6detail17trampoline_kernelINS0_14default_configENS1_32segmented_reduce_config_selectorIN3c108BFloat16EEEZNS1_21segmented_reduce_implIS3_PKS6_PS6_PKiS6_N6hipcub16HIPCUB_304000_NS6detail27convert_result_type_wrapperISA_SB_N2at6native12_GLOBAL__N_19CustomMinEEEEE10hipError_tPvRmT0_T1_jT2_SS_T4_T3_P12ihipStream_tbEUlT_E_NS1_11comp_targetILNS1_3genE4ELNS1_11target_archE910ELNS1_3gpuE8ELNS1_3repE0EEENS1_30default_config_static_selectorELNS0_4arch9wavefront6targetE1EEEvSR_: ; @_ZN7rocprim17ROCPRIM_400000_NS6detail17trampoline_kernelINS0_14default_configENS1_32segmented_reduce_config_selectorIN3c108BFloat16EEEZNS1_21segmented_reduce_implIS3_PKS6_PS6_PKiS6_N6hipcub16HIPCUB_304000_NS6detail27convert_result_type_wrapperISA_SB_N2at6native12_GLOBAL__N_19CustomMinEEEEE10hipError_tPvRmT0_T1_jT2_SS_T4_T3_P12ihipStream_tbEUlT_E_NS1_11comp_targetILNS1_3genE4ELNS1_11target_archE910ELNS1_3gpuE8ELNS1_3repE0EEENS1_30default_config_static_selectorELNS0_4arch9wavefront6targetE1EEEvSR_
; %bb.0:
	.section	.rodata,"a",@progbits
	.p2align	6, 0x0
	.amdhsa_kernel _ZN7rocprim17ROCPRIM_400000_NS6detail17trampoline_kernelINS0_14default_configENS1_32segmented_reduce_config_selectorIN3c108BFloat16EEEZNS1_21segmented_reduce_implIS3_PKS6_PS6_PKiS6_N6hipcub16HIPCUB_304000_NS6detail27convert_result_type_wrapperISA_SB_N2at6native12_GLOBAL__N_19CustomMinEEEEE10hipError_tPvRmT0_T1_jT2_SS_T4_T3_P12ihipStream_tbEUlT_E_NS1_11comp_targetILNS1_3genE4ELNS1_11target_archE910ELNS1_3gpuE8ELNS1_3repE0EEENS1_30default_config_static_selectorELNS0_4arch9wavefront6targetE1EEEvSR_
		.amdhsa_group_segment_fixed_size 0
		.amdhsa_private_segment_fixed_size 0
		.amdhsa_kernarg_size 48
		.amdhsa_user_sgpr_count 6
		.amdhsa_user_sgpr_private_segment_buffer 1
		.amdhsa_user_sgpr_dispatch_ptr 0
		.amdhsa_user_sgpr_queue_ptr 0
		.amdhsa_user_sgpr_kernarg_segment_ptr 1
		.amdhsa_user_sgpr_dispatch_id 0
		.amdhsa_user_sgpr_flat_scratch_init 0
		.amdhsa_user_sgpr_private_segment_size 0
		.amdhsa_uses_dynamic_stack 0
		.amdhsa_system_sgpr_private_segment_wavefront_offset 0
		.amdhsa_system_sgpr_workgroup_id_x 1
		.amdhsa_system_sgpr_workgroup_id_y 0
		.amdhsa_system_sgpr_workgroup_id_z 0
		.amdhsa_system_sgpr_workgroup_info 0
		.amdhsa_system_vgpr_workitem_id 0
		.amdhsa_next_free_vgpr 1
		.amdhsa_next_free_sgpr 0
		.amdhsa_reserve_vcc 0
		.amdhsa_reserve_flat_scratch 0
		.amdhsa_float_round_mode_32 0
		.amdhsa_float_round_mode_16_64 0
		.amdhsa_float_denorm_mode_32 3
		.amdhsa_float_denorm_mode_16_64 3
		.amdhsa_dx10_clamp 1
		.amdhsa_ieee_mode 1
		.amdhsa_fp16_overflow 0
		.amdhsa_exception_fp_ieee_invalid_op 0
		.amdhsa_exception_fp_denorm_src 0
		.amdhsa_exception_fp_ieee_div_zero 0
		.amdhsa_exception_fp_ieee_overflow 0
		.amdhsa_exception_fp_ieee_underflow 0
		.amdhsa_exception_fp_ieee_inexact 0
		.amdhsa_exception_int_div_zero 0
	.end_amdhsa_kernel
	.section	.text._ZN7rocprim17ROCPRIM_400000_NS6detail17trampoline_kernelINS0_14default_configENS1_32segmented_reduce_config_selectorIN3c108BFloat16EEEZNS1_21segmented_reduce_implIS3_PKS6_PS6_PKiS6_N6hipcub16HIPCUB_304000_NS6detail27convert_result_type_wrapperISA_SB_N2at6native12_GLOBAL__N_19CustomMinEEEEE10hipError_tPvRmT0_T1_jT2_SS_T4_T3_P12ihipStream_tbEUlT_E_NS1_11comp_targetILNS1_3genE4ELNS1_11target_archE910ELNS1_3gpuE8ELNS1_3repE0EEENS1_30default_config_static_selectorELNS0_4arch9wavefront6targetE1EEEvSR_,"axG",@progbits,_ZN7rocprim17ROCPRIM_400000_NS6detail17trampoline_kernelINS0_14default_configENS1_32segmented_reduce_config_selectorIN3c108BFloat16EEEZNS1_21segmented_reduce_implIS3_PKS6_PS6_PKiS6_N6hipcub16HIPCUB_304000_NS6detail27convert_result_type_wrapperISA_SB_N2at6native12_GLOBAL__N_19CustomMinEEEEE10hipError_tPvRmT0_T1_jT2_SS_T4_T3_P12ihipStream_tbEUlT_E_NS1_11comp_targetILNS1_3genE4ELNS1_11target_archE910ELNS1_3gpuE8ELNS1_3repE0EEENS1_30default_config_static_selectorELNS0_4arch9wavefront6targetE1EEEvSR_,comdat
.Lfunc_end131:
	.size	_ZN7rocprim17ROCPRIM_400000_NS6detail17trampoline_kernelINS0_14default_configENS1_32segmented_reduce_config_selectorIN3c108BFloat16EEEZNS1_21segmented_reduce_implIS3_PKS6_PS6_PKiS6_N6hipcub16HIPCUB_304000_NS6detail27convert_result_type_wrapperISA_SB_N2at6native12_GLOBAL__N_19CustomMinEEEEE10hipError_tPvRmT0_T1_jT2_SS_T4_T3_P12ihipStream_tbEUlT_E_NS1_11comp_targetILNS1_3genE4ELNS1_11target_archE910ELNS1_3gpuE8ELNS1_3repE0EEENS1_30default_config_static_selectorELNS0_4arch9wavefront6targetE1EEEvSR_, .Lfunc_end131-_ZN7rocprim17ROCPRIM_400000_NS6detail17trampoline_kernelINS0_14default_configENS1_32segmented_reduce_config_selectorIN3c108BFloat16EEEZNS1_21segmented_reduce_implIS3_PKS6_PS6_PKiS6_N6hipcub16HIPCUB_304000_NS6detail27convert_result_type_wrapperISA_SB_N2at6native12_GLOBAL__N_19CustomMinEEEEE10hipError_tPvRmT0_T1_jT2_SS_T4_T3_P12ihipStream_tbEUlT_E_NS1_11comp_targetILNS1_3genE4ELNS1_11target_archE910ELNS1_3gpuE8ELNS1_3repE0EEENS1_30default_config_static_selectorELNS0_4arch9wavefront6targetE1EEEvSR_
                                        ; -- End function
	.set _ZN7rocprim17ROCPRIM_400000_NS6detail17trampoline_kernelINS0_14default_configENS1_32segmented_reduce_config_selectorIN3c108BFloat16EEEZNS1_21segmented_reduce_implIS3_PKS6_PS6_PKiS6_N6hipcub16HIPCUB_304000_NS6detail27convert_result_type_wrapperISA_SB_N2at6native12_GLOBAL__N_19CustomMinEEEEE10hipError_tPvRmT0_T1_jT2_SS_T4_T3_P12ihipStream_tbEUlT_E_NS1_11comp_targetILNS1_3genE4ELNS1_11target_archE910ELNS1_3gpuE8ELNS1_3repE0EEENS1_30default_config_static_selectorELNS0_4arch9wavefront6targetE1EEEvSR_.num_vgpr, 0
	.set _ZN7rocprim17ROCPRIM_400000_NS6detail17trampoline_kernelINS0_14default_configENS1_32segmented_reduce_config_selectorIN3c108BFloat16EEEZNS1_21segmented_reduce_implIS3_PKS6_PS6_PKiS6_N6hipcub16HIPCUB_304000_NS6detail27convert_result_type_wrapperISA_SB_N2at6native12_GLOBAL__N_19CustomMinEEEEE10hipError_tPvRmT0_T1_jT2_SS_T4_T3_P12ihipStream_tbEUlT_E_NS1_11comp_targetILNS1_3genE4ELNS1_11target_archE910ELNS1_3gpuE8ELNS1_3repE0EEENS1_30default_config_static_selectorELNS0_4arch9wavefront6targetE1EEEvSR_.num_agpr, 0
	.set _ZN7rocprim17ROCPRIM_400000_NS6detail17trampoline_kernelINS0_14default_configENS1_32segmented_reduce_config_selectorIN3c108BFloat16EEEZNS1_21segmented_reduce_implIS3_PKS6_PS6_PKiS6_N6hipcub16HIPCUB_304000_NS6detail27convert_result_type_wrapperISA_SB_N2at6native12_GLOBAL__N_19CustomMinEEEEE10hipError_tPvRmT0_T1_jT2_SS_T4_T3_P12ihipStream_tbEUlT_E_NS1_11comp_targetILNS1_3genE4ELNS1_11target_archE910ELNS1_3gpuE8ELNS1_3repE0EEENS1_30default_config_static_selectorELNS0_4arch9wavefront6targetE1EEEvSR_.numbered_sgpr, 0
	.set _ZN7rocprim17ROCPRIM_400000_NS6detail17trampoline_kernelINS0_14default_configENS1_32segmented_reduce_config_selectorIN3c108BFloat16EEEZNS1_21segmented_reduce_implIS3_PKS6_PS6_PKiS6_N6hipcub16HIPCUB_304000_NS6detail27convert_result_type_wrapperISA_SB_N2at6native12_GLOBAL__N_19CustomMinEEEEE10hipError_tPvRmT0_T1_jT2_SS_T4_T3_P12ihipStream_tbEUlT_E_NS1_11comp_targetILNS1_3genE4ELNS1_11target_archE910ELNS1_3gpuE8ELNS1_3repE0EEENS1_30default_config_static_selectorELNS0_4arch9wavefront6targetE1EEEvSR_.num_named_barrier, 0
	.set _ZN7rocprim17ROCPRIM_400000_NS6detail17trampoline_kernelINS0_14default_configENS1_32segmented_reduce_config_selectorIN3c108BFloat16EEEZNS1_21segmented_reduce_implIS3_PKS6_PS6_PKiS6_N6hipcub16HIPCUB_304000_NS6detail27convert_result_type_wrapperISA_SB_N2at6native12_GLOBAL__N_19CustomMinEEEEE10hipError_tPvRmT0_T1_jT2_SS_T4_T3_P12ihipStream_tbEUlT_E_NS1_11comp_targetILNS1_3genE4ELNS1_11target_archE910ELNS1_3gpuE8ELNS1_3repE0EEENS1_30default_config_static_selectorELNS0_4arch9wavefront6targetE1EEEvSR_.private_seg_size, 0
	.set _ZN7rocprim17ROCPRIM_400000_NS6detail17trampoline_kernelINS0_14default_configENS1_32segmented_reduce_config_selectorIN3c108BFloat16EEEZNS1_21segmented_reduce_implIS3_PKS6_PS6_PKiS6_N6hipcub16HIPCUB_304000_NS6detail27convert_result_type_wrapperISA_SB_N2at6native12_GLOBAL__N_19CustomMinEEEEE10hipError_tPvRmT0_T1_jT2_SS_T4_T3_P12ihipStream_tbEUlT_E_NS1_11comp_targetILNS1_3genE4ELNS1_11target_archE910ELNS1_3gpuE8ELNS1_3repE0EEENS1_30default_config_static_selectorELNS0_4arch9wavefront6targetE1EEEvSR_.uses_vcc, 0
	.set _ZN7rocprim17ROCPRIM_400000_NS6detail17trampoline_kernelINS0_14default_configENS1_32segmented_reduce_config_selectorIN3c108BFloat16EEEZNS1_21segmented_reduce_implIS3_PKS6_PS6_PKiS6_N6hipcub16HIPCUB_304000_NS6detail27convert_result_type_wrapperISA_SB_N2at6native12_GLOBAL__N_19CustomMinEEEEE10hipError_tPvRmT0_T1_jT2_SS_T4_T3_P12ihipStream_tbEUlT_E_NS1_11comp_targetILNS1_3genE4ELNS1_11target_archE910ELNS1_3gpuE8ELNS1_3repE0EEENS1_30default_config_static_selectorELNS0_4arch9wavefront6targetE1EEEvSR_.uses_flat_scratch, 0
	.set _ZN7rocprim17ROCPRIM_400000_NS6detail17trampoline_kernelINS0_14default_configENS1_32segmented_reduce_config_selectorIN3c108BFloat16EEEZNS1_21segmented_reduce_implIS3_PKS6_PS6_PKiS6_N6hipcub16HIPCUB_304000_NS6detail27convert_result_type_wrapperISA_SB_N2at6native12_GLOBAL__N_19CustomMinEEEEE10hipError_tPvRmT0_T1_jT2_SS_T4_T3_P12ihipStream_tbEUlT_E_NS1_11comp_targetILNS1_3genE4ELNS1_11target_archE910ELNS1_3gpuE8ELNS1_3repE0EEENS1_30default_config_static_selectorELNS0_4arch9wavefront6targetE1EEEvSR_.has_dyn_sized_stack, 0
	.set _ZN7rocprim17ROCPRIM_400000_NS6detail17trampoline_kernelINS0_14default_configENS1_32segmented_reduce_config_selectorIN3c108BFloat16EEEZNS1_21segmented_reduce_implIS3_PKS6_PS6_PKiS6_N6hipcub16HIPCUB_304000_NS6detail27convert_result_type_wrapperISA_SB_N2at6native12_GLOBAL__N_19CustomMinEEEEE10hipError_tPvRmT0_T1_jT2_SS_T4_T3_P12ihipStream_tbEUlT_E_NS1_11comp_targetILNS1_3genE4ELNS1_11target_archE910ELNS1_3gpuE8ELNS1_3repE0EEENS1_30default_config_static_selectorELNS0_4arch9wavefront6targetE1EEEvSR_.has_recursion, 0
	.set _ZN7rocprim17ROCPRIM_400000_NS6detail17trampoline_kernelINS0_14default_configENS1_32segmented_reduce_config_selectorIN3c108BFloat16EEEZNS1_21segmented_reduce_implIS3_PKS6_PS6_PKiS6_N6hipcub16HIPCUB_304000_NS6detail27convert_result_type_wrapperISA_SB_N2at6native12_GLOBAL__N_19CustomMinEEEEE10hipError_tPvRmT0_T1_jT2_SS_T4_T3_P12ihipStream_tbEUlT_E_NS1_11comp_targetILNS1_3genE4ELNS1_11target_archE910ELNS1_3gpuE8ELNS1_3repE0EEENS1_30default_config_static_selectorELNS0_4arch9wavefront6targetE1EEEvSR_.has_indirect_call, 0
	.section	.AMDGPU.csdata,"",@progbits
; Kernel info:
; codeLenInByte = 0
; TotalNumSgprs: 4
; NumVgprs: 0
; ScratchSize: 0
; MemoryBound: 0
; FloatMode: 240
; IeeeMode: 1
; LDSByteSize: 0 bytes/workgroup (compile time only)
; SGPRBlocks: 0
; VGPRBlocks: 0
; NumSGPRsForWavesPerEU: 4
; NumVGPRsForWavesPerEU: 1
; Occupancy: 10
; WaveLimiterHint : 0
; COMPUTE_PGM_RSRC2:SCRATCH_EN: 0
; COMPUTE_PGM_RSRC2:USER_SGPR: 6
; COMPUTE_PGM_RSRC2:TRAP_HANDLER: 0
; COMPUTE_PGM_RSRC2:TGID_X_EN: 1
; COMPUTE_PGM_RSRC2:TGID_Y_EN: 0
; COMPUTE_PGM_RSRC2:TGID_Z_EN: 0
; COMPUTE_PGM_RSRC2:TIDIG_COMP_CNT: 0
	.section	.text._ZN7rocprim17ROCPRIM_400000_NS6detail17trampoline_kernelINS0_14default_configENS1_32segmented_reduce_config_selectorIN3c108BFloat16EEEZNS1_21segmented_reduce_implIS3_PKS6_PS6_PKiS6_N6hipcub16HIPCUB_304000_NS6detail27convert_result_type_wrapperISA_SB_N2at6native12_GLOBAL__N_19CustomMinEEEEE10hipError_tPvRmT0_T1_jT2_SS_T4_T3_P12ihipStream_tbEUlT_E_NS1_11comp_targetILNS1_3genE3ELNS1_11target_archE908ELNS1_3gpuE7ELNS1_3repE0EEENS1_30default_config_static_selectorELNS0_4arch9wavefront6targetE1EEEvSR_,"axG",@progbits,_ZN7rocprim17ROCPRIM_400000_NS6detail17trampoline_kernelINS0_14default_configENS1_32segmented_reduce_config_selectorIN3c108BFloat16EEEZNS1_21segmented_reduce_implIS3_PKS6_PS6_PKiS6_N6hipcub16HIPCUB_304000_NS6detail27convert_result_type_wrapperISA_SB_N2at6native12_GLOBAL__N_19CustomMinEEEEE10hipError_tPvRmT0_T1_jT2_SS_T4_T3_P12ihipStream_tbEUlT_E_NS1_11comp_targetILNS1_3genE3ELNS1_11target_archE908ELNS1_3gpuE7ELNS1_3repE0EEENS1_30default_config_static_selectorELNS0_4arch9wavefront6targetE1EEEvSR_,comdat
	.globl	_ZN7rocprim17ROCPRIM_400000_NS6detail17trampoline_kernelINS0_14default_configENS1_32segmented_reduce_config_selectorIN3c108BFloat16EEEZNS1_21segmented_reduce_implIS3_PKS6_PS6_PKiS6_N6hipcub16HIPCUB_304000_NS6detail27convert_result_type_wrapperISA_SB_N2at6native12_GLOBAL__N_19CustomMinEEEEE10hipError_tPvRmT0_T1_jT2_SS_T4_T3_P12ihipStream_tbEUlT_E_NS1_11comp_targetILNS1_3genE3ELNS1_11target_archE908ELNS1_3gpuE7ELNS1_3repE0EEENS1_30default_config_static_selectorELNS0_4arch9wavefront6targetE1EEEvSR_ ; -- Begin function _ZN7rocprim17ROCPRIM_400000_NS6detail17trampoline_kernelINS0_14default_configENS1_32segmented_reduce_config_selectorIN3c108BFloat16EEEZNS1_21segmented_reduce_implIS3_PKS6_PS6_PKiS6_N6hipcub16HIPCUB_304000_NS6detail27convert_result_type_wrapperISA_SB_N2at6native12_GLOBAL__N_19CustomMinEEEEE10hipError_tPvRmT0_T1_jT2_SS_T4_T3_P12ihipStream_tbEUlT_E_NS1_11comp_targetILNS1_3genE3ELNS1_11target_archE908ELNS1_3gpuE7ELNS1_3repE0EEENS1_30default_config_static_selectorELNS0_4arch9wavefront6targetE1EEEvSR_
	.p2align	8
	.type	_ZN7rocprim17ROCPRIM_400000_NS6detail17trampoline_kernelINS0_14default_configENS1_32segmented_reduce_config_selectorIN3c108BFloat16EEEZNS1_21segmented_reduce_implIS3_PKS6_PS6_PKiS6_N6hipcub16HIPCUB_304000_NS6detail27convert_result_type_wrapperISA_SB_N2at6native12_GLOBAL__N_19CustomMinEEEEE10hipError_tPvRmT0_T1_jT2_SS_T4_T3_P12ihipStream_tbEUlT_E_NS1_11comp_targetILNS1_3genE3ELNS1_11target_archE908ELNS1_3gpuE7ELNS1_3repE0EEENS1_30default_config_static_selectorELNS0_4arch9wavefront6targetE1EEEvSR_,@function
_ZN7rocprim17ROCPRIM_400000_NS6detail17trampoline_kernelINS0_14default_configENS1_32segmented_reduce_config_selectorIN3c108BFloat16EEEZNS1_21segmented_reduce_implIS3_PKS6_PS6_PKiS6_N6hipcub16HIPCUB_304000_NS6detail27convert_result_type_wrapperISA_SB_N2at6native12_GLOBAL__N_19CustomMinEEEEE10hipError_tPvRmT0_T1_jT2_SS_T4_T3_P12ihipStream_tbEUlT_E_NS1_11comp_targetILNS1_3genE3ELNS1_11target_archE908ELNS1_3gpuE7ELNS1_3repE0EEENS1_30default_config_static_selectorELNS0_4arch9wavefront6targetE1EEEvSR_: ; @_ZN7rocprim17ROCPRIM_400000_NS6detail17trampoline_kernelINS0_14default_configENS1_32segmented_reduce_config_selectorIN3c108BFloat16EEEZNS1_21segmented_reduce_implIS3_PKS6_PS6_PKiS6_N6hipcub16HIPCUB_304000_NS6detail27convert_result_type_wrapperISA_SB_N2at6native12_GLOBAL__N_19CustomMinEEEEE10hipError_tPvRmT0_T1_jT2_SS_T4_T3_P12ihipStream_tbEUlT_E_NS1_11comp_targetILNS1_3genE3ELNS1_11target_archE908ELNS1_3gpuE7ELNS1_3repE0EEENS1_30default_config_static_selectorELNS0_4arch9wavefront6targetE1EEEvSR_
; %bb.0:
	.section	.rodata,"a",@progbits
	.p2align	6, 0x0
	.amdhsa_kernel _ZN7rocprim17ROCPRIM_400000_NS6detail17trampoline_kernelINS0_14default_configENS1_32segmented_reduce_config_selectorIN3c108BFloat16EEEZNS1_21segmented_reduce_implIS3_PKS6_PS6_PKiS6_N6hipcub16HIPCUB_304000_NS6detail27convert_result_type_wrapperISA_SB_N2at6native12_GLOBAL__N_19CustomMinEEEEE10hipError_tPvRmT0_T1_jT2_SS_T4_T3_P12ihipStream_tbEUlT_E_NS1_11comp_targetILNS1_3genE3ELNS1_11target_archE908ELNS1_3gpuE7ELNS1_3repE0EEENS1_30default_config_static_selectorELNS0_4arch9wavefront6targetE1EEEvSR_
		.amdhsa_group_segment_fixed_size 0
		.amdhsa_private_segment_fixed_size 0
		.amdhsa_kernarg_size 48
		.amdhsa_user_sgpr_count 6
		.amdhsa_user_sgpr_private_segment_buffer 1
		.amdhsa_user_sgpr_dispatch_ptr 0
		.amdhsa_user_sgpr_queue_ptr 0
		.amdhsa_user_sgpr_kernarg_segment_ptr 1
		.amdhsa_user_sgpr_dispatch_id 0
		.amdhsa_user_sgpr_flat_scratch_init 0
		.amdhsa_user_sgpr_private_segment_size 0
		.amdhsa_uses_dynamic_stack 0
		.amdhsa_system_sgpr_private_segment_wavefront_offset 0
		.amdhsa_system_sgpr_workgroup_id_x 1
		.amdhsa_system_sgpr_workgroup_id_y 0
		.amdhsa_system_sgpr_workgroup_id_z 0
		.amdhsa_system_sgpr_workgroup_info 0
		.amdhsa_system_vgpr_workitem_id 0
		.amdhsa_next_free_vgpr 1
		.amdhsa_next_free_sgpr 0
		.amdhsa_reserve_vcc 0
		.amdhsa_reserve_flat_scratch 0
		.amdhsa_float_round_mode_32 0
		.amdhsa_float_round_mode_16_64 0
		.amdhsa_float_denorm_mode_32 3
		.amdhsa_float_denorm_mode_16_64 3
		.amdhsa_dx10_clamp 1
		.amdhsa_ieee_mode 1
		.amdhsa_fp16_overflow 0
		.amdhsa_exception_fp_ieee_invalid_op 0
		.amdhsa_exception_fp_denorm_src 0
		.amdhsa_exception_fp_ieee_div_zero 0
		.amdhsa_exception_fp_ieee_overflow 0
		.amdhsa_exception_fp_ieee_underflow 0
		.amdhsa_exception_fp_ieee_inexact 0
		.amdhsa_exception_int_div_zero 0
	.end_amdhsa_kernel
	.section	.text._ZN7rocprim17ROCPRIM_400000_NS6detail17trampoline_kernelINS0_14default_configENS1_32segmented_reduce_config_selectorIN3c108BFloat16EEEZNS1_21segmented_reduce_implIS3_PKS6_PS6_PKiS6_N6hipcub16HIPCUB_304000_NS6detail27convert_result_type_wrapperISA_SB_N2at6native12_GLOBAL__N_19CustomMinEEEEE10hipError_tPvRmT0_T1_jT2_SS_T4_T3_P12ihipStream_tbEUlT_E_NS1_11comp_targetILNS1_3genE3ELNS1_11target_archE908ELNS1_3gpuE7ELNS1_3repE0EEENS1_30default_config_static_selectorELNS0_4arch9wavefront6targetE1EEEvSR_,"axG",@progbits,_ZN7rocprim17ROCPRIM_400000_NS6detail17trampoline_kernelINS0_14default_configENS1_32segmented_reduce_config_selectorIN3c108BFloat16EEEZNS1_21segmented_reduce_implIS3_PKS6_PS6_PKiS6_N6hipcub16HIPCUB_304000_NS6detail27convert_result_type_wrapperISA_SB_N2at6native12_GLOBAL__N_19CustomMinEEEEE10hipError_tPvRmT0_T1_jT2_SS_T4_T3_P12ihipStream_tbEUlT_E_NS1_11comp_targetILNS1_3genE3ELNS1_11target_archE908ELNS1_3gpuE7ELNS1_3repE0EEENS1_30default_config_static_selectorELNS0_4arch9wavefront6targetE1EEEvSR_,comdat
.Lfunc_end132:
	.size	_ZN7rocprim17ROCPRIM_400000_NS6detail17trampoline_kernelINS0_14default_configENS1_32segmented_reduce_config_selectorIN3c108BFloat16EEEZNS1_21segmented_reduce_implIS3_PKS6_PS6_PKiS6_N6hipcub16HIPCUB_304000_NS6detail27convert_result_type_wrapperISA_SB_N2at6native12_GLOBAL__N_19CustomMinEEEEE10hipError_tPvRmT0_T1_jT2_SS_T4_T3_P12ihipStream_tbEUlT_E_NS1_11comp_targetILNS1_3genE3ELNS1_11target_archE908ELNS1_3gpuE7ELNS1_3repE0EEENS1_30default_config_static_selectorELNS0_4arch9wavefront6targetE1EEEvSR_, .Lfunc_end132-_ZN7rocprim17ROCPRIM_400000_NS6detail17trampoline_kernelINS0_14default_configENS1_32segmented_reduce_config_selectorIN3c108BFloat16EEEZNS1_21segmented_reduce_implIS3_PKS6_PS6_PKiS6_N6hipcub16HIPCUB_304000_NS6detail27convert_result_type_wrapperISA_SB_N2at6native12_GLOBAL__N_19CustomMinEEEEE10hipError_tPvRmT0_T1_jT2_SS_T4_T3_P12ihipStream_tbEUlT_E_NS1_11comp_targetILNS1_3genE3ELNS1_11target_archE908ELNS1_3gpuE7ELNS1_3repE0EEENS1_30default_config_static_selectorELNS0_4arch9wavefront6targetE1EEEvSR_
                                        ; -- End function
	.set _ZN7rocprim17ROCPRIM_400000_NS6detail17trampoline_kernelINS0_14default_configENS1_32segmented_reduce_config_selectorIN3c108BFloat16EEEZNS1_21segmented_reduce_implIS3_PKS6_PS6_PKiS6_N6hipcub16HIPCUB_304000_NS6detail27convert_result_type_wrapperISA_SB_N2at6native12_GLOBAL__N_19CustomMinEEEEE10hipError_tPvRmT0_T1_jT2_SS_T4_T3_P12ihipStream_tbEUlT_E_NS1_11comp_targetILNS1_3genE3ELNS1_11target_archE908ELNS1_3gpuE7ELNS1_3repE0EEENS1_30default_config_static_selectorELNS0_4arch9wavefront6targetE1EEEvSR_.num_vgpr, 0
	.set _ZN7rocprim17ROCPRIM_400000_NS6detail17trampoline_kernelINS0_14default_configENS1_32segmented_reduce_config_selectorIN3c108BFloat16EEEZNS1_21segmented_reduce_implIS3_PKS6_PS6_PKiS6_N6hipcub16HIPCUB_304000_NS6detail27convert_result_type_wrapperISA_SB_N2at6native12_GLOBAL__N_19CustomMinEEEEE10hipError_tPvRmT0_T1_jT2_SS_T4_T3_P12ihipStream_tbEUlT_E_NS1_11comp_targetILNS1_3genE3ELNS1_11target_archE908ELNS1_3gpuE7ELNS1_3repE0EEENS1_30default_config_static_selectorELNS0_4arch9wavefront6targetE1EEEvSR_.num_agpr, 0
	.set _ZN7rocprim17ROCPRIM_400000_NS6detail17trampoline_kernelINS0_14default_configENS1_32segmented_reduce_config_selectorIN3c108BFloat16EEEZNS1_21segmented_reduce_implIS3_PKS6_PS6_PKiS6_N6hipcub16HIPCUB_304000_NS6detail27convert_result_type_wrapperISA_SB_N2at6native12_GLOBAL__N_19CustomMinEEEEE10hipError_tPvRmT0_T1_jT2_SS_T4_T3_P12ihipStream_tbEUlT_E_NS1_11comp_targetILNS1_3genE3ELNS1_11target_archE908ELNS1_3gpuE7ELNS1_3repE0EEENS1_30default_config_static_selectorELNS0_4arch9wavefront6targetE1EEEvSR_.numbered_sgpr, 0
	.set _ZN7rocprim17ROCPRIM_400000_NS6detail17trampoline_kernelINS0_14default_configENS1_32segmented_reduce_config_selectorIN3c108BFloat16EEEZNS1_21segmented_reduce_implIS3_PKS6_PS6_PKiS6_N6hipcub16HIPCUB_304000_NS6detail27convert_result_type_wrapperISA_SB_N2at6native12_GLOBAL__N_19CustomMinEEEEE10hipError_tPvRmT0_T1_jT2_SS_T4_T3_P12ihipStream_tbEUlT_E_NS1_11comp_targetILNS1_3genE3ELNS1_11target_archE908ELNS1_3gpuE7ELNS1_3repE0EEENS1_30default_config_static_selectorELNS0_4arch9wavefront6targetE1EEEvSR_.num_named_barrier, 0
	.set _ZN7rocprim17ROCPRIM_400000_NS6detail17trampoline_kernelINS0_14default_configENS1_32segmented_reduce_config_selectorIN3c108BFloat16EEEZNS1_21segmented_reduce_implIS3_PKS6_PS6_PKiS6_N6hipcub16HIPCUB_304000_NS6detail27convert_result_type_wrapperISA_SB_N2at6native12_GLOBAL__N_19CustomMinEEEEE10hipError_tPvRmT0_T1_jT2_SS_T4_T3_P12ihipStream_tbEUlT_E_NS1_11comp_targetILNS1_3genE3ELNS1_11target_archE908ELNS1_3gpuE7ELNS1_3repE0EEENS1_30default_config_static_selectorELNS0_4arch9wavefront6targetE1EEEvSR_.private_seg_size, 0
	.set _ZN7rocprim17ROCPRIM_400000_NS6detail17trampoline_kernelINS0_14default_configENS1_32segmented_reduce_config_selectorIN3c108BFloat16EEEZNS1_21segmented_reduce_implIS3_PKS6_PS6_PKiS6_N6hipcub16HIPCUB_304000_NS6detail27convert_result_type_wrapperISA_SB_N2at6native12_GLOBAL__N_19CustomMinEEEEE10hipError_tPvRmT0_T1_jT2_SS_T4_T3_P12ihipStream_tbEUlT_E_NS1_11comp_targetILNS1_3genE3ELNS1_11target_archE908ELNS1_3gpuE7ELNS1_3repE0EEENS1_30default_config_static_selectorELNS0_4arch9wavefront6targetE1EEEvSR_.uses_vcc, 0
	.set _ZN7rocprim17ROCPRIM_400000_NS6detail17trampoline_kernelINS0_14default_configENS1_32segmented_reduce_config_selectorIN3c108BFloat16EEEZNS1_21segmented_reduce_implIS3_PKS6_PS6_PKiS6_N6hipcub16HIPCUB_304000_NS6detail27convert_result_type_wrapperISA_SB_N2at6native12_GLOBAL__N_19CustomMinEEEEE10hipError_tPvRmT0_T1_jT2_SS_T4_T3_P12ihipStream_tbEUlT_E_NS1_11comp_targetILNS1_3genE3ELNS1_11target_archE908ELNS1_3gpuE7ELNS1_3repE0EEENS1_30default_config_static_selectorELNS0_4arch9wavefront6targetE1EEEvSR_.uses_flat_scratch, 0
	.set _ZN7rocprim17ROCPRIM_400000_NS6detail17trampoline_kernelINS0_14default_configENS1_32segmented_reduce_config_selectorIN3c108BFloat16EEEZNS1_21segmented_reduce_implIS3_PKS6_PS6_PKiS6_N6hipcub16HIPCUB_304000_NS6detail27convert_result_type_wrapperISA_SB_N2at6native12_GLOBAL__N_19CustomMinEEEEE10hipError_tPvRmT0_T1_jT2_SS_T4_T3_P12ihipStream_tbEUlT_E_NS1_11comp_targetILNS1_3genE3ELNS1_11target_archE908ELNS1_3gpuE7ELNS1_3repE0EEENS1_30default_config_static_selectorELNS0_4arch9wavefront6targetE1EEEvSR_.has_dyn_sized_stack, 0
	.set _ZN7rocprim17ROCPRIM_400000_NS6detail17trampoline_kernelINS0_14default_configENS1_32segmented_reduce_config_selectorIN3c108BFloat16EEEZNS1_21segmented_reduce_implIS3_PKS6_PS6_PKiS6_N6hipcub16HIPCUB_304000_NS6detail27convert_result_type_wrapperISA_SB_N2at6native12_GLOBAL__N_19CustomMinEEEEE10hipError_tPvRmT0_T1_jT2_SS_T4_T3_P12ihipStream_tbEUlT_E_NS1_11comp_targetILNS1_3genE3ELNS1_11target_archE908ELNS1_3gpuE7ELNS1_3repE0EEENS1_30default_config_static_selectorELNS0_4arch9wavefront6targetE1EEEvSR_.has_recursion, 0
	.set _ZN7rocprim17ROCPRIM_400000_NS6detail17trampoline_kernelINS0_14default_configENS1_32segmented_reduce_config_selectorIN3c108BFloat16EEEZNS1_21segmented_reduce_implIS3_PKS6_PS6_PKiS6_N6hipcub16HIPCUB_304000_NS6detail27convert_result_type_wrapperISA_SB_N2at6native12_GLOBAL__N_19CustomMinEEEEE10hipError_tPvRmT0_T1_jT2_SS_T4_T3_P12ihipStream_tbEUlT_E_NS1_11comp_targetILNS1_3genE3ELNS1_11target_archE908ELNS1_3gpuE7ELNS1_3repE0EEENS1_30default_config_static_selectorELNS0_4arch9wavefront6targetE1EEEvSR_.has_indirect_call, 0
	.section	.AMDGPU.csdata,"",@progbits
; Kernel info:
; codeLenInByte = 0
; TotalNumSgprs: 4
; NumVgprs: 0
; ScratchSize: 0
; MemoryBound: 0
; FloatMode: 240
; IeeeMode: 1
; LDSByteSize: 0 bytes/workgroup (compile time only)
; SGPRBlocks: 0
; VGPRBlocks: 0
; NumSGPRsForWavesPerEU: 4
; NumVGPRsForWavesPerEU: 1
; Occupancy: 10
; WaveLimiterHint : 0
; COMPUTE_PGM_RSRC2:SCRATCH_EN: 0
; COMPUTE_PGM_RSRC2:USER_SGPR: 6
; COMPUTE_PGM_RSRC2:TRAP_HANDLER: 0
; COMPUTE_PGM_RSRC2:TGID_X_EN: 1
; COMPUTE_PGM_RSRC2:TGID_Y_EN: 0
; COMPUTE_PGM_RSRC2:TGID_Z_EN: 0
; COMPUTE_PGM_RSRC2:TIDIG_COMP_CNT: 0
	.section	.text._ZN7rocprim17ROCPRIM_400000_NS6detail17trampoline_kernelINS0_14default_configENS1_32segmented_reduce_config_selectorIN3c108BFloat16EEEZNS1_21segmented_reduce_implIS3_PKS6_PS6_PKiS6_N6hipcub16HIPCUB_304000_NS6detail27convert_result_type_wrapperISA_SB_N2at6native12_GLOBAL__N_19CustomMinEEEEE10hipError_tPvRmT0_T1_jT2_SS_T4_T3_P12ihipStream_tbEUlT_E_NS1_11comp_targetILNS1_3genE2ELNS1_11target_archE906ELNS1_3gpuE6ELNS1_3repE0EEENS1_30default_config_static_selectorELNS0_4arch9wavefront6targetE1EEEvSR_,"axG",@progbits,_ZN7rocprim17ROCPRIM_400000_NS6detail17trampoline_kernelINS0_14default_configENS1_32segmented_reduce_config_selectorIN3c108BFloat16EEEZNS1_21segmented_reduce_implIS3_PKS6_PS6_PKiS6_N6hipcub16HIPCUB_304000_NS6detail27convert_result_type_wrapperISA_SB_N2at6native12_GLOBAL__N_19CustomMinEEEEE10hipError_tPvRmT0_T1_jT2_SS_T4_T3_P12ihipStream_tbEUlT_E_NS1_11comp_targetILNS1_3genE2ELNS1_11target_archE906ELNS1_3gpuE6ELNS1_3repE0EEENS1_30default_config_static_selectorELNS0_4arch9wavefront6targetE1EEEvSR_,comdat
	.globl	_ZN7rocprim17ROCPRIM_400000_NS6detail17trampoline_kernelINS0_14default_configENS1_32segmented_reduce_config_selectorIN3c108BFloat16EEEZNS1_21segmented_reduce_implIS3_PKS6_PS6_PKiS6_N6hipcub16HIPCUB_304000_NS6detail27convert_result_type_wrapperISA_SB_N2at6native12_GLOBAL__N_19CustomMinEEEEE10hipError_tPvRmT0_T1_jT2_SS_T4_T3_P12ihipStream_tbEUlT_E_NS1_11comp_targetILNS1_3genE2ELNS1_11target_archE906ELNS1_3gpuE6ELNS1_3repE0EEENS1_30default_config_static_selectorELNS0_4arch9wavefront6targetE1EEEvSR_ ; -- Begin function _ZN7rocprim17ROCPRIM_400000_NS6detail17trampoline_kernelINS0_14default_configENS1_32segmented_reduce_config_selectorIN3c108BFloat16EEEZNS1_21segmented_reduce_implIS3_PKS6_PS6_PKiS6_N6hipcub16HIPCUB_304000_NS6detail27convert_result_type_wrapperISA_SB_N2at6native12_GLOBAL__N_19CustomMinEEEEE10hipError_tPvRmT0_T1_jT2_SS_T4_T3_P12ihipStream_tbEUlT_E_NS1_11comp_targetILNS1_3genE2ELNS1_11target_archE906ELNS1_3gpuE6ELNS1_3repE0EEENS1_30default_config_static_selectorELNS0_4arch9wavefront6targetE1EEEvSR_
	.p2align	8
	.type	_ZN7rocprim17ROCPRIM_400000_NS6detail17trampoline_kernelINS0_14default_configENS1_32segmented_reduce_config_selectorIN3c108BFloat16EEEZNS1_21segmented_reduce_implIS3_PKS6_PS6_PKiS6_N6hipcub16HIPCUB_304000_NS6detail27convert_result_type_wrapperISA_SB_N2at6native12_GLOBAL__N_19CustomMinEEEEE10hipError_tPvRmT0_T1_jT2_SS_T4_T3_P12ihipStream_tbEUlT_E_NS1_11comp_targetILNS1_3genE2ELNS1_11target_archE906ELNS1_3gpuE6ELNS1_3repE0EEENS1_30default_config_static_selectorELNS0_4arch9wavefront6targetE1EEEvSR_,@function
_ZN7rocprim17ROCPRIM_400000_NS6detail17trampoline_kernelINS0_14default_configENS1_32segmented_reduce_config_selectorIN3c108BFloat16EEEZNS1_21segmented_reduce_implIS3_PKS6_PS6_PKiS6_N6hipcub16HIPCUB_304000_NS6detail27convert_result_type_wrapperISA_SB_N2at6native12_GLOBAL__N_19CustomMinEEEEE10hipError_tPvRmT0_T1_jT2_SS_T4_T3_P12ihipStream_tbEUlT_E_NS1_11comp_targetILNS1_3genE2ELNS1_11target_archE906ELNS1_3gpuE6ELNS1_3repE0EEENS1_30default_config_static_selectorELNS0_4arch9wavefront6targetE1EEEvSR_: ; @_ZN7rocprim17ROCPRIM_400000_NS6detail17trampoline_kernelINS0_14default_configENS1_32segmented_reduce_config_selectorIN3c108BFloat16EEEZNS1_21segmented_reduce_implIS3_PKS6_PS6_PKiS6_N6hipcub16HIPCUB_304000_NS6detail27convert_result_type_wrapperISA_SB_N2at6native12_GLOBAL__N_19CustomMinEEEEE10hipError_tPvRmT0_T1_jT2_SS_T4_T3_P12ihipStream_tbEUlT_E_NS1_11comp_targetILNS1_3genE2ELNS1_11target_archE906ELNS1_3gpuE6ELNS1_3repE0EEENS1_30default_config_static_selectorELNS0_4arch9wavefront6targetE1EEEvSR_
; %bb.0:
	s_load_dword s2, s[4:5], 0x28
	s_load_dwordx8 s[36:43], s[4:5], 0x0
	s_load_dwordx2 s[0:1], s[4:5], 0x20
	s_mov_b32 s7, 0
	v_cmp_eq_u32_e32 vcc, 0, v0
	s_waitcnt lgkmcnt(0)
	s_lshr_b32 s33, s2, 16
	s_lshl_b64 s[2:3], s[40:41], 2
	s_add_u32 s4, s42, s2
	s_addc_u32 s5, s43, s3
	s_add_u32 s8, s0, s2
	s_addc_u32 s9, s1, s3
	s_lshl_b64 s[0:1], s[6:7], 2
	s_add_u32 s2, s4, s0
	s_addc_u32 s3, s5, s1
	s_add_u32 s0, s8, s0
	s_addc_u32 s1, s9, s1
	s_load_dword s42, s[2:3], 0x0
	s_load_dword s50, s[0:1], 0x0
	s_waitcnt lgkmcnt(0)
	s_cmp_gt_i32 s50, s42
	s_cbranch_scc1 .LBB133_3
; %bb.1:
	s_and_b64 s[34:35], vcc, exec
	s_cbranch_execz .LBB133_4
; %bb.2:
	v_mov_b32_e32 v1, s33
	s_and_saveexec_b64 s[0:1], s[34:35]
	s_cbranch_execnz .LBB133_409
	s_branch .LBB133_410
.LBB133_3:
	s_mov_b64 s[34:35], 0
.LBB133_4:
	s_add_i32 s0, s42, 0x1000
	s_cmp_le_i32 s0, s50
	s_movk_i32 s1, 0x1000
	s_cbranch_scc0 .LBB133_88
; %bb.5:
	s_ashr_i32 s43, s42, 31
	s_lshl_b64 s[2:3], s[42:43], 1
	s_add_u32 s2, s36, s2
	s_addc_u32 s3, s37, s3
	v_lshlrev_b32_e32 v18, 1, v0
	v_mov_b32_e32 v1, s3
	v_add_co_u32_e32 v2, vcc, s2, v18
	v_addc_co_u32_e32 v1, vcc, 0, v1, vcc
	v_add_co_u32_e32 v19, vcc, s1, v2
	v_addc_co_u32_e32 v20, vcc, 0, v1, vcc
	global_load_ushort v17, v18, s[2:3]
	global_load_ushort v16, v18, s[2:3] offset:512
	global_load_ushort v15, v18, s[2:3] offset:1024
	;; [unrolled: 1-line block ×7, first 2 shown]
	global_load_ushort v8, v[19:20], off
	global_load_ushort v7, v[19:20], off offset:512
	global_load_ushort v6, v[19:20], off offset:1024
	;; [unrolled: 1-line block ×7, first 2 shown]
	s_waitcnt vmcnt(15)
	v_lshlrev_b32_e32 v19, 16, v17
	v_cmp_o_f32_e32 vcc, v19, v19
	v_mov_b32_e32 v9, v17
	s_and_saveexec_b64 s[2:3], vcc
	s_cbranch_execnz .LBB133_89
; %bb.6:
	s_or_b64 exec, exec, s[2:3]
	v_cmp_o_f32_e32 vcc, v19, v19
	s_and_saveexec_b64 s[2:3], vcc
	s_cbranch_execnz .LBB133_92
.LBB133_7:
	s_or_b64 exec, exec, s[2:3]
	v_cmp_o_f32_e32 vcc, v19, v19
	s_and_saveexec_b64 s[2:3], vcc
	s_cbranch_execnz .LBB133_95
.LBB133_8:
	s_or_b64 exec, exec, s[2:3]
	v_cmp_o_f32_e32 vcc, v19, v19
	s_and_saveexec_b64 s[2:3], vcc
	s_cbranch_execnz .LBB133_98
.LBB133_9:
	s_or_b64 exec, exec, s[2:3]
	v_cmp_o_f32_e32 vcc, v19, v19
	s_and_saveexec_b64 s[2:3], vcc
	s_cbranch_execnz .LBB133_101
.LBB133_10:
	s_or_b64 exec, exec, s[2:3]
	v_cmp_o_f32_e32 vcc, v19, v19
	s_and_saveexec_b64 s[2:3], vcc
	s_cbranch_execnz .LBB133_104
.LBB133_11:
	s_or_b64 exec, exec, s[2:3]
	v_cmp_o_f32_e32 vcc, v19, v19
	s_and_saveexec_b64 s[2:3], vcc
	s_cbranch_execnz .LBB133_107
.LBB133_12:
	s_or_b64 exec, exec, s[2:3]
	v_cmp_o_f32_e32 vcc, v19, v19
	s_and_saveexec_b64 s[2:3], vcc
	s_cbranch_execnz .LBB133_110
.LBB133_13:
	s_or_b64 exec, exec, s[2:3]
	v_cmp_o_f32_e32 vcc, v19, v19
	s_and_saveexec_b64 s[2:3], vcc
	s_cbranch_execnz .LBB133_113
.LBB133_14:
	s_or_b64 exec, exec, s[2:3]
	v_cmp_o_f32_e32 vcc, v19, v19
	s_and_saveexec_b64 s[2:3], vcc
	s_cbranch_execnz .LBB133_116
.LBB133_15:
	s_or_b64 exec, exec, s[2:3]
	v_cmp_o_f32_e32 vcc, v19, v19
	s_and_saveexec_b64 s[2:3], vcc
	s_cbranch_execnz .LBB133_119
.LBB133_16:
	s_or_b64 exec, exec, s[2:3]
	v_cmp_o_f32_e32 vcc, v19, v19
	s_and_saveexec_b64 s[2:3], vcc
	s_cbranch_execnz .LBB133_122
.LBB133_17:
	s_or_b64 exec, exec, s[2:3]
	v_cmp_o_f32_e32 vcc, v19, v19
	s_and_saveexec_b64 s[2:3], vcc
	s_cbranch_execnz .LBB133_125
.LBB133_18:
	s_or_b64 exec, exec, s[2:3]
	v_cmp_o_f32_e32 vcc, v19, v19
	s_and_saveexec_b64 s[2:3], vcc
	s_cbranch_execnz .LBB133_128
.LBB133_19:
	s_or_b64 exec, exec, s[2:3]
	v_cmp_o_f32_e32 vcc, v19, v19
	s_and_saveexec_b64 s[2:3], vcc
	s_cbranch_execnz .LBB133_131
.LBB133_20:
	s_or_b64 exec, exec, s[2:3]
	s_add_i32 s1, s42, 0x2000
	s_cmp_ge_i32 s1, s50
	s_cbranch_scc1 .LBB133_134
.LBB133_21:
	s_waitcnt vmcnt(0)
	v_mov_b32_e32 v1, s37
	v_add_co_u32_e32 v19, vcc, s36, v18
	v_addc_co_u32_e32 v20, vcc, 0, v1, vcc
.LBB133_22:                             ; =>This Inner Loop Header: Depth=1
	s_ashr_i32 s1, s0, 31
	s_lshl_b64 s[2:3], s[0:1], 1
	s_waitcnt vmcnt(1)
	v_mov_b32_e32 v2, s3
	s_waitcnt vmcnt(0)
	v_add_co_u32_e32 v1, vcc, s2, v19
	v_addc_co_u32_e32 v2, vcc, v20, v2, vcc
	v_add_co_u32_e32 v21, vcc, 0x1000, v1
	v_addc_co_u32_e32 v22, vcc, 0, v2, vcc
	global_load_ushort v17, v[1:2], off
	global_load_ushort v16, v[1:2], off offset:512
	global_load_ushort v15, v[1:2], off offset:1024
	;; [unrolled: 1-line block ×7, first 2 shown]
	global_load_ushort v8, v[21:22], off
	global_load_ushort v7, v[21:22], off offset:512
	global_load_ushort v6, v[21:22], off offset:1024
	;; [unrolled: 1-line block ×7, first 2 shown]
	v_lshlrev_b32_e32 v21, 16, v9
	v_cmp_o_f32_e32 vcc, v21, v21
	s_and_saveexec_b64 s[2:3], vcc
	s_cbranch_execnz .LBB133_38
; %bb.23:                               ;   in Loop: Header=BB133_22 Depth=1
	s_or_b64 exec, exec, s[2:3]
	v_cmp_o_f32_e32 vcc, v21, v21
	s_and_saveexec_b64 s[2:3], vcc
	s_cbranch_execnz .LBB133_41
.LBB133_24:                             ;   in Loop: Header=BB133_22 Depth=1
	s_or_b64 exec, exec, s[2:3]
	v_cmp_o_f32_e32 vcc, v21, v21
	s_and_saveexec_b64 s[2:3], vcc
	s_cbranch_execnz .LBB133_44
.LBB133_25:                             ;   in Loop: Header=BB133_22 Depth=1
	s_or_b64 exec, exec, s[2:3]
	v_cmp_o_f32_e32 vcc, v21, v21
	s_and_saveexec_b64 s[2:3], vcc
	s_cbranch_execnz .LBB133_47
.LBB133_26:                             ;   in Loop: Header=BB133_22 Depth=1
	s_or_b64 exec, exec, s[2:3]
	v_cmp_o_f32_e32 vcc, v21, v21
	s_and_saveexec_b64 s[2:3], vcc
	s_cbranch_execnz .LBB133_50
.LBB133_27:                             ;   in Loop: Header=BB133_22 Depth=1
	s_or_b64 exec, exec, s[2:3]
	v_cmp_o_f32_e32 vcc, v21, v21
	s_and_saveexec_b64 s[2:3], vcc
	s_cbranch_execnz .LBB133_53
.LBB133_28:                             ;   in Loop: Header=BB133_22 Depth=1
	s_or_b64 exec, exec, s[2:3]
	v_cmp_o_f32_e32 vcc, v21, v21
	s_and_saveexec_b64 s[2:3], vcc
	s_cbranch_execnz .LBB133_56
.LBB133_29:                             ;   in Loop: Header=BB133_22 Depth=1
	s_or_b64 exec, exec, s[2:3]
	v_cmp_o_f32_e32 vcc, v21, v21
	s_and_saveexec_b64 s[2:3], vcc
	s_cbranch_execnz .LBB133_59
.LBB133_30:                             ;   in Loop: Header=BB133_22 Depth=1
	s_or_b64 exec, exec, s[2:3]
	v_cmp_o_f32_e32 vcc, v21, v21
	s_and_saveexec_b64 s[2:3], vcc
	s_cbranch_execnz .LBB133_62
.LBB133_31:                             ;   in Loop: Header=BB133_22 Depth=1
	s_or_b64 exec, exec, s[2:3]
	v_cmp_o_f32_e32 vcc, v21, v21
	s_and_saveexec_b64 s[2:3], vcc
	s_cbranch_execnz .LBB133_65
.LBB133_32:                             ;   in Loop: Header=BB133_22 Depth=1
	s_or_b64 exec, exec, s[2:3]
	v_cmp_o_f32_e32 vcc, v21, v21
	s_and_saveexec_b64 s[2:3], vcc
	s_cbranch_execnz .LBB133_68
.LBB133_33:                             ;   in Loop: Header=BB133_22 Depth=1
	s_or_b64 exec, exec, s[2:3]
	v_cmp_o_f32_e32 vcc, v21, v21
	s_and_saveexec_b64 s[2:3], vcc
	s_cbranch_execnz .LBB133_71
.LBB133_34:                             ;   in Loop: Header=BB133_22 Depth=1
	s_or_b64 exec, exec, s[2:3]
	v_cmp_o_f32_e32 vcc, v21, v21
	s_and_saveexec_b64 s[2:3], vcc
	s_cbranch_execnz .LBB133_74
.LBB133_35:                             ;   in Loop: Header=BB133_22 Depth=1
	s_or_b64 exec, exec, s[2:3]
	v_cmp_o_f32_e32 vcc, v21, v21
	s_and_saveexec_b64 s[2:3], vcc
	s_cbranch_execnz .LBB133_77
.LBB133_36:                             ;   in Loop: Header=BB133_22 Depth=1
	s_or_b64 exec, exec, s[2:3]
	v_cmp_o_f32_e32 vcc, v21, v21
	s_and_saveexec_b64 s[2:3], vcc
	s_cbranch_execnz .LBB133_80
.LBB133_37:                             ;   in Loop: Header=BB133_22 Depth=1
	s_or_b64 exec, exec, s[2:3]
	v_cmp_o_f32_e32 vcc, v21, v21
	s_and_saveexec_b64 s[2:3], vcc
	s_cbranch_execnz .LBB133_83
	s_branch .LBB133_86
.LBB133_38:                             ;   in Loop: Header=BB133_22 Depth=1
	s_waitcnt vmcnt(15)
	v_lshlrev_b32_e32 v22, 16, v17
	v_cmp_o_f32_e32 vcc, v22, v22
	v_mov_b32_e32 v23, v17
	s_and_saveexec_b64 s[4:5], vcc
; %bb.39:                               ;   in Loop: Header=BB133_22 Depth=1
	v_cmp_lt_f32_e32 vcc, v22, v21
	v_cndmask_b32_e32 v23, v9, v17, vcc
	v_lshlrev_b32_e32 v22, 16, v23
; %bb.40:                               ;   in Loop: Header=BB133_22 Depth=1
	s_or_b64 exec, exec, s[4:5]
	v_mov_b32_e32 v21, v22
	v_mov_b32_e32 v9, v23
	s_or_b64 exec, exec, s[2:3]
	v_cmp_o_f32_e32 vcc, v21, v21
	s_and_saveexec_b64 s[2:3], vcc
	s_cbranch_execz .LBB133_24
.LBB133_41:                             ;   in Loop: Header=BB133_22 Depth=1
	s_waitcnt vmcnt(14)
	v_lshlrev_b32_e32 v22, 16, v16
	v_cmp_o_f32_e32 vcc, v22, v22
	v_mov_b32_e32 v23, v16
	s_and_saveexec_b64 s[4:5], vcc
; %bb.42:                               ;   in Loop: Header=BB133_22 Depth=1
	v_cmp_gt_f32_e32 vcc, v21, v22
	v_cndmask_b32_e32 v23, v9, v16, vcc
	v_lshlrev_b32_e32 v22, 16, v23
; %bb.43:                               ;   in Loop: Header=BB133_22 Depth=1
	s_or_b64 exec, exec, s[4:5]
	v_mov_b32_e32 v21, v22
	v_mov_b32_e32 v9, v23
	s_or_b64 exec, exec, s[2:3]
	v_cmp_o_f32_e32 vcc, v21, v21
	s_and_saveexec_b64 s[2:3], vcc
	s_cbranch_execz .LBB133_25
.LBB133_44:                             ;   in Loop: Header=BB133_22 Depth=1
	s_waitcnt vmcnt(13)
	v_lshlrev_b32_e32 v22, 16, v15
	v_cmp_o_f32_e32 vcc, v22, v22
	v_mov_b32_e32 v23, v15
	s_and_saveexec_b64 s[4:5], vcc
; %bb.45:                               ;   in Loop: Header=BB133_22 Depth=1
	v_cmp_gt_f32_e32 vcc, v21, v22
	v_cndmask_b32_e32 v23, v9, v15, vcc
	v_lshlrev_b32_e32 v22, 16, v23
; %bb.46:                               ;   in Loop: Header=BB133_22 Depth=1
	s_or_b64 exec, exec, s[4:5]
	v_mov_b32_e32 v21, v22
	v_mov_b32_e32 v9, v23
	s_or_b64 exec, exec, s[2:3]
	v_cmp_o_f32_e32 vcc, v21, v21
	s_and_saveexec_b64 s[2:3], vcc
	s_cbranch_execz .LBB133_26
.LBB133_47:                             ;   in Loop: Header=BB133_22 Depth=1
	s_waitcnt vmcnt(12)
	v_lshlrev_b32_e32 v22, 16, v14
	v_cmp_o_f32_e32 vcc, v22, v22
	v_mov_b32_e32 v23, v14
	s_and_saveexec_b64 s[4:5], vcc
; %bb.48:                               ;   in Loop: Header=BB133_22 Depth=1
	v_cmp_gt_f32_e32 vcc, v21, v22
	v_cndmask_b32_e32 v23, v9, v14, vcc
	v_lshlrev_b32_e32 v22, 16, v23
; %bb.49:                               ;   in Loop: Header=BB133_22 Depth=1
	s_or_b64 exec, exec, s[4:5]
	v_mov_b32_e32 v21, v22
	v_mov_b32_e32 v9, v23
	s_or_b64 exec, exec, s[2:3]
	v_cmp_o_f32_e32 vcc, v21, v21
	s_and_saveexec_b64 s[2:3], vcc
	s_cbranch_execz .LBB133_27
.LBB133_50:                             ;   in Loop: Header=BB133_22 Depth=1
	s_waitcnt vmcnt(11)
	v_lshlrev_b32_e32 v22, 16, v13
	v_cmp_o_f32_e32 vcc, v22, v22
	v_mov_b32_e32 v23, v13
	s_and_saveexec_b64 s[4:5], vcc
; %bb.51:                               ;   in Loop: Header=BB133_22 Depth=1
	v_cmp_gt_f32_e32 vcc, v21, v22
	v_cndmask_b32_e32 v23, v9, v13, vcc
	v_lshlrev_b32_e32 v22, 16, v23
; %bb.52:                               ;   in Loop: Header=BB133_22 Depth=1
	s_or_b64 exec, exec, s[4:5]
	v_mov_b32_e32 v21, v22
	v_mov_b32_e32 v9, v23
	s_or_b64 exec, exec, s[2:3]
	v_cmp_o_f32_e32 vcc, v21, v21
	s_and_saveexec_b64 s[2:3], vcc
	s_cbranch_execz .LBB133_28
.LBB133_53:                             ;   in Loop: Header=BB133_22 Depth=1
	s_waitcnt vmcnt(10)
	v_lshlrev_b32_e32 v22, 16, v12
	v_cmp_o_f32_e32 vcc, v22, v22
	v_mov_b32_e32 v23, v12
	s_and_saveexec_b64 s[4:5], vcc
; %bb.54:                               ;   in Loop: Header=BB133_22 Depth=1
	v_cmp_gt_f32_e32 vcc, v21, v22
	v_cndmask_b32_e32 v23, v9, v12, vcc
	v_lshlrev_b32_e32 v22, 16, v23
; %bb.55:                               ;   in Loop: Header=BB133_22 Depth=1
	s_or_b64 exec, exec, s[4:5]
	v_mov_b32_e32 v21, v22
	v_mov_b32_e32 v9, v23
	s_or_b64 exec, exec, s[2:3]
	v_cmp_o_f32_e32 vcc, v21, v21
	s_and_saveexec_b64 s[2:3], vcc
	s_cbranch_execz .LBB133_29
.LBB133_56:                             ;   in Loop: Header=BB133_22 Depth=1
	s_waitcnt vmcnt(9)
	v_lshlrev_b32_e32 v22, 16, v11
	v_cmp_o_f32_e32 vcc, v22, v22
	v_mov_b32_e32 v23, v11
	s_and_saveexec_b64 s[4:5], vcc
; %bb.57:                               ;   in Loop: Header=BB133_22 Depth=1
	v_cmp_gt_f32_e32 vcc, v21, v22
	v_cndmask_b32_e32 v23, v9, v11, vcc
	v_lshlrev_b32_e32 v22, 16, v23
; %bb.58:                               ;   in Loop: Header=BB133_22 Depth=1
	s_or_b64 exec, exec, s[4:5]
	v_mov_b32_e32 v21, v22
	v_mov_b32_e32 v9, v23
	s_or_b64 exec, exec, s[2:3]
	v_cmp_o_f32_e32 vcc, v21, v21
	s_and_saveexec_b64 s[2:3], vcc
	s_cbranch_execz .LBB133_30
.LBB133_59:                             ;   in Loop: Header=BB133_22 Depth=1
	s_waitcnt vmcnt(8)
	v_lshlrev_b32_e32 v22, 16, v10
	v_cmp_o_f32_e32 vcc, v22, v22
	v_mov_b32_e32 v23, v10
	s_and_saveexec_b64 s[4:5], vcc
; %bb.60:                               ;   in Loop: Header=BB133_22 Depth=1
	v_cmp_gt_f32_e32 vcc, v21, v22
	v_cndmask_b32_e32 v23, v9, v10, vcc
	v_lshlrev_b32_e32 v22, 16, v23
; %bb.61:                               ;   in Loop: Header=BB133_22 Depth=1
	s_or_b64 exec, exec, s[4:5]
	v_mov_b32_e32 v21, v22
	v_mov_b32_e32 v9, v23
	s_or_b64 exec, exec, s[2:3]
	v_cmp_o_f32_e32 vcc, v21, v21
	s_and_saveexec_b64 s[2:3], vcc
	s_cbranch_execz .LBB133_31
.LBB133_62:                             ;   in Loop: Header=BB133_22 Depth=1
	s_waitcnt vmcnt(7)
	v_lshlrev_b32_e32 v22, 16, v8
	v_cmp_o_f32_e32 vcc, v22, v22
	v_mov_b32_e32 v23, v8
	s_and_saveexec_b64 s[4:5], vcc
; %bb.63:                               ;   in Loop: Header=BB133_22 Depth=1
	v_cmp_gt_f32_e32 vcc, v21, v22
	v_cndmask_b32_e32 v23, v9, v8, vcc
	v_lshlrev_b32_e32 v22, 16, v23
; %bb.64:                               ;   in Loop: Header=BB133_22 Depth=1
	s_or_b64 exec, exec, s[4:5]
	v_mov_b32_e32 v21, v22
	v_mov_b32_e32 v9, v23
	s_or_b64 exec, exec, s[2:3]
	v_cmp_o_f32_e32 vcc, v21, v21
	s_and_saveexec_b64 s[2:3], vcc
	s_cbranch_execz .LBB133_32
.LBB133_65:                             ;   in Loop: Header=BB133_22 Depth=1
	s_waitcnt vmcnt(6)
	v_lshlrev_b32_e32 v22, 16, v7
	v_cmp_o_f32_e32 vcc, v22, v22
	v_mov_b32_e32 v23, v7
	s_and_saveexec_b64 s[4:5], vcc
; %bb.66:                               ;   in Loop: Header=BB133_22 Depth=1
	v_cmp_gt_f32_e32 vcc, v21, v22
	v_cndmask_b32_e32 v23, v9, v7, vcc
	v_lshlrev_b32_e32 v22, 16, v23
; %bb.67:                               ;   in Loop: Header=BB133_22 Depth=1
	s_or_b64 exec, exec, s[4:5]
	v_mov_b32_e32 v21, v22
	v_mov_b32_e32 v9, v23
	s_or_b64 exec, exec, s[2:3]
	v_cmp_o_f32_e32 vcc, v21, v21
	s_and_saveexec_b64 s[2:3], vcc
	s_cbranch_execz .LBB133_33
.LBB133_68:                             ;   in Loop: Header=BB133_22 Depth=1
	s_waitcnt vmcnt(5)
	v_lshlrev_b32_e32 v22, 16, v6
	v_cmp_o_f32_e32 vcc, v22, v22
	v_mov_b32_e32 v23, v6
	s_and_saveexec_b64 s[4:5], vcc
; %bb.69:                               ;   in Loop: Header=BB133_22 Depth=1
	v_cmp_gt_f32_e32 vcc, v21, v22
	v_cndmask_b32_e32 v23, v9, v6, vcc
	v_lshlrev_b32_e32 v22, 16, v23
; %bb.70:                               ;   in Loop: Header=BB133_22 Depth=1
	s_or_b64 exec, exec, s[4:5]
	v_mov_b32_e32 v21, v22
	v_mov_b32_e32 v9, v23
	s_or_b64 exec, exec, s[2:3]
	v_cmp_o_f32_e32 vcc, v21, v21
	s_and_saveexec_b64 s[2:3], vcc
	s_cbranch_execz .LBB133_34
.LBB133_71:                             ;   in Loop: Header=BB133_22 Depth=1
	s_waitcnt vmcnt(4)
	v_lshlrev_b32_e32 v22, 16, v5
	v_cmp_o_f32_e32 vcc, v22, v22
	v_mov_b32_e32 v23, v5
	s_and_saveexec_b64 s[4:5], vcc
; %bb.72:                               ;   in Loop: Header=BB133_22 Depth=1
	v_cmp_gt_f32_e32 vcc, v21, v22
	v_cndmask_b32_e32 v23, v9, v5, vcc
	v_lshlrev_b32_e32 v22, 16, v23
; %bb.73:                               ;   in Loop: Header=BB133_22 Depth=1
	s_or_b64 exec, exec, s[4:5]
	v_mov_b32_e32 v21, v22
	v_mov_b32_e32 v9, v23
	s_or_b64 exec, exec, s[2:3]
	v_cmp_o_f32_e32 vcc, v21, v21
	s_and_saveexec_b64 s[2:3], vcc
	s_cbranch_execz .LBB133_35
.LBB133_74:                             ;   in Loop: Header=BB133_22 Depth=1
	s_waitcnt vmcnt(3)
	v_lshlrev_b32_e32 v22, 16, v4
	v_cmp_o_f32_e32 vcc, v22, v22
	v_mov_b32_e32 v23, v4
	s_and_saveexec_b64 s[4:5], vcc
; %bb.75:                               ;   in Loop: Header=BB133_22 Depth=1
	v_cmp_gt_f32_e32 vcc, v21, v22
	v_cndmask_b32_e32 v23, v9, v4, vcc
	v_lshlrev_b32_e32 v22, 16, v23
; %bb.76:                               ;   in Loop: Header=BB133_22 Depth=1
	s_or_b64 exec, exec, s[4:5]
	v_mov_b32_e32 v21, v22
	v_mov_b32_e32 v9, v23
	s_or_b64 exec, exec, s[2:3]
	v_cmp_o_f32_e32 vcc, v21, v21
	s_and_saveexec_b64 s[2:3], vcc
	s_cbranch_execz .LBB133_36
.LBB133_77:                             ;   in Loop: Header=BB133_22 Depth=1
	s_waitcnt vmcnt(2)
	v_lshlrev_b32_e32 v22, 16, v3
	v_cmp_o_f32_e32 vcc, v22, v22
	v_mov_b32_e32 v23, v3
	s_and_saveexec_b64 s[4:5], vcc
; %bb.78:                               ;   in Loop: Header=BB133_22 Depth=1
	v_cmp_gt_f32_e32 vcc, v21, v22
	v_cndmask_b32_e32 v23, v9, v3, vcc
	v_lshlrev_b32_e32 v22, 16, v23
; %bb.79:                               ;   in Loop: Header=BB133_22 Depth=1
	s_or_b64 exec, exec, s[4:5]
	v_mov_b32_e32 v21, v22
	v_mov_b32_e32 v9, v23
	s_or_b64 exec, exec, s[2:3]
	v_cmp_o_f32_e32 vcc, v21, v21
	s_and_saveexec_b64 s[2:3], vcc
	s_cbranch_execz .LBB133_37
.LBB133_80:                             ;   in Loop: Header=BB133_22 Depth=1
	s_waitcnt vmcnt(1)
	v_lshlrev_b32_e32 v22, 16, v2
	v_cmp_o_f32_e32 vcc, v22, v22
	v_mov_b32_e32 v23, v2
	s_and_saveexec_b64 s[4:5], vcc
; %bb.81:                               ;   in Loop: Header=BB133_22 Depth=1
	v_cmp_gt_f32_e32 vcc, v21, v22
	v_cndmask_b32_e32 v23, v9, v2, vcc
	v_lshlrev_b32_e32 v22, 16, v23
; %bb.82:                               ;   in Loop: Header=BB133_22 Depth=1
	s_or_b64 exec, exec, s[4:5]
	v_mov_b32_e32 v21, v22
	v_mov_b32_e32 v9, v23
	s_or_b64 exec, exec, s[2:3]
	v_cmp_o_f32_e32 vcc, v21, v21
	s_and_saveexec_b64 s[2:3], vcc
	s_cbranch_execz .LBB133_86
.LBB133_83:                             ;   in Loop: Header=BB133_22 Depth=1
	s_waitcnt vmcnt(0)
	v_lshlrev_b32_e32 v23, 16, v1
	v_cmp_o_f32_e32 vcc, v23, v23
	v_mov_b32_e32 v22, v1
	s_and_saveexec_b64 s[4:5], vcc
; %bb.84:                               ;   in Loop: Header=BB133_22 Depth=1
	v_cmp_gt_f32_e32 vcc, v21, v23
	v_cndmask_b32_e32 v22, v9, v1, vcc
; %bb.85:                               ;   in Loop: Header=BB133_22 Depth=1
	s_or_b64 exec, exec, s[4:5]
	v_mov_b32_e32 v9, v22
.LBB133_86:                             ;   in Loop: Header=BB133_22 Depth=1
	s_or_b64 exec, exec, s[2:3]
	s_add_i32 s2, s0, 0x1000
	s_addk_i32 s0, 0x2000
	s_cmp_lt_i32 s0, s50
	s_cbranch_scc0 .LBB133_135
; %bb.87:                               ;   in Loop: Header=BB133_22 Depth=1
	s_mov_b32 s0, s2
	s_branch .LBB133_22
.LBB133_88:
                                        ; implicit-def: $vgpr3
	s_cbranch_execnz .LBB133_300
	s_branch .LBB133_402
.LBB133_89:
	s_waitcnt vmcnt(14)
	v_lshlrev_b32_e32 v20, 16, v16
	v_cmp_o_f32_e32 vcc, v20, v20
	v_mov_b32_e32 v9, v16
	s_and_saveexec_b64 s[4:5], vcc
; %bb.90:
	v_cmp_lt_f32_e32 vcc, v20, v19
	v_cndmask_b32_e32 v9, v17, v16, vcc
	v_lshlrev_b32_e32 v20, 16, v9
; %bb.91:
	s_or_b64 exec, exec, s[4:5]
	v_mov_b32_e32 v19, v20
	s_or_b64 exec, exec, s[2:3]
	v_cmp_o_f32_e32 vcc, v19, v19
	s_and_saveexec_b64 s[2:3], vcc
	s_cbranch_execz .LBB133_7
.LBB133_92:
	s_waitcnt vmcnt(13)
	v_lshlrev_b32_e32 v20, 16, v15
	v_cmp_o_f32_e32 vcc, v20, v20
	v_mov_b32_e32 v21, v15
	s_and_saveexec_b64 s[4:5], vcc
; %bb.93:
	v_cmp_gt_f32_e32 vcc, v19, v20
	v_cndmask_b32_e32 v21, v9, v15, vcc
	v_lshlrev_b32_e32 v20, 16, v21
; %bb.94:
	s_or_b64 exec, exec, s[4:5]
	v_mov_b32_e32 v19, v20
	v_mov_b32_e32 v9, v21
	s_or_b64 exec, exec, s[2:3]
	v_cmp_o_f32_e32 vcc, v19, v19
	s_and_saveexec_b64 s[2:3], vcc
	s_cbranch_execz .LBB133_8
.LBB133_95:
	s_waitcnt vmcnt(12)
	v_lshlrev_b32_e32 v20, 16, v14
	v_cmp_o_f32_e32 vcc, v20, v20
	v_mov_b32_e32 v21, v14
	s_and_saveexec_b64 s[4:5], vcc
; %bb.96:
	v_cmp_gt_f32_e32 vcc, v19, v20
	v_cndmask_b32_e32 v21, v9, v14, vcc
	v_lshlrev_b32_e32 v20, 16, v21
; %bb.97:
	s_or_b64 exec, exec, s[4:5]
	v_mov_b32_e32 v19, v20
	v_mov_b32_e32 v9, v21
	s_or_b64 exec, exec, s[2:3]
	v_cmp_o_f32_e32 vcc, v19, v19
	s_and_saveexec_b64 s[2:3], vcc
	s_cbranch_execz .LBB133_9
.LBB133_98:
	s_waitcnt vmcnt(11)
	v_lshlrev_b32_e32 v20, 16, v13
	v_cmp_o_f32_e32 vcc, v20, v20
	v_mov_b32_e32 v21, v13
	s_and_saveexec_b64 s[4:5], vcc
; %bb.99:
	v_cmp_gt_f32_e32 vcc, v19, v20
	v_cndmask_b32_e32 v21, v9, v13, vcc
	v_lshlrev_b32_e32 v20, 16, v21
; %bb.100:
	s_or_b64 exec, exec, s[4:5]
	v_mov_b32_e32 v19, v20
	v_mov_b32_e32 v9, v21
	s_or_b64 exec, exec, s[2:3]
	v_cmp_o_f32_e32 vcc, v19, v19
	s_and_saveexec_b64 s[2:3], vcc
	s_cbranch_execz .LBB133_10
.LBB133_101:
	s_waitcnt vmcnt(10)
	v_lshlrev_b32_e32 v20, 16, v12
	v_cmp_o_f32_e32 vcc, v20, v20
	v_mov_b32_e32 v21, v12
	s_and_saveexec_b64 s[4:5], vcc
; %bb.102:
	v_cmp_gt_f32_e32 vcc, v19, v20
	v_cndmask_b32_e32 v21, v9, v12, vcc
	v_lshlrev_b32_e32 v20, 16, v21
; %bb.103:
	s_or_b64 exec, exec, s[4:5]
	v_mov_b32_e32 v19, v20
	v_mov_b32_e32 v9, v21
	s_or_b64 exec, exec, s[2:3]
	v_cmp_o_f32_e32 vcc, v19, v19
	s_and_saveexec_b64 s[2:3], vcc
	s_cbranch_execz .LBB133_11
.LBB133_104:
	s_waitcnt vmcnt(9)
	v_lshlrev_b32_e32 v20, 16, v11
	v_cmp_o_f32_e32 vcc, v20, v20
	v_mov_b32_e32 v21, v11
	s_and_saveexec_b64 s[4:5], vcc
; %bb.105:
	v_cmp_gt_f32_e32 vcc, v19, v20
	v_cndmask_b32_e32 v21, v9, v11, vcc
	v_lshlrev_b32_e32 v20, 16, v21
; %bb.106:
	s_or_b64 exec, exec, s[4:5]
	v_mov_b32_e32 v19, v20
	v_mov_b32_e32 v9, v21
	s_or_b64 exec, exec, s[2:3]
	v_cmp_o_f32_e32 vcc, v19, v19
	s_and_saveexec_b64 s[2:3], vcc
	s_cbranch_execz .LBB133_12
.LBB133_107:
	s_waitcnt vmcnt(8)
	v_lshlrev_b32_e32 v20, 16, v10
	v_cmp_o_f32_e32 vcc, v20, v20
	v_mov_b32_e32 v21, v10
	s_and_saveexec_b64 s[4:5], vcc
; %bb.108:
	v_cmp_gt_f32_e32 vcc, v19, v20
	v_cndmask_b32_e32 v21, v9, v10, vcc
	v_lshlrev_b32_e32 v20, 16, v21
; %bb.109:
	s_or_b64 exec, exec, s[4:5]
	v_mov_b32_e32 v19, v20
	v_mov_b32_e32 v9, v21
	s_or_b64 exec, exec, s[2:3]
	v_cmp_o_f32_e32 vcc, v19, v19
	s_and_saveexec_b64 s[2:3], vcc
	s_cbranch_execz .LBB133_13
.LBB133_110:
	s_waitcnt vmcnt(7)
	v_lshlrev_b32_e32 v20, 16, v8
	v_cmp_o_f32_e32 vcc, v20, v20
	v_mov_b32_e32 v21, v8
	s_and_saveexec_b64 s[4:5], vcc
; %bb.111:
	v_cmp_gt_f32_e32 vcc, v19, v20
	v_cndmask_b32_e32 v21, v9, v8, vcc
	v_lshlrev_b32_e32 v20, 16, v21
; %bb.112:
	s_or_b64 exec, exec, s[4:5]
	v_mov_b32_e32 v19, v20
	v_mov_b32_e32 v9, v21
	s_or_b64 exec, exec, s[2:3]
	v_cmp_o_f32_e32 vcc, v19, v19
	s_and_saveexec_b64 s[2:3], vcc
	s_cbranch_execz .LBB133_14
.LBB133_113:
	s_waitcnt vmcnt(6)
	v_lshlrev_b32_e32 v20, 16, v7
	v_cmp_o_f32_e32 vcc, v20, v20
	v_mov_b32_e32 v21, v7
	s_and_saveexec_b64 s[4:5], vcc
; %bb.114:
	v_cmp_gt_f32_e32 vcc, v19, v20
	v_cndmask_b32_e32 v21, v9, v7, vcc
	v_lshlrev_b32_e32 v20, 16, v21
; %bb.115:
	s_or_b64 exec, exec, s[4:5]
	v_mov_b32_e32 v19, v20
	v_mov_b32_e32 v9, v21
	s_or_b64 exec, exec, s[2:3]
	v_cmp_o_f32_e32 vcc, v19, v19
	s_and_saveexec_b64 s[2:3], vcc
	s_cbranch_execz .LBB133_15
.LBB133_116:
	s_waitcnt vmcnt(5)
	v_lshlrev_b32_e32 v20, 16, v6
	v_cmp_o_f32_e32 vcc, v20, v20
	v_mov_b32_e32 v21, v6
	s_and_saveexec_b64 s[4:5], vcc
; %bb.117:
	v_cmp_gt_f32_e32 vcc, v19, v20
	v_cndmask_b32_e32 v21, v9, v6, vcc
	v_lshlrev_b32_e32 v20, 16, v21
; %bb.118:
	s_or_b64 exec, exec, s[4:5]
	v_mov_b32_e32 v19, v20
	v_mov_b32_e32 v9, v21
	s_or_b64 exec, exec, s[2:3]
	v_cmp_o_f32_e32 vcc, v19, v19
	s_and_saveexec_b64 s[2:3], vcc
	s_cbranch_execz .LBB133_16
.LBB133_119:
	s_waitcnt vmcnt(4)
	v_lshlrev_b32_e32 v20, 16, v5
	v_cmp_o_f32_e32 vcc, v20, v20
	v_mov_b32_e32 v21, v5
	s_and_saveexec_b64 s[4:5], vcc
; %bb.120:
	v_cmp_gt_f32_e32 vcc, v19, v20
	v_cndmask_b32_e32 v21, v9, v5, vcc
	v_lshlrev_b32_e32 v20, 16, v21
; %bb.121:
	s_or_b64 exec, exec, s[4:5]
	v_mov_b32_e32 v19, v20
	v_mov_b32_e32 v9, v21
	s_or_b64 exec, exec, s[2:3]
	v_cmp_o_f32_e32 vcc, v19, v19
	s_and_saveexec_b64 s[2:3], vcc
	s_cbranch_execz .LBB133_17
.LBB133_122:
	s_waitcnt vmcnt(3)
	v_lshlrev_b32_e32 v20, 16, v4
	v_cmp_o_f32_e32 vcc, v20, v20
	v_mov_b32_e32 v21, v4
	s_and_saveexec_b64 s[4:5], vcc
; %bb.123:
	v_cmp_gt_f32_e32 vcc, v19, v20
	v_cndmask_b32_e32 v21, v9, v4, vcc
	v_lshlrev_b32_e32 v20, 16, v21
; %bb.124:
	s_or_b64 exec, exec, s[4:5]
	v_mov_b32_e32 v19, v20
	v_mov_b32_e32 v9, v21
	s_or_b64 exec, exec, s[2:3]
	v_cmp_o_f32_e32 vcc, v19, v19
	s_and_saveexec_b64 s[2:3], vcc
	s_cbranch_execz .LBB133_18
.LBB133_125:
	s_waitcnt vmcnt(2)
	v_lshlrev_b32_e32 v20, 16, v3
	v_cmp_o_f32_e32 vcc, v20, v20
	v_mov_b32_e32 v21, v3
	s_and_saveexec_b64 s[4:5], vcc
; %bb.126:
	v_cmp_gt_f32_e32 vcc, v19, v20
	v_cndmask_b32_e32 v21, v9, v3, vcc
	v_lshlrev_b32_e32 v20, 16, v21
; %bb.127:
	s_or_b64 exec, exec, s[4:5]
	v_mov_b32_e32 v19, v20
	v_mov_b32_e32 v9, v21
	s_or_b64 exec, exec, s[2:3]
	v_cmp_o_f32_e32 vcc, v19, v19
	s_and_saveexec_b64 s[2:3], vcc
	s_cbranch_execz .LBB133_19
.LBB133_128:
	s_waitcnt vmcnt(1)
	v_lshlrev_b32_e32 v20, 16, v2
	v_cmp_o_f32_e32 vcc, v20, v20
	v_mov_b32_e32 v21, v2
	s_and_saveexec_b64 s[4:5], vcc
; %bb.129:
	v_cmp_gt_f32_e32 vcc, v19, v20
	v_cndmask_b32_e32 v21, v9, v2, vcc
	v_lshlrev_b32_e32 v20, 16, v21
; %bb.130:
	s_or_b64 exec, exec, s[4:5]
	v_mov_b32_e32 v19, v20
	v_mov_b32_e32 v9, v21
	s_or_b64 exec, exec, s[2:3]
	v_cmp_o_f32_e32 vcc, v19, v19
	s_and_saveexec_b64 s[2:3], vcc
	s_cbranch_execz .LBB133_20
.LBB133_131:
	s_waitcnt vmcnt(0)
	v_lshlrev_b32_e32 v21, 16, v1
	v_cmp_o_f32_e32 vcc, v21, v21
	v_mov_b32_e32 v20, v1
	s_and_saveexec_b64 s[4:5], vcc
; %bb.132:
	v_cmp_gt_f32_e32 vcc, v19, v21
	v_cndmask_b32_e32 v20, v9, v1, vcc
; %bb.133:
	s_or_b64 exec, exec, s[4:5]
	v_mov_b32_e32 v9, v20
	s_or_b64 exec, exec, s[2:3]
	s_add_i32 s1, s42, 0x2000
	s_cmp_ge_i32 s1, s50
	s_cbranch_scc0 .LBB133_21
.LBB133_134:
	s_mov_b32 s2, s0
.LBB133_135:
	s_ashr_i32 s3, s2, 31
	s_sub_i32 s43, s50, s2
	s_lshl_b64 s[0:1], s[2:3], 1
	s_add_u32 s44, s36, s0
	s_addc_u32 s45, s37, s1
	v_cmp_gt_u32_e64 s[30:31], s43, v0
	s_and_saveexec_b64 s[0:1], s[30:31]
	s_cbranch_execz .LBB133_137
; %bb.136:
	global_load_ushort v17, v18, s[44:45]
.LBB133_137:
	s_or_b64 exec, exec, s[0:1]
	v_or_b32_e32 v19, 0x100, v0
	v_cmp_gt_u32_e64 s[28:29], s43, v19
	s_and_saveexec_b64 s[0:1], s[28:29]
	s_cbranch_execz .LBB133_139
; %bb.138:
	global_load_ushort v16, v18, s[44:45] offset:512
.LBB133_139:
	s_or_b64 exec, exec, s[0:1]
	v_or_b32_e32 v19, 0x200, v0
	v_cmp_gt_u32_e64 s[26:27], s43, v19
	s_and_saveexec_b64 s[0:1], s[26:27]
	s_cbranch_execz .LBB133_141
; %bb.140:
	global_load_ushort v15, v18, s[44:45] offset:1024
.LBB133_141:
	;; [unrolled: 8-line block ×7, first 2 shown]
	s_or_b64 exec, exec, s[0:1]
	v_or_b32_e32 v18, 0x800, v0
	v_cmp_gt_u32_e64 s[14:15], s43, v18
	s_and_saveexec_b64 s[0:1], s[14:15]
	s_cbranch_execz .LBB133_153
; %bb.152:
	s_waitcnt vmcnt(7)
	v_lshlrev_b32_e32 v8, 1, v18
	global_load_ushort v8, v8, s[44:45]
.LBB133_153:
	s_or_b64 exec, exec, s[0:1]
	v_or_b32_e32 v18, 0x900, v0
	v_cmp_gt_u32_e64 s[12:13], s43, v18
	s_and_saveexec_b64 s[0:1], s[12:13]
	s_cbranch_execz .LBB133_155
; %bb.154:
	s_waitcnt vmcnt(6)
	v_lshlrev_b32_e32 v7, 1, v18
	global_load_ushort v7, v7, s[44:45]
.LBB133_155:
	;; [unrolled: 10-line block ×7, first 2 shown]
	s_or_b64 exec, exec, s[46:47]
	v_or_b32_e32 v18, 0xf00, v0
	v_cmp_gt_u32_e32 vcc, s43, v18
	s_and_saveexec_b64 s[46:47], vcc
	s_cbranch_execnz .LBB133_182
; %bb.166:
	s_or_b64 exec, exec, s[46:47]
	s_and_saveexec_b64 s[44:45], s[30:31]
	s_cbranch_execnz .LBB133_183
.LBB133_167:
	s_or_b64 exec, exec, s[44:45]
	s_and_saveexec_b64 s[30:31], s[28:29]
	s_cbranch_execnz .LBB133_188
.LBB133_168:
	s_or_b64 exec, exec, s[30:31]
	s_and_saveexec_b64 s[28:29], s[26:27]
	s_cbranch_execnz .LBB133_193
.LBB133_169:
	s_or_b64 exec, exec, s[28:29]
	s_and_saveexec_b64 s[26:27], s[24:25]
	s_cbranch_execnz .LBB133_198
.LBB133_170:
	s_or_b64 exec, exec, s[26:27]
	s_and_saveexec_b64 s[24:25], s[22:23]
	s_cbranch_execnz .LBB133_203
.LBB133_171:
	s_or_b64 exec, exec, s[24:25]
	s_and_saveexec_b64 s[22:23], s[20:21]
	s_cbranch_execnz .LBB133_208
.LBB133_172:
	s_or_b64 exec, exec, s[22:23]
	s_and_saveexec_b64 s[20:21], s[18:19]
	s_cbranch_execnz .LBB133_213
.LBB133_173:
	s_or_b64 exec, exec, s[20:21]
	s_and_saveexec_b64 s[18:19], s[16:17]
	s_cbranch_execnz .LBB133_218
.LBB133_174:
	s_or_b64 exec, exec, s[18:19]
	s_and_saveexec_b64 s[16:17], s[14:15]
	s_cbranch_execnz .LBB133_223
.LBB133_175:
	s_or_b64 exec, exec, s[16:17]
	s_and_saveexec_b64 s[14:15], s[12:13]
	s_cbranch_execnz .LBB133_228
.LBB133_176:
	s_or_b64 exec, exec, s[14:15]
	s_and_saveexec_b64 s[12:13], s[10:11]
	s_cbranch_execnz .LBB133_233
.LBB133_177:
	s_or_b64 exec, exec, s[12:13]
	s_and_saveexec_b64 s[10:11], s[8:9]
	s_cbranch_execnz .LBB133_238
.LBB133_178:
	s_or_b64 exec, exec, s[10:11]
	s_and_saveexec_b64 s[8:9], s[4:5]
	s_cbranch_execnz .LBB133_243
.LBB133_179:
	s_or_b64 exec, exec, s[8:9]
	s_and_saveexec_b64 s[4:5], s[2:3]
	s_cbranch_execnz .LBB133_248
.LBB133_180:
	s_or_b64 exec, exec, s[4:5]
	s_and_saveexec_b64 s[2:3], s[0:1]
	s_cbranch_execnz .LBB133_253
.LBB133_181:
	s_or_b64 exec, exec, s[2:3]
	s_and_saveexec_b64 s[0:1], vcc
	s_cbranch_execnz .LBB133_258
	s_branch .LBB133_263
.LBB133_182:
	s_waitcnt vmcnt(0)
	v_lshlrev_b32_e32 v1, 1, v18
	global_load_ushort v1, v1, s[44:45]
	s_or_b64 exec, exec, s[46:47]
	s_and_saveexec_b64 s[44:45], s[30:31]
	s_cbranch_execz .LBB133_167
.LBB133_183:
	v_lshlrev_b32_e32 v18, 16, v9
	v_cmp_o_f32_e64 s[30:31], v18, v18
	s_and_saveexec_b64 s[46:47], s[30:31]
	s_cbranch_execz .LBB133_187
; %bb.184:
	s_waitcnt vmcnt(0)
	v_lshlrev_b32_e32 v19, 16, v17
	v_cmp_o_f32_e64 s[30:31], v19, v19
	s_and_saveexec_b64 s[48:49], s[30:31]
; %bb.185:
	v_cmp_lt_f32_e64 s[30:31], v19, v18
	v_cndmask_b32_e64 v17, v9, v17, s[30:31]
; %bb.186:
	s_or_b64 exec, exec, s[48:49]
	v_mov_b32_e32 v9, v17
.LBB133_187:
	s_or_b64 exec, exec, s[46:47]
	s_or_b64 exec, exec, s[44:45]
	s_and_saveexec_b64 s[30:31], s[28:29]
	s_cbranch_execz .LBB133_168
.LBB133_188:
	s_waitcnt vmcnt(0)
	v_lshlrev_b32_e32 v17, 16, v9
	v_cmp_o_f32_e64 s[28:29], v17, v17
	s_and_saveexec_b64 s[44:45], s[28:29]
	s_cbranch_execz .LBB133_192
; %bb.189:
	v_lshlrev_b32_e32 v18, 16, v16
	v_cmp_o_f32_e64 s[28:29], v18, v18
	s_and_saveexec_b64 s[46:47], s[28:29]
; %bb.190:
	v_cmp_lt_f32_e64 s[28:29], v18, v17
	v_cndmask_b32_e64 v16, v9, v16, s[28:29]
; %bb.191:
	s_or_b64 exec, exec, s[46:47]
	v_mov_b32_e32 v9, v16
.LBB133_192:
	s_or_b64 exec, exec, s[44:45]
	s_or_b64 exec, exec, s[30:31]
	s_and_saveexec_b64 s[28:29], s[26:27]
	s_cbranch_execz .LBB133_169
.LBB133_193:
	s_waitcnt vmcnt(0)
	v_lshlrev_b32_e32 v16, 16, v9
	v_cmp_o_f32_e64 s[26:27], v16, v16
	s_and_saveexec_b64 s[30:31], s[26:27]
	s_cbranch_execz .LBB133_197
; %bb.194:
	v_lshlrev_b32_e32 v17, 16, v15
	v_cmp_o_f32_e64 s[26:27], v17, v17
	s_and_saveexec_b64 s[44:45], s[26:27]
; %bb.195:
	v_cmp_lt_f32_e64 s[26:27], v17, v16
	v_cndmask_b32_e64 v15, v9, v15, s[26:27]
; %bb.196:
	s_or_b64 exec, exec, s[44:45]
	v_mov_b32_e32 v9, v15
.LBB133_197:
	s_or_b64 exec, exec, s[30:31]
	s_or_b64 exec, exec, s[28:29]
	s_and_saveexec_b64 s[26:27], s[24:25]
	s_cbranch_execz .LBB133_170
.LBB133_198:
	s_waitcnt vmcnt(0)
	v_lshlrev_b32_e32 v15, 16, v9
	v_cmp_o_f32_e64 s[24:25], v15, v15
	s_and_saveexec_b64 s[28:29], s[24:25]
	s_cbranch_execz .LBB133_202
; %bb.199:
	v_lshlrev_b32_e32 v16, 16, v14
	v_cmp_o_f32_e64 s[24:25], v16, v16
	s_and_saveexec_b64 s[30:31], s[24:25]
; %bb.200:
	v_cmp_lt_f32_e64 s[24:25], v16, v15
	v_cndmask_b32_e64 v14, v9, v14, s[24:25]
; %bb.201:
	s_or_b64 exec, exec, s[30:31]
	v_mov_b32_e32 v9, v14
.LBB133_202:
	s_or_b64 exec, exec, s[28:29]
	s_or_b64 exec, exec, s[26:27]
	s_and_saveexec_b64 s[24:25], s[22:23]
	s_cbranch_execz .LBB133_171
.LBB133_203:
	s_waitcnt vmcnt(0)
	v_lshlrev_b32_e32 v14, 16, v9
	v_cmp_o_f32_e64 s[22:23], v14, v14
	s_and_saveexec_b64 s[26:27], s[22:23]
	s_cbranch_execz .LBB133_207
; %bb.204:
	v_lshlrev_b32_e32 v15, 16, v13
	v_cmp_o_f32_e64 s[22:23], v15, v15
	s_and_saveexec_b64 s[28:29], s[22:23]
; %bb.205:
	v_cmp_lt_f32_e64 s[22:23], v15, v14
	v_cndmask_b32_e64 v13, v9, v13, s[22:23]
; %bb.206:
	s_or_b64 exec, exec, s[28:29]
	v_mov_b32_e32 v9, v13
.LBB133_207:
	s_or_b64 exec, exec, s[26:27]
	s_or_b64 exec, exec, s[24:25]
	s_and_saveexec_b64 s[22:23], s[20:21]
	s_cbranch_execz .LBB133_172
.LBB133_208:
	s_waitcnt vmcnt(0)
	v_lshlrev_b32_e32 v13, 16, v9
	v_cmp_o_f32_e64 s[20:21], v13, v13
	s_and_saveexec_b64 s[24:25], s[20:21]
	s_cbranch_execz .LBB133_212
; %bb.209:
	v_lshlrev_b32_e32 v14, 16, v12
	v_cmp_o_f32_e64 s[20:21], v14, v14
	s_and_saveexec_b64 s[26:27], s[20:21]
; %bb.210:
	v_cmp_lt_f32_e64 s[20:21], v14, v13
	v_cndmask_b32_e64 v12, v9, v12, s[20:21]
; %bb.211:
	s_or_b64 exec, exec, s[26:27]
	v_mov_b32_e32 v9, v12
.LBB133_212:
	s_or_b64 exec, exec, s[24:25]
	s_or_b64 exec, exec, s[22:23]
	s_and_saveexec_b64 s[20:21], s[18:19]
	s_cbranch_execz .LBB133_173
.LBB133_213:
	s_waitcnt vmcnt(0)
	v_lshlrev_b32_e32 v12, 16, v9
	v_cmp_o_f32_e64 s[18:19], v12, v12
	s_and_saveexec_b64 s[22:23], s[18:19]
	s_cbranch_execz .LBB133_217
; %bb.214:
	v_lshlrev_b32_e32 v13, 16, v11
	v_cmp_o_f32_e64 s[18:19], v13, v13
	s_and_saveexec_b64 s[24:25], s[18:19]
; %bb.215:
	v_cmp_lt_f32_e64 s[18:19], v13, v12
	v_cndmask_b32_e64 v11, v9, v11, s[18:19]
; %bb.216:
	s_or_b64 exec, exec, s[24:25]
	v_mov_b32_e32 v9, v11
.LBB133_217:
	s_or_b64 exec, exec, s[22:23]
	s_or_b64 exec, exec, s[20:21]
	s_and_saveexec_b64 s[18:19], s[16:17]
	s_cbranch_execz .LBB133_174
.LBB133_218:
	s_waitcnt vmcnt(0)
	v_lshlrev_b32_e32 v11, 16, v9
	v_cmp_o_f32_e64 s[16:17], v11, v11
	s_and_saveexec_b64 s[20:21], s[16:17]
	s_cbranch_execz .LBB133_222
; %bb.219:
	v_lshlrev_b32_e32 v12, 16, v10
	v_cmp_o_f32_e64 s[16:17], v12, v12
	s_and_saveexec_b64 s[22:23], s[16:17]
; %bb.220:
	v_cmp_lt_f32_e64 s[16:17], v12, v11
	v_cndmask_b32_e64 v10, v9, v10, s[16:17]
; %bb.221:
	s_or_b64 exec, exec, s[22:23]
	v_mov_b32_e32 v9, v10
.LBB133_222:
	s_or_b64 exec, exec, s[20:21]
	s_or_b64 exec, exec, s[18:19]
	s_and_saveexec_b64 s[16:17], s[14:15]
	s_cbranch_execz .LBB133_175
.LBB133_223:
	s_waitcnt vmcnt(0)
	v_lshlrev_b32_e32 v10, 16, v9
	v_cmp_o_f32_e64 s[14:15], v10, v10
	s_and_saveexec_b64 s[18:19], s[14:15]
	s_cbranch_execz .LBB133_227
; %bb.224:
	v_lshlrev_b32_e32 v11, 16, v8
	v_cmp_o_f32_e64 s[14:15], v11, v11
	s_and_saveexec_b64 s[20:21], s[14:15]
; %bb.225:
	v_cmp_lt_f32_e64 s[14:15], v11, v10
	v_cndmask_b32_e64 v8, v9, v8, s[14:15]
; %bb.226:
	s_or_b64 exec, exec, s[20:21]
	v_mov_b32_e32 v9, v8
.LBB133_227:
	s_or_b64 exec, exec, s[18:19]
	s_or_b64 exec, exec, s[16:17]
	s_and_saveexec_b64 s[14:15], s[12:13]
	s_cbranch_execz .LBB133_176
.LBB133_228:
	s_waitcnt vmcnt(0)
	v_lshlrev_b32_e32 v8, 16, v9
	v_cmp_o_f32_e64 s[12:13], v8, v8
	s_and_saveexec_b64 s[16:17], s[12:13]
	s_cbranch_execz .LBB133_232
; %bb.229:
	v_lshlrev_b32_e32 v10, 16, v7
	v_cmp_o_f32_e64 s[12:13], v10, v10
	s_and_saveexec_b64 s[18:19], s[12:13]
; %bb.230:
	v_cmp_lt_f32_e64 s[12:13], v10, v8
	v_cndmask_b32_e64 v7, v9, v7, s[12:13]
; %bb.231:
	s_or_b64 exec, exec, s[18:19]
	v_mov_b32_e32 v9, v7
.LBB133_232:
	s_or_b64 exec, exec, s[16:17]
	s_or_b64 exec, exec, s[14:15]
	s_and_saveexec_b64 s[12:13], s[10:11]
	s_cbranch_execz .LBB133_177
.LBB133_233:
	s_waitcnt vmcnt(0)
	v_lshlrev_b32_e32 v7, 16, v9
	v_cmp_o_f32_e64 s[10:11], v7, v7
	s_and_saveexec_b64 s[14:15], s[10:11]
	s_cbranch_execz .LBB133_237
; %bb.234:
	v_lshlrev_b32_e32 v8, 16, v6
	v_cmp_o_f32_e64 s[10:11], v8, v8
	s_and_saveexec_b64 s[16:17], s[10:11]
; %bb.235:
	v_cmp_lt_f32_e64 s[10:11], v8, v7
	v_cndmask_b32_e64 v6, v9, v6, s[10:11]
; %bb.236:
	s_or_b64 exec, exec, s[16:17]
	v_mov_b32_e32 v9, v6
.LBB133_237:
	s_or_b64 exec, exec, s[14:15]
	s_or_b64 exec, exec, s[12:13]
	s_and_saveexec_b64 s[10:11], s[8:9]
	s_cbranch_execz .LBB133_178
.LBB133_238:
	s_waitcnt vmcnt(0)
	v_lshlrev_b32_e32 v6, 16, v9
	v_cmp_o_f32_e64 s[8:9], v6, v6
	s_and_saveexec_b64 s[12:13], s[8:9]
	s_cbranch_execz .LBB133_242
; %bb.239:
	v_lshlrev_b32_e32 v7, 16, v5
	v_cmp_o_f32_e64 s[8:9], v7, v7
	s_and_saveexec_b64 s[14:15], s[8:9]
; %bb.240:
	v_cmp_lt_f32_e64 s[8:9], v7, v6
	v_cndmask_b32_e64 v5, v9, v5, s[8:9]
; %bb.241:
	s_or_b64 exec, exec, s[14:15]
	v_mov_b32_e32 v9, v5
.LBB133_242:
	s_or_b64 exec, exec, s[12:13]
	s_or_b64 exec, exec, s[10:11]
	s_and_saveexec_b64 s[8:9], s[4:5]
	s_cbranch_execz .LBB133_179
.LBB133_243:
	s_waitcnt vmcnt(0)
	v_lshlrev_b32_e32 v5, 16, v9
	v_cmp_o_f32_e64 s[4:5], v5, v5
	s_and_saveexec_b64 s[10:11], s[4:5]
	s_cbranch_execz .LBB133_247
; %bb.244:
	v_lshlrev_b32_e32 v6, 16, v4
	v_cmp_o_f32_e64 s[4:5], v6, v6
	s_and_saveexec_b64 s[12:13], s[4:5]
; %bb.245:
	v_cmp_lt_f32_e64 s[4:5], v6, v5
	v_cndmask_b32_e64 v4, v9, v4, s[4:5]
; %bb.246:
	s_or_b64 exec, exec, s[12:13]
	v_mov_b32_e32 v9, v4
.LBB133_247:
	s_or_b64 exec, exec, s[10:11]
	s_or_b64 exec, exec, s[8:9]
	s_and_saveexec_b64 s[4:5], s[2:3]
	s_cbranch_execz .LBB133_180
.LBB133_248:
	s_waitcnt vmcnt(0)
	v_lshlrev_b32_e32 v4, 16, v9
	v_cmp_o_f32_e64 s[2:3], v4, v4
	s_and_saveexec_b64 s[8:9], s[2:3]
	s_cbranch_execz .LBB133_252
; %bb.249:
	v_lshlrev_b32_e32 v5, 16, v3
	v_cmp_o_f32_e64 s[2:3], v5, v5
	s_and_saveexec_b64 s[10:11], s[2:3]
; %bb.250:
	v_cmp_lt_f32_e64 s[2:3], v5, v4
	v_cndmask_b32_e64 v3, v9, v3, s[2:3]
; %bb.251:
	s_or_b64 exec, exec, s[10:11]
	v_mov_b32_e32 v9, v3
.LBB133_252:
	s_or_b64 exec, exec, s[8:9]
	s_or_b64 exec, exec, s[4:5]
	s_and_saveexec_b64 s[2:3], s[0:1]
	s_cbranch_execz .LBB133_181
.LBB133_253:
	s_waitcnt vmcnt(0)
	v_lshlrev_b32_e32 v3, 16, v9
	v_cmp_o_f32_e64 s[0:1], v3, v3
	s_and_saveexec_b64 s[4:5], s[0:1]
	s_cbranch_execz .LBB133_257
; %bb.254:
	v_lshlrev_b32_e32 v4, 16, v2
	v_cmp_o_f32_e64 s[0:1], v4, v4
	s_and_saveexec_b64 s[8:9], s[0:1]
; %bb.255:
	v_cmp_lt_f32_e64 s[0:1], v4, v3
	v_cndmask_b32_e64 v2, v9, v2, s[0:1]
; %bb.256:
	s_or_b64 exec, exec, s[8:9]
	v_mov_b32_e32 v9, v2
.LBB133_257:
	s_or_b64 exec, exec, s[4:5]
	s_or_b64 exec, exec, s[2:3]
	s_and_saveexec_b64 s[0:1], vcc
	s_cbranch_execz .LBB133_263
.LBB133_258:
	s_waitcnt vmcnt(0)
	v_lshlrev_b32_e32 v2, 16, v9
	v_cmp_o_f32_e32 vcc, v2, v2
	s_and_saveexec_b64 s[2:3], vcc
	s_cbranch_execz .LBB133_262
; %bb.259:
	v_lshlrev_b32_e32 v3, 16, v1
	v_cmp_o_f32_e32 vcc, v3, v3
	s_and_saveexec_b64 s[4:5], vcc
; %bb.260:
	v_cmp_lt_f32_e32 vcc, v3, v2
	v_cndmask_b32_e32 v1, v9, v1, vcc
; %bb.261:
	s_or_b64 exec, exec, s[4:5]
	v_mov_b32_e32 v9, v1
.LBB133_262:
	s_or_b64 exec, exec, s[2:3]
.LBB133_263:
	s_or_b64 exec, exec, s[0:1]
	s_waitcnt vmcnt(0)
	v_and_b32_e32 v3, 0xffff, v9
	s_nop 1
	v_mov_b32_dpp v1, v3 quad_perm:[1,0,3,2] row_mask:0xf bank_mask:0xf bound_ctrl:1
	v_lshlrev_b32_e32 v2, 16, v1
	v_cmp_o_f32_e32 vcc, v2, v2
	s_and_saveexec_b64 s[0:1], vcc
	s_xor_b64 s[0:1], exec, s[0:1]
	s_cbranch_execz .LBB133_267
; %bb.264:
	v_lshlrev_b32_e32 v3, 16, v3
	v_cmp_o_f32_e32 vcc, v3, v3
	s_and_saveexec_b64 s[2:3], vcc
; %bb.265:
	v_cmp_lt_f32_e32 vcc, v3, v2
	v_cndmask_b32_e32 v9, v1, v9, vcc
; %bb.266:
	s_or_b64 exec, exec, s[2:3]
	v_mov_b32_e32 v1, v9
.LBB133_267:
	s_or_b64 exec, exec, s[0:1]
	v_and_b32_e32 v4, 0xffff, v1
	s_nop 1
	v_mov_b32_dpp v2, v4 quad_perm:[2,3,0,1] row_mask:0xf bank_mask:0xf bound_ctrl:1
	v_lshlrev_b32_e32 v3, 16, v2
	v_cmp_o_f32_e32 vcc, v3, v3
	s_and_saveexec_b64 s[0:1], vcc
	s_cbranch_execz .LBB133_271
; %bb.268:
	v_lshlrev_b32_e32 v4, 16, v4
	v_cmp_o_f32_e32 vcc, v4, v4
	s_and_saveexec_b64 s[2:3], vcc
; %bb.269:
	v_cmp_lt_f32_e32 vcc, v4, v3
	v_cndmask_b32_e32 v1, v2, v1, vcc
; %bb.270:
	s_or_b64 exec, exec, s[2:3]
	v_mov_b32_e32 v2, v1
.LBB133_271:
	s_or_b64 exec, exec, s[0:1]
	v_and_b32_e32 v4, 0xffff, v2
	s_nop 1
	v_mov_b32_dpp v1, v4 row_ror:4 row_mask:0xf bank_mask:0xf bound_ctrl:1
	v_lshlrev_b32_e32 v3, 16, v1
	v_cmp_o_f32_e32 vcc, v3, v3
	s_and_saveexec_b64 s[0:1], vcc
	s_cbranch_execz .LBB133_275
; %bb.272:
	v_lshlrev_b32_e32 v4, 16, v4
	v_cmp_o_f32_e32 vcc, v4, v4
	s_and_saveexec_b64 s[2:3], vcc
; %bb.273:
	v_cmp_lt_f32_e32 vcc, v4, v3
	v_cndmask_b32_e32 v2, v1, v2, vcc
; %bb.274:
	s_or_b64 exec, exec, s[2:3]
	v_mov_b32_e32 v1, v2
.LBB133_275:
	s_or_b64 exec, exec, s[0:1]
	v_and_b32_e32 v4, 0xffff, v1
	s_nop 1
	v_mov_b32_dpp v2, v4 row_ror:8 row_mask:0xf bank_mask:0xf bound_ctrl:1
	v_lshlrev_b32_e32 v3, 16, v2
	v_cmp_o_f32_e32 vcc, v3, v3
	s_and_saveexec_b64 s[0:1], vcc
	s_cbranch_execz .LBB133_279
; %bb.276:
	v_lshlrev_b32_e32 v4, 16, v4
	v_cmp_o_f32_e32 vcc, v4, v4
	s_and_saveexec_b64 s[2:3], vcc
; %bb.277:
	v_cmp_lt_f32_e32 vcc, v4, v3
	v_cndmask_b32_e32 v1, v2, v1, vcc
; %bb.278:
	s_or_b64 exec, exec, s[2:3]
	v_mov_b32_e32 v2, v1
.LBB133_279:
	s_or_b64 exec, exec, s[0:1]
	v_and_b32_e32 v4, 0xffff, v2
	s_nop 1
	v_mov_b32_dpp v1, v4 row_bcast:15 row_mask:0xf bank_mask:0xf bound_ctrl:1
	v_lshlrev_b32_e32 v3, 16, v1
	v_cmp_o_f32_e32 vcc, v3, v3
	s_and_saveexec_b64 s[0:1], vcc
	s_cbranch_execz .LBB133_283
; %bb.280:
	v_lshlrev_b32_e32 v4, 16, v4
	v_cmp_o_f32_e32 vcc, v4, v4
	s_and_saveexec_b64 s[2:3], vcc
; %bb.281:
	v_cmp_lt_f32_e32 vcc, v4, v3
	v_cndmask_b32_e32 v2, v1, v2, vcc
; %bb.282:
	s_or_b64 exec, exec, s[2:3]
	v_mov_b32_e32 v1, v2
.LBB133_283:
	s_or_b64 exec, exec, s[0:1]
	v_and_b32_e32 v4, 0xffff, v1
	s_nop 1
	v_mov_b32_dpp v3, v4 row_bcast:31 row_mask:0xf bank_mask:0xf bound_ctrl:1
	v_lshlrev_b32_e32 v2, 16, v3
	v_cmp_o_f32_e32 vcc, v2, v2
	s_and_saveexec_b64 s[0:1], vcc
	s_cbranch_execz .LBB133_287
; %bb.284:
	v_lshlrev_b32_e32 v4, 16, v4
	v_cmp_o_f32_e32 vcc, v4, v4
	s_and_saveexec_b64 s[2:3], vcc
; %bb.285:
	v_cmp_lt_f32_e32 vcc, v4, v2
	v_cndmask_b32_e32 v1, v3, v1, vcc
; %bb.286:
	s_or_b64 exec, exec, s[2:3]
	v_mov_b32_e32 v3, v1
.LBB133_287:
	s_or_b64 exec, exec, s[0:1]
	v_mbcnt_lo_u32_b32 v1, -1, 0
	v_mbcnt_hi_u32_b32 v2, -1, v1
	v_lshlrev_b32_e32 v1, 2, v2
	v_or_b32_e32 v4, 0xfc, v1
	v_and_b32_e32 v3, 0xffff, v3
	ds_bpermute_b32 v3, v4, v3
	v_cmp_eq_u32_e32 vcc, 0, v2
	s_and_saveexec_b64 s[0:1], vcc
	s_cbranch_execz .LBB133_289
; %bb.288:
	v_lshrrev_b32_e32 v4, 5, v0
	v_and_b32_e32 v4, 6, v4
	s_waitcnt lgkmcnt(0)
	ds_write_b16 v4, v3
.LBB133_289:
	s_or_b64 exec, exec, s[0:1]
	v_cmp_gt_u32_e32 vcc, 64, v0
	s_waitcnt lgkmcnt(0)
	s_barrier
	s_and_saveexec_b64 s[0:1], vcc
	s_cbranch_execz .LBB133_299
; %bb.290:
	v_and_b32_e32 v4, 3, v2
	v_lshlrev_b32_e32 v3, 1, v4
	ds_read_u16 v3, v3
	v_cmp_ne_u32_e32 vcc, 3, v4
	v_addc_co_u32_e32 v2, vcc, 0, v2, vcc
	v_lshlrev_b32_e32 v2, 2, v2
	s_waitcnt lgkmcnt(0)
	v_and_b32_e32 v4, 0xffff, v3
	ds_bpermute_b32 v2, v2, v4
	v_lshlrev_b32_e32 v4, 16, v3
	v_cmp_o_f32_e32 vcc, v4, v4
	s_and_saveexec_b64 s[2:3], vcc
	s_cbranch_execz .LBB133_294
; %bb.291:
	s_waitcnt lgkmcnt(0)
	v_lshlrev_b32_e32 v5, 16, v2
	v_cmp_o_f32_e32 vcc, v5, v5
	s_and_saveexec_b64 s[4:5], vcc
; %bb.292:
	v_cmp_lt_f32_e32 vcc, v5, v4
	v_cndmask_b32_e32 v2, v3, v2, vcc
; %bb.293:
	s_or_b64 exec, exec, s[4:5]
	v_mov_b32_e32 v3, v2
.LBB133_294:
	s_or_b64 exec, exec, s[2:3]
	v_or_b32_e32 v1, 8, v1
	s_waitcnt lgkmcnt(0)
	v_and_b32_e32 v2, 0xffff, v3
	ds_bpermute_b32 v1, v1, v2
	v_lshlrev_b32_e32 v2, 16, v3
	v_cmp_o_f32_e32 vcc, v2, v2
	s_and_saveexec_b64 s[2:3], vcc
	s_cbranch_execz .LBB133_298
; %bb.295:
	s_waitcnt lgkmcnt(0)
	v_lshlrev_b32_e32 v4, 16, v1
	v_cmp_o_f32_e32 vcc, v4, v4
	s_and_saveexec_b64 s[4:5], vcc
; %bb.296:
	v_cmp_lt_f32_e32 vcc, v4, v2
	v_cndmask_b32_e32 v1, v3, v1, vcc
; %bb.297:
	s_or_b64 exec, exec, s[4:5]
	v_mov_b32_e32 v3, v1
.LBB133_298:
	s_or_b64 exec, exec, s[2:3]
.LBB133_299:
	s_or_b64 exec, exec, s[0:1]
	s_branch .LBB133_402
.LBB133_300:
	s_sub_i32 s12, s50, s42
	v_cmp_gt_u32_e32 vcc, s12, v0
                                        ; implicit-def: $vgpr4
	s_and_saveexec_b64 s[0:1], vcc
	s_cbranch_execz .LBB133_310
; %bb.301:
	s_waitcnt lgkmcnt(0)
	v_add_u32_e32 v1, s42, v0
	v_ashrrev_i32_e32 v2, 31, v1
	v_lshlrev_b64 v[2:3], 1, v[1:2]
	v_mov_b32_e32 v4, s37
	v_add_co_u32_e32 v2, vcc, s36, v2
	v_addc_co_u32_e32 v3, vcc, v4, v3, vcc
	global_load_ushort v4, v[2:3], off
	v_add_u32_e32 v1, 0x100, v1
	v_cmp_gt_i32_e32 vcc, s50, v1
	s_and_saveexec_b64 s[2:3], vcc
	s_cbranch_execz .LBB133_309
; %bb.302:
	s_mov_b64 s[4:5], 0
	s_branch .LBB133_305
.LBB133_303:                            ;   in Loop: Header=BB133_305 Depth=1
	s_or_b64 exec, exec, s[10:11]
	v_mov_b32_e32 v4, v2
.LBB133_304:                            ;   in Loop: Header=BB133_305 Depth=1
	s_or_b64 exec, exec, s[8:9]
	v_add_u32_e32 v1, 0x100, v1
	v_cmp_le_i32_e32 vcc, s50, v1
	s_or_b64 s[4:5], vcc, s[4:5]
	s_andn2_b64 exec, exec, s[4:5]
	s_cbranch_execz .LBB133_308
.LBB133_305:                            ; =>This Inner Loop Header: Depth=1
	s_waitcnt vmcnt(0)
	v_lshlrev_b32_e32 v3, 16, v4
	v_cmp_o_f32_e32 vcc, v3, v3
	s_and_saveexec_b64 s[8:9], vcc
	s_cbranch_execz .LBB133_304
; %bb.306:                              ;   in Loop: Header=BB133_305 Depth=1
	v_ashrrev_i32_e32 v2, 31, v1
	v_lshlrev_b64 v[5:6], 1, v[1:2]
	v_mov_b32_e32 v2, s37
	v_add_co_u32_e32 v5, vcc, s36, v5
	v_addc_co_u32_e32 v6, vcc, v2, v6, vcc
	global_load_ushort v2, v[5:6], off
	s_waitcnt vmcnt(0)
	v_lshlrev_b32_e32 v5, 16, v2
	v_cmp_o_f32_e32 vcc, v5, v5
	s_and_saveexec_b64 s[10:11], vcc
	s_cbranch_execz .LBB133_303
; %bb.307:                              ;   in Loop: Header=BB133_305 Depth=1
	v_cmp_lt_f32_e32 vcc, v5, v3
	v_cndmask_b32_e32 v2, v4, v2, vcc
	s_branch .LBB133_303
.LBB133_308:
	s_or_b64 exec, exec, s[4:5]
.LBB133_309:
	s_or_b64 exec, exec, s[2:3]
.LBB133_310:
	s_or_b64 exec, exec, s[0:1]
	s_waitcnt lgkmcnt(0)
	v_mbcnt_lo_u32_b32 v1, -1, 0
	s_cmpk_lt_u32 s12, 0x100
	v_lshrrev_b32_e32 v2, 6, v0
	v_mbcnt_hi_u32_b32 v1, -1, v1
	s_cbranch_scc0 .LBB133_364
; %bb.311:
	v_and_b32_e32 v5, 63, v1
	v_cmp_ne_u32_e32 vcc, 63, v5
	v_addc_co_u32_e32 v6, vcc, 0, v1, vcc
	v_lshlrev_b32_e32 v6, 2, v6
	s_waitcnt vmcnt(0)
	v_and_b32_e32 v7, 0xffff, v4
	ds_bpermute_b32 v8, v6, v7
	v_and_b32_e32 v3, 0xc0, v0
	v_sub_u32_e64 v6, s12, v3 clamp
	v_add_u32_e32 v3, 1, v5
	v_cmp_lt_u32_e32 vcc, v3, v6
	v_mov_b32_e32 v3, v4
	s_and_saveexec_b64 s[0:1], vcc
	s_cbranch_execz .LBB133_317
; %bb.312:
	v_lshlrev_b32_e32 v7, 16, v7
	v_cmp_o_f32_e32 vcc, v7, v7
	v_mov_b32_e32 v3, v4
	s_and_saveexec_b64 s[2:3], vcc
	s_cbranch_execz .LBB133_316
; %bb.313:
	s_waitcnt lgkmcnt(0)
	v_lshlrev_b32_e32 v3, 16, v8
	v_cmp_o_f32_e32 vcc, v3, v3
	s_and_saveexec_b64 s[4:5], vcc
; %bb.314:
	v_cmp_lt_f32_e32 vcc, v3, v7
	v_cndmask_b32_e32 v8, v4, v8, vcc
; %bb.315:
	s_or_b64 exec, exec, s[4:5]
	v_mov_b32_e32 v3, v8
.LBB133_316:
	s_or_b64 exec, exec, s[2:3]
	v_and_b32_e32 v7, 0xffff, v3
.LBB133_317:
	s_or_b64 exec, exec, s[0:1]
	v_cmp_gt_u32_e32 vcc, 62, v5
	s_waitcnt lgkmcnt(0)
	v_cndmask_b32_e64 v8, 0, 2, vcc
	v_add_lshl_u32 v8, v8, v1, 2
	ds_bpermute_b32 v8, v8, v7
	v_add_u32_e32 v9, 2, v5
	v_cmp_lt_u32_e32 vcc, v9, v6
	s_and_saveexec_b64 s[0:1], vcc
	s_cbranch_execz .LBB133_323
; %bb.318:
	v_lshlrev_b32_e32 v7, 16, v7
	v_cmp_o_f32_e32 vcc, v7, v7
	s_and_saveexec_b64 s[2:3], vcc
	s_cbranch_execz .LBB133_322
; %bb.319:
	s_waitcnt lgkmcnt(0)
	v_lshlrev_b32_e32 v9, 16, v8
	v_cmp_o_f32_e32 vcc, v9, v9
	s_and_saveexec_b64 s[4:5], vcc
; %bb.320:
	v_cmp_lt_f32_e32 vcc, v9, v7
	v_cndmask_b32_e32 v8, v3, v8, vcc
; %bb.321:
	s_or_b64 exec, exec, s[4:5]
	v_mov_b32_e32 v3, v8
.LBB133_322:
	s_or_b64 exec, exec, s[2:3]
	v_and_b32_e32 v7, 0xffff, v3
.LBB133_323:
	s_or_b64 exec, exec, s[0:1]
	v_cmp_gt_u32_e32 vcc, 60, v5
	s_waitcnt lgkmcnt(0)
	v_cndmask_b32_e64 v8, 0, 4, vcc
	v_add_lshl_u32 v8, v8, v1, 2
	ds_bpermute_b32 v8, v8, v7
	v_add_u32_e32 v9, 4, v5
	v_cmp_lt_u32_e32 vcc, v9, v6
	s_and_saveexec_b64 s[0:1], vcc
	s_cbranch_execz .LBB133_329
; %bb.324:
	v_lshlrev_b32_e32 v7, 16, v7
	v_cmp_o_f32_e32 vcc, v7, v7
	s_and_saveexec_b64 s[2:3], vcc
	s_cbranch_execz .LBB133_328
; %bb.325:
	s_waitcnt lgkmcnt(0)
	v_lshlrev_b32_e32 v9, 16, v8
	v_cmp_o_f32_e32 vcc, v9, v9
	s_and_saveexec_b64 s[4:5], vcc
; %bb.326:
	v_cmp_lt_f32_e32 vcc, v9, v7
	v_cndmask_b32_e32 v8, v3, v8, vcc
; %bb.327:
	s_or_b64 exec, exec, s[4:5]
	v_mov_b32_e32 v3, v8
.LBB133_328:
	s_or_b64 exec, exec, s[2:3]
	v_and_b32_e32 v7, 0xffff, v3
.LBB133_329:
	;; [unrolled: 30-line block ×4, first 2 shown]
	s_or_b64 exec, exec, s[0:1]
	s_waitcnt lgkmcnt(0)
	v_lshlrev_b32_e32 v8, 2, v1
	v_or_b32_e32 v9, 0x80, v8
	ds_bpermute_b32 v9, v9, v7
	v_add_u32_e32 v5, 32, v5
	v_cmp_lt_u32_e32 vcc, v5, v6
	s_and_saveexec_b64 s[0:1], vcc
	s_cbranch_execz .LBB133_347
; %bb.342:
	v_lshlrev_b32_e32 v5, 16, v7
	v_cmp_o_f32_e32 vcc, v5, v5
	s_and_saveexec_b64 s[2:3], vcc
	s_cbranch_execz .LBB133_346
; %bb.343:
	s_waitcnt lgkmcnt(0)
	v_lshlrev_b32_e32 v6, 16, v9
	v_cmp_o_f32_e32 vcc, v6, v6
	s_and_saveexec_b64 s[4:5], vcc
; %bb.344:
	v_cmp_lt_f32_e32 vcc, v6, v5
	v_cndmask_b32_e32 v9, v3, v9, vcc
; %bb.345:
	s_or_b64 exec, exec, s[4:5]
	v_mov_b32_e32 v3, v9
.LBB133_346:
	s_or_b64 exec, exec, s[2:3]
.LBB133_347:
	s_or_b64 exec, exec, s[0:1]
	v_cmp_eq_u32_e32 vcc, 0, v1
	s_and_saveexec_b64 s[0:1], vcc
; %bb.348:
	v_lshlrev_b32_e32 v5, 1, v2
	ds_write_b16 v5, v3
; %bb.349:
	s_or_b64 exec, exec, s[0:1]
	v_cmp_gt_u32_e32 vcc, 4, v0
	s_waitcnt lgkmcnt(0)
	s_barrier
	s_and_saveexec_b64 s[0:1], vcc
	s_cbranch_execz .LBB133_363
; %bb.350:
	v_lshlrev_b32_e32 v3, 1, v1
	ds_read_u16 v3, v3
	v_and_b32_e32 v5, 3, v1
	v_cmp_ne_u32_e32 vcc, 3, v5
	v_addc_co_u32_e32 v6, vcc, 0, v1, vcc
	v_lshlrev_b32_e32 v6, 2, v6
	s_waitcnt lgkmcnt(0)
	v_and_b32_e32 v7, 0xffff, v3
	ds_bpermute_b32 v6, v6, v7
	s_add_i32 s12, s12, 63
	s_lshr_b32 s10, s12, 6
	v_add_u32_e32 v9, 1, v5
	v_cmp_gt_u32_e32 vcc, s10, v9
	s_and_saveexec_b64 s[2:3], vcc
	s_cbranch_execz .LBB133_356
; %bb.351:
	v_lshlrev_b32_e32 v7, 16, v7
	v_cmp_o_f32_e32 vcc, v7, v7
	s_and_saveexec_b64 s[4:5], vcc
	s_cbranch_execz .LBB133_355
; %bb.352:
	s_waitcnt lgkmcnt(0)
	v_lshlrev_b32_e32 v9, 16, v6
	v_cmp_o_f32_e32 vcc, v9, v9
	s_and_saveexec_b64 s[8:9], vcc
; %bb.353:
	v_cmp_lt_f32_e32 vcc, v9, v7
	v_cndmask_b32_e32 v6, v3, v6, vcc
; %bb.354:
	s_or_b64 exec, exec, s[8:9]
	v_mov_b32_e32 v3, v6
.LBB133_355:
	s_or_b64 exec, exec, s[4:5]
	v_and_b32_e32 v7, 0xffff, v3
.LBB133_356:
	s_or_b64 exec, exec, s[2:3]
	s_waitcnt lgkmcnt(0)
	v_or_b32_e32 v6, 8, v8
	ds_bpermute_b32 v6, v6, v7
	v_add_u32_e32 v5, 2, v5
	v_cmp_gt_u32_e32 vcc, s10, v5
	s_and_saveexec_b64 s[2:3], vcc
	s_cbranch_execz .LBB133_362
; %bb.357:
	v_lshlrev_b32_e32 v5, 16, v7
	v_cmp_o_f32_e32 vcc, v5, v5
	s_and_saveexec_b64 s[4:5], vcc
	s_cbranch_execz .LBB133_361
; %bb.358:
	s_waitcnt lgkmcnt(0)
	v_lshlrev_b32_e32 v7, 16, v6
	v_cmp_o_f32_e32 vcc, v7, v7
	s_and_saveexec_b64 s[8:9], vcc
; %bb.359:
	v_cmp_lt_f32_e32 vcc, v7, v5
	v_cndmask_b32_e32 v6, v3, v6, vcc
; %bb.360:
	s_or_b64 exec, exec, s[8:9]
	v_mov_b32_e32 v3, v6
.LBB133_361:
	s_or_b64 exec, exec, s[4:5]
.LBB133_362:
	s_or_b64 exec, exec, s[2:3]
.LBB133_363:
	s_or_b64 exec, exec, s[0:1]
	s_branch .LBB133_402
.LBB133_364:
                                        ; implicit-def: $vgpr3
	s_cbranch_execz .LBB133_402
; %bb.365:
	s_waitcnt vmcnt(0) lgkmcnt(0)
	v_and_b32_e32 v6, 0xffff, v4
	s_nop 1
	v_mov_b32_dpp v3, v6 quad_perm:[1,0,3,2] row_mask:0xf bank_mask:0xf bound_ctrl:1
	v_lshlrev_b32_e32 v5, 16, v3
	v_cmp_o_f32_e32 vcc, v5, v5
	s_and_saveexec_b64 s[0:1], vcc
	s_cbranch_execz .LBB133_369
; %bb.366:
	v_lshlrev_b32_e32 v6, 16, v6
	v_cmp_o_f32_e32 vcc, v6, v6
	s_and_saveexec_b64 s[2:3], vcc
; %bb.367:
	v_cmp_lt_f32_e32 vcc, v6, v5
	v_cndmask_b32_e32 v4, v3, v4, vcc
; %bb.368:
	s_or_b64 exec, exec, s[2:3]
	v_mov_b32_e32 v3, v4
.LBB133_369:
	s_or_b64 exec, exec, s[0:1]
	v_and_b32_e32 v6, 0xffff, v3
	s_nop 1
	v_mov_b32_dpp v4, v6 quad_perm:[2,3,0,1] row_mask:0xf bank_mask:0xf bound_ctrl:1
	v_lshlrev_b32_e32 v5, 16, v4
	v_cmp_o_f32_e32 vcc, v5, v5
	s_and_saveexec_b64 s[0:1], vcc
	s_cbranch_execz .LBB133_373
; %bb.370:
	v_lshlrev_b32_e32 v6, 16, v6
	v_cmp_o_f32_e32 vcc, v6, v6
	s_and_saveexec_b64 s[2:3], vcc
; %bb.371:
	v_cmp_lt_f32_e32 vcc, v6, v5
	v_cndmask_b32_e32 v3, v4, v3, vcc
; %bb.372:
	s_or_b64 exec, exec, s[2:3]
	v_mov_b32_e32 v4, v3
.LBB133_373:
	s_or_b64 exec, exec, s[0:1]
	v_and_b32_e32 v6, 0xffff, v4
	s_nop 1
	v_mov_b32_dpp v3, v6 row_ror:4 row_mask:0xf bank_mask:0xf bound_ctrl:1
	v_lshlrev_b32_e32 v5, 16, v3
	v_cmp_o_f32_e32 vcc, v5, v5
	s_and_saveexec_b64 s[0:1], vcc
	s_cbranch_execz .LBB133_377
; %bb.374:
	v_lshlrev_b32_e32 v6, 16, v6
	v_cmp_o_f32_e32 vcc, v6, v6
	s_and_saveexec_b64 s[2:3], vcc
; %bb.375:
	v_cmp_lt_f32_e32 vcc, v6, v5
	v_cndmask_b32_e32 v4, v3, v4, vcc
; %bb.376:
	s_or_b64 exec, exec, s[2:3]
	v_mov_b32_e32 v3, v4
.LBB133_377:
	s_or_b64 exec, exec, s[0:1]
	v_and_b32_e32 v6, 0xffff, v3
	s_nop 1
	v_mov_b32_dpp v4, v6 row_ror:8 row_mask:0xf bank_mask:0xf bound_ctrl:1
	v_lshlrev_b32_e32 v5, 16, v4
	v_cmp_o_f32_e32 vcc, v5, v5
	s_and_saveexec_b64 s[0:1], vcc
	s_cbranch_execz .LBB133_381
; %bb.378:
	v_lshlrev_b32_e32 v6, 16, v6
	v_cmp_o_f32_e32 vcc, v6, v6
	s_and_saveexec_b64 s[2:3], vcc
; %bb.379:
	v_cmp_lt_f32_e32 vcc, v6, v5
	v_cndmask_b32_e32 v3, v4, v3, vcc
; %bb.380:
	s_or_b64 exec, exec, s[2:3]
	v_mov_b32_e32 v4, v3
.LBB133_381:
	s_or_b64 exec, exec, s[0:1]
	v_and_b32_e32 v6, 0xffff, v4
	s_nop 1
	v_mov_b32_dpp v3, v6 row_bcast:15 row_mask:0xf bank_mask:0xf bound_ctrl:1
	v_lshlrev_b32_e32 v5, 16, v3
	v_cmp_o_f32_e32 vcc, v5, v5
	s_and_saveexec_b64 s[0:1], vcc
	s_cbranch_execz .LBB133_385
; %bb.382:
	v_lshlrev_b32_e32 v6, 16, v6
	v_cmp_o_f32_e32 vcc, v6, v6
	s_and_saveexec_b64 s[2:3], vcc
; %bb.383:
	v_cmp_lt_f32_e32 vcc, v6, v5
	v_cndmask_b32_e32 v4, v3, v4, vcc
; %bb.384:
	s_or_b64 exec, exec, s[2:3]
	v_mov_b32_e32 v3, v4
.LBB133_385:
	s_or_b64 exec, exec, s[0:1]
	v_and_b32_e32 v6, 0xffff, v3
	s_nop 1
	v_mov_b32_dpp v5, v6 row_bcast:31 row_mask:0xf bank_mask:0xf bound_ctrl:1
	v_lshlrev_b32_e32 v4, 16, v5
	v_cmp_o_f32_e32 vcc, v4, v4
	s_and_saveexec_b64 s[0:1], vcc
	s_cbranch_execz .LBB133_389
; %bb.386:
	v_lshlrev_b32_e32 v6, 16, v6
	v_cmp_o_f32_e32 vcc, v6, v6
	s_and_saveexec_b64 s[2:3], vcc
; %bb.387:
	v_cmp_lt_f32_e32 vcc, v6, v4
	v_cndmask_b32_e32 v3, v5, v3, vcc
; %bb.388:
	s_or_b64 exec, exec, s[2:3]
	v_mov_b32_e32 v5, v3
.LBB133_389:
	s_or_b64 exec, exec, s[0:1]
	v_lshlrev_b32_e32 v4, 2, v1
	v_or_b32_e32 v3, 0xfc, v4
	v_and_b32_e32 v5, 0xffff, v5
	ds_bpermute_b32 v3, v3, v5
	v_cmp_eq_u32_e32 vcc, 0, v1
	s_and_saveexec_b64 s[0:1], vcc
	s_cbranch_execz .LBB133_391
; %bb.390:
	v_lshlrev_b32_e32 v2, 1, v2
	s_waitcnt lgkmcnt(0)
	ds_write_b16 v2, v3
.LBB133_391:
	s_or_b64 exec, exec, s[0:1]
	v_cmp_gt_u32_e32 vcc, 64, v0
	s_waitcnt lgkmcnt(0)
	s_barrier
	s_and_saveexec_b64 s[0:1], vcc
	s_cbranch_execz .LBB133_401
; %bb.392:
	v_and_b32_e32 v2, 3, v1
	v_lshlrev_b32_e32 v3, 1, v2
	ds_read_u16 v3, v3
	v_cmp_ne_u32_e32 vcc, 3, v2
	v_addc_co_u32_e32 v1, vcc, 0, v1, vcc
	v_lshlrev_b32_e32 v1, 2, v1
	s_waitcnt lgkmcnt(0)
	v_and_b32_e32 v2, 0xffff, v3
	ds_bpermute_b32 v1, v1, v2
	v_lshlrev_b32_e32 v2, 16, v3
	v_cmp_o_f32_e32 vcc, v2, v2
	s_and_saveexec_b64 s[2:3], vcc
	s_cbranch_execz .LBB133_396
; %bb.393:
	s_waitcnt lgkmcnt(0)
	v_lshlrev_b32_e32 v5, 16, v1
	v_cmp_o_f32_e32 vcc, v5, v5
	s_and_saveexec_b64 s[4:5], vcc
; %bb.394:
	v_cmp_lt_f32_e32 vcc, v5, v2
	v_cndmask_b32_e32 v1, v3, v1, vcc
; %bb.395:
	s_or_b64 exec, exec, s[4:5]
	v_mov_b32_e32 v3, v1
.LBB133_396:
	s_or_b64 exec, exec, s[2:3]
	s_waitcnt lgkmcnt(0)
	v_or_b32_e32 v1, 8, v4
	v_and_b32_e32 v2, 0xffff, v3
	ds_bpermute_b32 v1, v1, v2
	v_lshlrev_b32_e32 v2, 16, v3
	v_cmp_o_f32_e32 vcc, v2, v2
	s_and_saveexec_b64 s[2:3], vcc
	s_cbranch_execz .LBB133_400
; %bb.397:
	s_waitcnt lgkmcnt(0)
	v_lshlrev_b32_e32 v4, 16, v1
	v_cmp_o_f32_e32 vcc, v4, v4
	s_and_saveexec_b64 s[4:5], vcc
; %bb.398:
	v_cmp_lt_f32_e32 vcc, v4, v2
	v_cndmask_b32_e32 v1, v3, v1, vcc
; %bb.399:
	s_or_b64 exec, exec, s[4:5]
	v_mov_b32_e32 v3, v1
.LBB133_400:
	s_or_b64 exec, exec, s[2:3]
.LBB133_401:
	s_or_b64 exec, exec, s[0:1]
.LBB133_402:
	v_cmp_eq_u32_e32 vcc, 0, v0
                                        ; implicit-def: $vgpr1
	s_and_saveexec_b64 s[0:1], vcc
	s_cbranch_execz .LBB133_408
; %bb.403:
	s_lshl_b32 s4, s33, 16
	v_cmp_u_f32_e64 s[2:3], s4, s4
	s_and_b64 vcc, exec, s[2:3]
	s_waitcnt lgkmcnt(0)
	v_mov_b32_e32 v1, s33
	s_cbranch_vccnz .LBB133_407
; %bb.404:
	v_lshlrev_b32_e32 v0, 16, v3
	v_cmp_o_f32_e32 vcc, v0, v0
	s_and_saveexec_b64 s[2:3], vcc
; %bb.405:
	v_mov_b32_e32 v1, s33
	v_cmp_gt_f32_e32 vcc, s4, v0
	v_cndmask_b32_e32 v3, v1, v3, vcc
; %bb.406:
	s_or_b64 exec, exec, s[2:3]
	v_mov_b32_e32 v1, v3
.LBB133_407:
	s_or_b64 s[34:35], s[34:35], exec
.LBB133_408:
	s_or_b64 exec, exec, s[0:1]
	s_and_saveexec_b64 s[0:1], s[34:35]
	s_cbranch_execz .LBB133_410
.LBB133_409:
	s_lshl_b64 s[0:1], s[40:41], 1
	s_add_u32 s2, s38, s0
	s_addc_u32 s3, s39, s1
	s_lshl_b64 s[0:1], s[6:7], 1
	s_add_u32 s0, s2, s0
	s_addc_u32 s1, s3, s1
	v_mov_b32_e32 v0, 0
	s_waitcnt lgkmcnt(0)
	global_store_short v0, v1, s[0:1]
.LBB133_410:
	s_endpgm
	.section	.rodata,"a",@progbits
	.p2align	6, 0x0
	.amdhsa_kernel _ZN7rocprim17ROCPRIM_400000_NS6detail17trampoline_kernelINS0_14default_configENS1_32segmented_reduce_config_selectorIN3c108BFloat16EEEZNS1_21segmented_reduce_implIS3_PKS6_PS6_PKiS6_N6hipcub16HIPCUB_304000_NS6detail27convert_result_type_wrapperISA_SB_N2at6native12_GLOBAL__N_19CustomMinEEEEE10hipError_tPvRmT0_T1_jT2_SS_T4_T3_P12ihipStream_tbEUlT_E_NS1_11comp_targetILNS1_3genE2ELNS1_11target_archE906ELNS1_3gpuE6ELNS1_3repE0EEENS1_30default_config_static_selectorELNS0_4arch9wavefront6targetE1EEEvSR_
		.amdhsa_group_segment_fixed_size 8
		.amdhsa_private_segment_fixed_size 0
		.amdhsa_kernarg_size 48
		.amdhsa_user_sgpr_count 6
		.amdhsa_user_sgpr_private_segment_buffer 1
		.amdhsa_user_sgpr_dispatch_ptr 0
		.amdhsa_user_sgpr_queue_ptr 0
		.amdhsa_user_sgpr_kernarg_segment_ptr 1
		.amdhsa_user_sgpr_dispatch_id 0
		.amdhsa_user_sgpr_flat_scratch_init 0
		.amdhsa_user_sgpr_private_segment_size 0
		.amdhsa_uses_dynamic_stack 0
		.amdhsa_system_sgpr_private_segment_wavefront_offset 0
		.amdhsa_system_sgpr_workgroup_id_x 1
		.amdhsa_system_sgpr_workgroup_id_y 0
		.amdhsa_system_sgpr_workgroup_id_z 0
		.amdhsa_system_sgpr_workgroup_info 0
		.amdhsa_system_vgpr_workitem_id 0
		.amdhsa_next_free_vgpr 24
		.amdhsa_next_free_sgpr 51
		.amdhsa_reserve_vcc 1
		.amdhsa_reserve_flat_scratch 0
		.amdhsa_float_round_mode_32 0
		.amdhsa_float_round_mode_16_64 0
		.amdhsa_float_denorm_mode_32 3
		.amdhsa_float_denorm_mode_16_64 3
		.amdhsa_dx10_clamp 1
		.amdhsa_ieee_mode 1
		.amdhsa_fp16_overflow 0
		.amdhsa_exception_fp_ieee_invalid_op 0
		.amdhsa_exception_fp_denorm_src 0
		.amdhsa_exception_fp_ieee_div_zero 0
		.amdhsa_exception_fp_ieee_overflow 0
		.amdhsa_exception_fp_ieee_underflow 0
		.amdhsa_exception_fp_ieee_inexact 0
		.amdhsa_exception_int_div_zero 0
	.end_amdhsa_kernel
	.section	.text._ZN7rocprim17ROCPRIM_400000_NS6detail17trampoline_kernelINS0_14default_configENS1_32segmented_reduce_config_selectorIN3c108BFloat16EEEZNS1_21segmented_reduce_implIS3_PKS6_PS6_PKiS6_N6hipcub16HIPCUB_304000_NS6detail27convert_result_type_wrapperISA_SB_N2at6native12_GLOBAL__N_19CustomMinEEEEE10hipError_tPvRmT0_T1_jT2_SS_T4_T3_P12ihipStream_tbEUlT_E_NS1_11comp_targetILNS1_3genE2ELNS1_11target_archE906ELNS1_3gpuE6ELNS1_3repE0EEENS1_30default_config_static_selectorELNS0_4arch9wavefront6targetE1EEEvSR_,"axG",@progbits,_ZN7rocprim17ROCPRIM_400000_NS6detail17trampoline_kernelINS0_14default_configENS1_32segmented_reduce_config_selectorIN3c108BFloat16EEEZNS1_21segmented_reduce_implIS3_PKS6_PS6_PKiS6_N6hipcub16HIPCUB_304000_NS6detail27convert_result_type_wrapperISA_SB_N2at6native12_GLOBAL__N_19CustomMinEEEEE10hipError_tPvRmT0_T1_jT2_SS_T4_T3_P12ihipStream_tbEUlT_E_NS1_11comp_targetILNS1_3genE2ELNS1_11target_archE906ELNS1_3gpuE6ELNS1_3repE0EEENS1_30default_config_static_selectorELNS0_4arch9wavefront6targetE1EEEvSR_,comdat
.Lfunc_end133:
	.size	_ZN7rocprim17ROCPRIM_400000_NS6detail17trampoline_kernelINS0_14default_configENS1_32segmented_reduce_config_selectorIN3c108BFloat16EEEZNS1_21segmented_reduce_implIS3_PKS6_PS6_PKiS6_N6hipcub16HIPCUB_304000_NS6detail27convert_result_type_wrapperISA_SB_N2at6native12_GLOBAL__N_19CustomMinEEEEE10hipError_tPvRmT0_T1_jT2_SS_T4_T3_P12ihipStream_tbEUlT_E_NS1_11comp_targetILNS1_3genE2ELNS1_11target_archE906ELNS1_3gpuE6ELNS1_3repE0EEENS1_30default_config_static_selectorELNS0_4arch9wavefront6targetE1EEEvSR_, .Lfunc_end133-_ZN7rocprim17ROCPRIM_400000_NS6detail17trampoline_kernelINS0_14default_configENS1_32segmented_reduce_config_selectorIN3c108BFloat16EEEZNS1_21segmented_reduce_implIS3_PKS6_PS6_PKiS6_N6hipcub16HIPCUB_304000_NS6detail27convert_result_type_wrapperISA_SB_N2at6native12_GLOBAL__N_19CustomMinEEEEE10hipError_tPvRmT0_T1_jT2_SS_T4_T3_P12ihipStream_tbEUlT_E_NS1_11comp_targetILNS1_3genE2ELNS1_11target_archE906ELNS1_3gpuE6ELNS1_3repE0EEENS1_30default_config_static_selectorELNS0_4arch9wavefront6targetE1EEEvSR_
                                        ; -- End function
	.set _ZN7rocprim17ROCPRIM_400000_NS6detail17trampoline_kernelINS0_14default_configENS1_32segmented_reduce_config_selectorIN3c108BFloat16EEEZNS1_21segmented_reduce_implIS3_PKS6_PS6_PKiS6_N6hipcub16HIPCUB_304000_NS6detail27convert_result_type_wrapperISA_SB_N2at6native12_GLOBAL__N_19CustomMinEEEEE10hipError_tPvRmT0_T1_jT2_SS_T4_T3_P12ihipStream_tbEUlT_E_NS1_11comp_targetILNS1_3genE2ELNS1_11target_archE906ELNS1_3gpuE6ELNS1_3repE0EEENS1_30default_config_static_selectorELNS0_4arch9wavefront6targetE1EEEvSR_.num_vgpr, 24
	.set _ZN7rocprim17ROCPRIM_400000_NS6detail17trampoline_kernelINS0_14default_configENS1_32segmented_reduce_config_selectorIN3c108BFloat16EEEZNS1_21segmented_reduce_implIS3_PKS6_PS6_PKiS6_N6hipcub16HIPCUB_304000_NS6detail27convert_result_type_wrapperISA_SB_N2at6native12_GLOBAL__N_19CustomMinEEEEE10hipError_tPvRmT0_T1_jT2_SS_T4_T3_P12ihipStream_tbEUlT_E_NS1_11comp_targetILNS1_3genE2ELNS1_11target_archE906ELNS1_3gpuE6ELNS1_3repE0EEENS1_30default_config_static_selectorELNS0_4arch9wavefront6targetE1EEEvSR_.num_agpr, 0
	.set _ZN7rocprim17ROCPRIM_400000_NS6detail17trampoline_kernelINS0_14default_configENS1_32segmented_reduce_config_selectorIN3c108BFloat16EEEZNS1_21segmented_reduce_implIS3_PKS6_PS6_PKiS6_N6hipcub16HIPCUB_304000_NS6detail27convert_result_type_wrapperISA_SB_N2at6native12_GLOBAL__N_19CustomMinEEEEE10hipError_tPvRmT0_T1_jT2_SS_T4_T3_P12ihipStream_tbEUlT_E_NS1_11comp_targetILNS1_3genE2ELNS1_11target_archE906ELNS1_3gpuE6ELNS1_3repE0EEENS1_30default_config_static_selectorELNS0_4arch9wavefront6targetE1EEEvSR_.numbered_sgpr, 51
	.set _ZN7rocprim17ROCPRIM_400000_NS6detail17trampoline_kernelINS0_14default_configENS1_32segmented_reduce_config_selectorIN3c108BFloat16EEEZNS1_21segmented_reduce_implIS3_PKS6_PS6_PKiS6_N6hipcub16HIPCUB_304000_NS6detail27convert_result_type_wrapperISA_SB_N2at6native12_GLOBAL__N_19CustomMinEEEEE10hipError_tPvRmT0_T1_jT2_SS_T4_T3_P12ihipStream_tbEUlT_E_NS1_11comp_targetILNS1_3genE2ELNS1_11target_archE906ELNS1_3gpuE6ELNS1_3repE0EEENS1_30default_config_static_selectorELNS0_4arch9wavefront6targetE1EEEvSR_.num_named_barrier, 0
	.set _ZN7rocprim17ROCPRIM_400000_NS6detail17trampoline_kernelINS0_14default_configENS1_32segmented_reduce_config_selectorIN3c108BFloat16EEEZNS1_21segmented_reduce_implIS3_PKS6_PS6_PKiS6_N6hipcub16HIPCUB_304000_NS6detail27convert_result_type_wrapperISA_SB_N2at6native12_GLOBAL__N_19CustomMinEEEEE10hipError_tPvRmT0_T1_jT2_SS_T4_T3_P12ihipStream_tbEUlT_E_NS1_11comp_targetILNS1_3genE2ELNS1_11target_archE906ELNS1_3gpuE6ELNS1_3repE0EEENS1_30default_config_static_selectorELNS0_4arch9wavefront6targetE1EEEvSR_.private_seg_size, 0
	.set _ZN7rocprim17ROCPRIM_400000_NS6detail17trampoline_kernelINS0_14default_configENS1_32segmented_reduce_config_selectorIN3c108BFloat16EEEZNS1_21segmented_reduce_implIS3_PKS6_PS6_PKiS6_N6hipcub16HIPCUB_304000_NS6detail27convert_result_type_wrapperISA_SB_N2at6native12_GLOBAL__N_19CustomMinEEEEE10hipError_tPvRmT0_T1_jT2_SS_T4_T3_P12ihipStream_tbEUlT_E_NS1_11comp_targetILNS1_3genE2ELNS1_11target_archE906ELNS1_3gpuE6ELNS1_3repE0EEENS1_30default_config_static_selectorELNS0_4arch9wavefront6targetE1EEEvSR_.uses_vcc, 1
	.set _ZN7rocprim17ROCPRIM_400000_NS6detail17trampoline_kernelINS0_14default_configENS1_32segmented_reduce_config_selectorIN3c108BFloat16EEEZNS1_21segmented_reduce_implIS3_PKS6_PS6_PKiS6_N6hipcub16HIPCUB_304000_NS6detail27convert_result_type_wrapperISA_SB_N2at6native12_GLOBAL__N_19CustomMinEEEEE10hipError_tPvRmT0_T1_jT2_SS_T4_T3_P12ihipStream_tbEUlT_E_NS1_11comp_targetILNS1_3genE2ELNS1_11target_archE906ELNS1_3gpuE6ELNS1_3repE0EEENS1_30default_config_static_selectorELNS0_4arch9wavefront6targetE1EEEvSR_.uses_flat_scratch, 0
	.set _ZN7rocprim17ROCPRIM_400000_NS6detail17trampoline_kernelINS0_14default_configENS1_32segmented_reduce_config_selectorIN3c108BFloat16EEEZNS1_21segmented_reduce_implIS3_PKS6_PS6_PKiS6_N6hipcub16HIPCUB_304000_NS6detail27convert_result_type_wrapperISA_SB_N2at6native12_GLOBAL__N_19CustomMinEEEEE10hipError_tPvRmT0_T1_jT2_SS_T4_T3_P12ihipStream_tbEUlT_E_NS1_11comp_targetILNS1_3genE2ELNS1_11target_archE906ELNS1_3gpuE6ELNS1_3repE0EEENS1_30default_config_static_selectorELNS0_4arch9wavefront6targetE1EEEvSR_.has_dyn_sized_stack, 0
	.set _ZN7rocprim17ROCPRIM_400000_NS6detail17trampoline_kernelINS0_14default_configENS1_32segmented_reduce_config_selectorIN3c108BFloat16EEEZNS1_21segmented_reduce_implIS3_PKS6_PS6_PKiS6_N6hipcub16HIPCUB_304000_NS6detail27convert_result_type_wrapperISA_SB_N2at6native12_GLOBAL__N_19CustomMinEEEEE10hipError_tPvRmT0_T1_jT2_SS_T4_T3_P12ihipStream_tbEUlT_E_NS1_11comp_targetILNS1_3genE2ELNS1_11target_archE906ELNS1_3gpuE6ELNS1_3repE0EEENS1_30default_config_static_selectorELNS0_4arch9wavefront6targetE1EEEvSR_.has_recursion, 0
	.set _ZN7rocprim17ROCPRIM_400000_NS6detail17trampoline_kernelINS0_14default_configENS1_32segmented_reduce_config_selectorIN3c108BFloat16EEEZNS1_21segmented_reduce_implIS3_PKS6_PS6_PKiS6_N6hipcub16HIPCUB_304000_NS6detail27convert_result_type_wrapperISA_SB_N2at6native12_GLOBAL__N_19CustomMinEEEEE10hipError_tPvRmT0_T1_jT2_SS_T4_T3_P12ihipStream_tbEUlT_E_NS1_11comp_targetILNS1_3genE2ELNS1_11target_archE906ELNS1_3gpuE6ELNS1_3repE0EEENS1_30default_config_static_selectorELNS0_4arch9wavefront6targetE1EEEvSR_.has_indirect_call, 0
	.section	.AMDGPU.csdata,"",@progbits
; Kernel info:
; codeLenInByte = 7732
; TotalNumSgprs: 55
; NumVgprs: 24
; ScratchSize: 0
; MemoryBound: 0
; FloatMode: 240
; IeeeMode: 1
; LDSByteSize: 8 bytes/workgroup (compile time only)
; SGPRBlocks: 6
; VGPRBlocks: 5
; NumSGPRsForWavesPerEU: 55
; NumVGPRsForWavesPerEU: 24
; Occupancy: 10
; WaveLimiterHint : 1
; COMPUTE_PGM_RSRC2:SCRATCH_EN: 0
; COMPUTE_PGM_RSRC2:USER_SGPR: 6
; COMPUTE_PGM_RSRC2:TRAP_HANDLER: 0
; COMPUTE_PGM_RSRC2:TGID_X_EN: 1
; COMPUTE_PGM_RSRC2:TGID_Y_EN: 0
; COMPUTE_PGM_RSRC2:TGID_Z_EN: 0
; COMPUTE_PGM_RSRC2:TIDIG_COMP_CNT: 0
	.section	.text._ZN7rocprim17ROCPRIM_400000_NS6detail17trampoline_kernelINS0_14default_configENS1_32segmented_reduce_config_selectorIN3c108BFloat16EEEZNS1_21segmented_reduce_implIS3_PKS6_PS6_PKiS6_N6hipcub16HIPCUB_304000_NS6detail27convert_result_type_wrapperISA_SB_N2at6native12_GLOBAL__N_19CustomMinEEEEE10hipError_tPvRmT0_T1_jT2_SS_T4_T3_P12ihipStream_tbEUlT_E_NS1_11comp_targetILNS1_3genE9ELNS1_11target_archE1100ELNS1_3gpuE3ELNS1_3repE0EEENS1_30default_config_static_selectorELNS0_4arch9wavefront6targetE1EEEvSR_,"axG",@progbits,_ZN7rocprim17ROCPRIM_400000_NS6detail17trampoline_kernelINS0_14default_configENS1_32segmented_reduce_config_selectorIN3c108BFloat16EEEZNS1_21segmented_reduce_implIS3_PKS6_PS6_PKiS6_N6hipcub16HIPCUB_304000_NS6detail27convert_result_type_wrapperISA_SB_N2at6native12_GLOBAL__N_19CustomMinEEEEE10hipError_tPvRmT0_T1_jT2_SS_T4_T3_P12ihipStream_tbEUlT_E_NS1_11comp_targetILNS1_3genE9ELNS1_11target_archE1100ELNS1_3gpuE3ELNS1_3repE0EEENS1_30default_config_static_selectorELNS0_4arch9wavefront6targetE1EEEvSR_,comdat
	.globl	_ZN7rocprim17ROCPRIM_400000_NS6detail17trampoline_kernelINS0_14default_configENS1_32segmented_reduce_config_selectorIN3c108BFloat16EEEZNS1_21segmented_reduce_implIS3_PKS6_PS6_PKiS6_N6hipcub16HIPCUB_304000_NS6detail27convert_result_type_wrapperISA_SB_N2at6native12_GLOBAL__N_19CustomMinEEEEE10hipError_tPvRmT0_T1_jT2_SS_T4_T3_P12ihipStream_tbEUlT_E_NS1_11comp_targetILNS1_3genE9ELNS1_11target_archE1100ELNS1_3gpuE3ELNS1_3repE0EEENS1_30default_config_static_selectorELNS0_4arch9wavefront6targetE1EEEvSR_ ; -- Begin function _ZN7rocprim17ROCPRIM_400000_NS6detail17trampoline_kernelINS0_14default_configENS1_32segmented_reduce_config_selectorIN3c108BFloat16EEEZNS1_21segmented_reduce_implIS3_PKS6_PS6_PKiS6_N6hipcub16HIPCUB_304000_NS6detail27convert_result_type_wrapperISA_SB_N2at6native12_GLOBAL__N_19CustomMinEEEEE10hipError_tPvRmT0_T1_jT2_SS_T4_T3_P12ihipStream_tbEUlT_E_NS1_11comp_targetILNS1_3genE9ELNS1_11target_archE1100ELNS1_3gpuE3ELNS1_3repE0EEENS1_30default_config_static_selectorELNS0_4arch9wavefront6targetE1EEEvSR_
	.p2align	8
	.type	_ZN7rocprim17ROCPRIM_400000_NS6detail17trampoline_kernelINS0_14default_configENS1_32segmented_reduce_config_selectorIN3c108BFloat16EEEZNS1_21segmented_reduce_implIS3_PKS6_PS6_PKiS6_N6hipcub16HIPCUB_304000_NS6detail27convert_result_type_wrapperISA_SB_N2at6native12_GLOBAL__N_19CustomMinEEEEE10hipError_tPvRmT0_T1_jT2_SS_T4_T3_P12ihipStream_tbEUlT_E_NS1_11comp_targetILNS1_3genE9ELNS1_11target_archE1100ELNS1_3gpuE3ELNS1_3repE0EEENS1_30default_config_static_selectorELNS0_4arch9wavefront6targetE1EEEvSR_,@function
_ZN7rocprim17ROCPRIM_400000_NS6detail17trampoline_kernelINS0_14default_configENS1_32segmented_reduce_config_selectorIN3c108BFloat16EEEZNS1_21segmented_reduce_implIS3_PKS6_PS6_PKiS6_N6hipcub16HIPCUB_304000_NS6detail27convert_result_type_wrapperISA_SB_N2at6native12_GLOBAL__N_19CustomMinEEEEE10hipError_tPvRmT0_T1_jT2_SS_T4_T3_P12ihipStream_tbEUlT_E_NS1_11comp_targetILNS1_3genE9ELNS1_11target_archE1100ELNS1_3gpuE3ELNS1_3repE0EEENS1_30default_config_static_selectorELNS0_4arch9wavefront6targetE1EEEvSR_: ; @_ZN7rocprim17ROCPRIM_400000_NS6detail17trampoline_kernelINS0_14default_configENS1_32segmented_reduce_config_selectorIN3c108BFloat16EEEZNS1_21segmented_reduce_implIS3_PKS6_PS6_PKiS6_N6hipcub16HIPCUB_304000_NS6detail27convert_result_type_wrapperISA_SB_N2at6native12_GLOBAL__N_19CustomMinEEEEE10hipError_tPvRmT0_T1_jT2_SS_T4_T3_P12ihipStream_tbEUlT_E_NS1_11comp_targetILNS1_3genE9ELNS1_11target_archE1100ELNS1_3gpuE3ELNS1_3repE0EEENS1_30default_config_static_selectorELNS0_4arch9wavefront6targetE1EEEvSR_
; %bb.0:
	.section	.rodata,"a",@progbits
	.p2align	6, 0x0
	.amdhsa_kernel _ZN7rocprim17ROCPRIM_400000_NS6detail17trampoline_kernelINS0_14default_configENS1_32segmented_reduce_config_selectorIN3c108BFloat16EEEZNS1_21segmented_reduce_implIS3_PKS6_PS6_PKiS6_N6hipcub16HIPCUB_304000_NS6detail27convert_result_type_wrapperISA_SB_N2at6native12_GLOBAL__N_19CustomMinEEEEE10hipError_tPvRmT0_T1_jT2_SS_T4_T3_P12ihipStream_tbEUlT_E_NS1_11comp_targetILNS1_3genE9ELNS1_11target_archE1100ELNS1_3gpuE3ELNS1_3repE0EEENS1_30default_config_static_selectorELNS0_4arch9wavefront6targetE1EEEvSR_
		.amdhsa_group_segment_fixed_size 0
		.amdhsa_private_segment_fixed_size 0
		.amdhsa_kernarg_size 48
		.amdhsa_user_sgpr_count 6
		.amdhsa_user_sgpr_private_segment_buffer 1
		.amdhsa_user_sgpr_dispatch_ptr 0
		.amdhsa_user_sgpr_queue_ptr 0
		.amdhsa_user_sgpr_kernarg_segment_ptr 1
		.amdhsa_user_sgpr_dispatch_id 0
		.amdhsa_user_sgpr_flat_scratch_init 0
		.amdhsa_user_sgpr_private_segment_size 0
		.amdhsa_uses_dynamic_stack 0
		.amdhsa_system_sgpr_private_segment_wavefront_offset 0
		.amdhsa_system_sgpr_workgroup_id_x 1
		.amdhsa_system_sgpr_workgroup_id_y 0
		.amdhsa_system_sgpr_workgroup_id_z 0
		.amdhsa_system_sgpr_workgroup_info 0
		.amdhsa_system_vgpr_workitem_id 0
		.amdhsa_next_free_vgpr 1
		.amdhsa_next_free_sgpr 0
		.amdhsa_reserve_vcc 0
		.amdhsa_reserve_flat_scratch 0
		.amdhsa_float_round_mode_32 0
		.amdhsa_float_round_mode_16_64 0
		.amdhsa_float_denorm_mode_32 3
		.amdhsa_float_denorm_mode_16_64 3
		.amdhsa_dx10_clamp 1
		.amdhsa_ieee_mode 1
		.amdhsa_fp16_overflow 0
		.amdhsa_exception_fp_ieee_invalid_op 0
		.amdhsa_exception_fp_denorm_src 0
		.amdhsa_exception_fp_ieee_div_zero 0
		.amdhsa_exception_fp_ieee_overflow 0
		.amdhsa_exception_fp_ieee_underflow 0
		.amdhsa_exception_fp_ieee_inexact 0
		.amdhsa_exception_int_div_zero 0
	.end_amdhsa_kernel
	.section	.text._ZN7rocprim17ROCPRIM_400000_NS6detail17trampoline_kernelINS0_14default_configENS1_32segmented_reduce_config_selectorIN3c108BFloat16EEEZNS1_21segmented_reduce_implIS3_PKS6_PS6_PKiS6_N6hipcub16HIPCUB_304000_NS6detail27convert_result_type_wrapperISA_SB_N2at6native12_GLOBAL__N_19CustomMinEEEEE10hipError_tPvRmT0_T1_jT2_SS_T4_T3_P12ihipStream_tbEUlT_E_NS1_11comp_targetILNS1_3genE9ELNS1_11target_archE1100ELNS1_3gpuE3ELNS1_3repE0EEENS1_30default_config_static_selectorELNS0_4arch9wavefront6targetE1EEEvSR_,"axG",@progbits,_ZN7rocprim17ROCPRIM_400000_NS6detail17trampoline_kernelINS0_14default_configENS1_32segmented_reduce_config_selectorIN3c108BFloat16EEEZNS1_21segmented_reduce_implIS3_PKS6_PS6_PKiS6_N6hipcub16HIPCUB_304000_NS6detail27convert_result_type_wrapperISA_SB_N2at6native12_GLOBAL__N_19CustomMinEEEEE10hipError_tPvRmT0_T1_jT2_SS_T4_T3_P12ihipStream_tbEUlT_E_NS1_11comp_targetILNS1_3genE9ELNS1_11target_archE1100ELNS1_3gpuE3ELNS1_3repE0EEENS1_30default_config_static_selectorELNS0_4arch9wavefront6targetE1EEEvSR_,comdat
.Lfunc_end134:
	.size	_ZN7rocprim17ROCPRIM_400000_NS6detail17trampoline_kernelINS0_14default_configENS1_32segmented_reduce_config_selectorIN3c108BFloat16EEEZNS1_21segmented_reduce_implIS3_PKS6_PS6_PKiS6_N6hipcub16HIPCUB_304000_NS6detail27convert_result_type_wrapperISA_SB_N2at6native12_GLOBAL__N_19CustomMinEEEEE10hipError_tPvRmT0_T1_jT2_SS_T4_T3_P12ihipStream_tbEUlT_E_NS1_11comp_targetILNS1_3genE9ELNS1_11target_archE1100ELNS1_3gpuE3ELNS1_3repE0EEENS1_30default_config_static_selectorELNS0_4arch9wavefront6targetE1EEEvSR_, .Lfunc_end134-_ZN7rocprim17ROCPRIM_400000_NS6detail17trampoline_kernelINS0_14default_configENS1_32segmented_reduce_config_selectorIN3c108BFloat16EEEZNS1_21segmented_reduce_implIS3_PKS6_PS6_PKiS6_N6hipcub16HIPCUB_304000_NS6detail27convert_result_type_wrapperISA_SB_N2at6native12_GLOBAL__N_19CustomMinEEEEE10hipError_tPvRmT0_T1_jT2_SS_T4_T3_P12ihipStream_tbEUlT_E_NS1_11comp_targetILNS1_3genE9ELNS1_11target_archE1100ELNS1_3gpuE3ELNS1_3repE0EEENS1_30default_config_static_selectorELNS0_4arch9wavefront6targetE1EEEvSR_
                                        ; -- End function
	.set _ZN7rocprim17ROCPRIM_400000_NS6detail17trampoline_kernelINS0_14default_configENS1_32segmented_reduce_config_selectorIN3c108BFloat16EEEZNS1_21segmented_reduce_implIS3_PKS6_PS6_PKiS6_N6hipcub16HIPCUB_304000_NS6detail27convert_result_type_wrapperISA_SB_N2at6native12_GLOBAL__N_19CustomMinEEEEE10hipError_tPvRmT0_T1_jT2_SS_T4_T3_P12ihipStream_tbEUlT_E_NS1_11comp_targetILNS1_3genE9ELNS1_11target_archE1100ELNS1_3gpuE3ELNS1_3repE0EEENS1_30default_config_static_selectorELNS0_4arch9wavefront6targetE1EEEvSR_.num_vgpr, 0
	.set _ZN7rocprim17ROCPRIM_400000_NS6detail17trampoline_kernelINS0_14default_configENS1_32segmented_reduce_config_selectorIN3c108BFloat16EEEZNS1_21segmented_reduce_implIS3_PKS6_PS6_PKiS6_N6hipcub16HIPCUB_304000_NS6detail27convert_result_type_wrapperISA_SB_N2at6native12_GLOBAL__N_19CustomMinEEEEE10hipError_tPvRmT0_T1_jT2_SS_T4_T3_P12ihipStream_tbEUlT_E_NS1_11comp_targetILNS1_3genE9ELNS1_11target_archE1100ELNS1_3gpuE3ELNS1_3repE0EEENS1_30default_config_static_selectorELNS0_4arch9wavefront6targetE1EEEvSR_.num_agpr, 0
	.set _ZN7rocprim17ROCPRIM_400000_NS6detail17trampoline_kernelINS0_14default_configENS1_32segmented_reduce_config_selectorIN3c108BFloat16EEEZNS1_21segmented_reduce_implIS3_PKS6_PS6_PKiS6_N6hipcub16HIPCUB_304000_NS6detail27convert_result_type_wrapperISA_SB_N2at6native12_GLOBAL__N_19CustomMinEEEEE10hipError_tPvRmT0_T1_jT2_SS_T4_T3_P12ihipStream_tbEUlT_E_NS1_11comp_targetILNS1_3genE9ELNS1_11target_archE1100ELNS1_3gpuE3ELNS1_3repE0EEENS1_30default_config_static_selectorELNS0_4arch9wavefront6targetE1EEEvSR_.numbered_sgpr, 0
	.set _ZN7rocprim17ROCPRIM_400000_NS6detail17trampoline_kernelINS0_14default_configENS1_32segmented_reduce_config_selectorIN3c108BFloat16EEEZNS1_21segmented_reduce_implIS3_PKS6_PS6_PKiS6_N6hipcub16HIPCUB_304000_NS6detail27convert_result_type_wrapperISA_SB_N2at6native12_GLOBAL__N_19CustomMinEEEEE10hipError_tPvRmT0_T1_jT2_SS_T4_T3_P12ihipStream_tbEUlT_E_NS1_11comp_targetILNS1_3genE9ELNS1_11target_archE1100ELNS1_3gpuE3ELNS1_3repE0EEENS1_30default_config_static_selectorELNS0_4arch9wavefront6targetE1EEEvSR_.num_named_barrier, 0
	.set _ZN7rocprim17ROCPRIM_400000_NS6detail17trampoline_kernelINS0_14default_configENS1_32segmented_reduce_config_selectorIN3c108BFloat16EEEZNS1_21segmented_reduce_implIS3_PKS6_PS6_PKiS6_N6hipcub16HIPCUB_304000_NS6detail27convert_result_type_wrapperISA_SB_N2at6native12_GLOBAL__N_19CustomMinEEEEE10hipError_tPvRmT0_T1_jT2_SS_T4_T3_P12ihipStream_tbEUlT_E_NS1_11comp_targetILNS1_3genE9ELNS1_11target_archE1100ELNS1_3gpuE3ELNS1_3repE0EEENS1_30default_config_static_selectorELNS0_4arch9wavefront6targetE1EEEvSR_.private_seg_size, 0
	.set _ZN7rocprim17ROCPRIM_400000_NS6detail17trampoline_kernelINS0_14default_configENS1_32segmented_reduce_config_selectorIN3c108BFloat16EEEZNS1_21segmented_reduce_implIS3_PKS6_PS6_PKiS6_N6hipcub16HIPCUB_304000_NS6detail27convert_result_type_wrapperISA_SB_N2at6native12_GLOBAL__N_19CustomMinEEEEE10hipError_tPvRmT0_T1_jT2_SS_T4_T3_P12ihipStream_tbEUlT_E_NS1_11comp_targetILNS1_3genE9ELNS1_11target_archE1100ELNS1_3gpuE3ELNS1_3repE0EEENS1_30default_config_static_selectorELNS0_4arch9wavefront6targetE1EEEvSR_.uses_vcc, 0
	.set _ZN7rocprim17ROCPRIM_400000_NS6detail17trampoline_kernelINS0_14default_configENS1_32segmented_reduce_config_selectorIN3c108BFloat16EEEZNS1_21segmented_reduce_implIS3_PKS6_PS6_PKiS6_N6hipcub16HIPCUB_304000_NS6detail27convert_result_type_wrapperISA_SB_N2at6native12_GLOBAL__N_19CustomMinEEEEE10hipError_tPvRmT0_T1_jT2_SS_T4_T3_P12ihipStream_tbEUlT_E_NS1_11comp_targetILNS1_3genE9ELNS1_11target_archE1100ELNS1_3gpuE3ELNS1_3repE0EEENS1_30default_config_static_selectorELNS0_4arch9wavefront6targetE1EEEvSR_.uses_flat_scratch, 0
	.set _ZN7rocprim17ROCPRIM_400000_NS6detail17trampoline_kernelINS0_14default_configENS1_32segmented_reduce_config_selectorIN3c108BFloat16EEEZNS1_21segmented_reduce_implIS3_PKS6_PS6_PKiS6_N6hipcub16HIPCUB_304000_NS6detail27convert_result_type_wrapperISA_SB_N2at6native12_GLOBAL__N_19CustomMinEEEEE10hipError_tPvRmT0_T1_jT2_SS_T4_T3_P12ihipStream_tbEUlT_E_NS1_11comp_targetILNS1_3genE9ELNS1_11target_archE1100ELNS1_3gpuE3ELNS1_3repE0EEENS1_30default_config_static_selectorELNS0_4arch9wavefront6targetE1EEEvSR_.has_dyn_sized_stack, 0
	.set _ZN7rocprim17ROCPRIM_400000_NS6detail17trampoline_kernelINS0_14default_configENS1_32segmented_reduce_config_selectorIN3c108BFloat16EEEZNS1_21segmented_reduce_implIS3_PKS6_PS6_PKiS6_N6hipcub16HIPCUB_304000_NS6detail27convert_result_type_wrapperISA_SB_N2at6native12_GLOBAL__N_19CustomMinEEEEE10hipError_tPvRmT0_T1_jT2_SS_T4_T3_P12ihipStream_tbEUlT_E_NS1_11comp_targetILNS1_3genE9ELNS1_11target_archE1100ELNS1_3gpuE3ELNS1_3repE0EEENS1_30default_config_static_selectorELNS0_4arch9wavefront6targetE1EEEvSR_.has_recursion, 0
	.set _ZN7rocprim17ROCPRIM_400000_NS6detail17trampoline_kernelINS0_14default_configENS1_32segmented_reduce_config_selectorIN3c108BFloat16EEEZNS1_21segmented_reduce_implIS3_PKS6_PS6_PKiS6_N6hipcub16HIPCUB_304000_NS6detail27convert_result_type_wrapperISA_SB_N2at6native12_GLOBAL__N_19CustomMinEEEEE10hipError_tPvRmT0_T1_jT2_SS_T4_T3_P12ihipStream_tbEUlT_E_NS1_11comp_targetILNS1_3genE9ELNS1_11target_archE1100ELNS1_3gpuE3ELNS1_3repE0EEENS1_30default_config_static_selectorELNS0_4arch9wavefront6targetE1EEEvSR_.has_indirect_call, 0
	.section	.AMDGPU.csdata,"",@progbits
; Kernel info:
; codeLenInByte = 0
; TotalNumSgprs: 4
; NumVgprs: 0
; ScratchSize: 0
; MemoryBound: 0
; FloatMode: 240
; IeeeMode: 1
; LDSByteSize: 0 bytes/workgroup (compile time only)
; SGPRBlocks: 0
; VGPRBlocks: 0
; NumSGPRsForWavesPerEU: 4
; NumVGPRsForWavesPerEU: 1
; Occupancy: 10
; WaveLimiterHint : 0
; COMPUTE_PGM_RSRC2:SCRATCH_EN: 0
; COMPUTE_PGM_RSRC2:USER_SGPR: 6
; COMPUTE_PGM_RSRC2:TRAP_HANDLER: 0
; COMPUTE_PGM_RSRC2:TGID_X_EN: 1
; COMPUTE_PGM_RSRC2:TGID_Y_EN: 0
; COMPUTE_PGM_RSRC2:TGID_Z_EN: 0
; COMPUTE_PGM_RSRC2:TIDIG_COMP_CNT: 0
	.section	.text._ZN7rocprim17ROCPRIM_400000_NS6detail17trampoline_kernelINS0_14default_configENS1_32segmented_reduce_config_selectorIN3c108BFloat16EEEZNS1_21segmented_reduce_implIS3_PKS6_PS6_PKiS6_N6hipcub16HIPCUB_304000_NS6detail27convert_result_type_wrapperISA_SB_N2at6native12_GLOBAL__N_19CustomMinEEEEE10hipError_tPvRmT0_T1_jT2_SS_T4_T3_P12ihipStream_tbEUlT_E_NS1_11comp_targetILNS1_3genE8ELNS1_11target_archE1030ELNS1_3gpuE2ELNS1_3repE0EEENS1_30default_config_static_selectorELNS0_4arch9wavefront6targetE1EEEvSR_,"axG",@progbits,_ZN7rocprim17ROCPRIM_400000_NS6detail17trampoline_kernelINS0_14default_configENS1_32segmented_reduce_config_selectorIN3c108BFloat16EEEZNS1_21segmented_reduce_implIS3_PKS6_PS6_PKiS6_N6hipcub16HIPCUB_304000_NS6detail27convert_result_type_wrapperISA_SB_N2at6native12_GLOBAL__N_19CustomMinEEEEE10hipError_tPvRmT0_T1_jT2_SS_T4_T3_P12ihipStream_tbEUlT_E_NS1_11comp_targetILNS1_3genE8ELNS1_11target_archE1030ELNS1_3gpuE2ELNS1_3repE0EEENS1_30default_config_static_selectorELNS0_4arch9wavefront6targetE1EEEvSR_,comdat
	.globl	_ZN7rocprim17ROCPRIM_400000_NS6detail17trampoline_kernelINS0_14default_configENS1_32segmented_reduce_config_selectorIN3c108BFloat16EEEZNS1_21segmented_reduce_implIS3_PKS6_PS6_PKiS6_N6hipcub16HIPCUB_304000_NS6detail27convert_result_type_wrapperISA_SB_N2at6native12_GLOBAL__N_19CustomMinEEEEE10hipError_tPvRmT0_T1_jT2_SS_T4_T3_P12ihipStream_tbEUlT_E_NS1_11comp_targetILNS1_3genE8ELNS1_11target_archE1030ELNS1_3gpuE2ELNS1_3repE0EEENS1_30default_config_static_selectorELNS0_4arch9wavefront6targetE1EEEvSR_ ; -- Begin function _ZN7rocprim17ROCPRIM_400000_NS6detail17trampoline_kernelINS0_14default_configENS1_32segmented_reduce_config_selectorIN3c108BFloat16EEEZNS1_21segmented_reduce_implIS3_PKS6_PS6_PKiS6_N6hipcub16HIPCUB_304000_NS6detail27convert_result_type_wrapperISA_SB_N2at6native12_GLOBAL__N_19CustomMinEEEEE10hipError_tPvRmT0_T1_jT2_SS_T4_T3_P12ihipStream_tbEUlT_E_NS1_11comp_targetILNS1_3genE8ELNS1_11target_archE1030ELNS1_3gpuE2ELNS1_3repE0EEENS1_30default_config_static_selectorELNS0_4arch9wavefront6targetE1EEEvSR_
	.p2align	8
	.type	_ZN7rocprim17ROCPRIM_400000_NS6detail17trampoline_kernelINS0_14default_configENS1_32segmented_reduce_config_selectorIN3c108BFloat16EEEZNS1_21segmented_reduce_implIS3_PKS6_PS6_PKiS6_N6hipcub16HIPCUB_304000_NS6detail27convert_result_type_wrapperISA_SB_N2at6native12_GLOBAL__N_19CustomMinEEEEE10hipError_tPvRmT0_T1_jT2_SS_T4_T3_P12ihipStream_tbEUlT_E_NS1_11comp_targetILNS1_3genE8ELNS1_11target_archE1030ELNS1_3gpuE2ELNS1_3repE0EEENS1_30default_config_static_selectorELNS0_4arch9wavefront6targetE1EEEvSR_,@function
_ZN7rocprim17ROCPRIM_400000_NS6detail17trampoline_kernelINS0_14default_configENS1_32segmented_reduce_config_selectorIN3c108BFloat16EEEZNS1_21segmented_reduce_implIS3_PKS6_PS6_PKiS6_N6hipcub16HIPCUB_304000_NS6detail27convert_result_type_wrapperISA_SB_N2at6native12_GLOBAL__N_19CustomMinEEEEE10hipError_tPvRmT0_T1_jT2_SS_T4_T3_P12ihipStream_tbEUlT_E_NS1_11comp_targetILNS1_3genE8ELNS1_11target_archE1030ELNS1_3gpuE2ELNS1_3repE0EEENS1_30default_config_static_selectorELNS0_4arch9wavefront6targetE1EEEvSR_: ; @_ZN7rocprim17ROCPRIM_400000_NS6detail17trampoline_kernelINS0_14default_configENS1_32segmented_reduce_config_selectorIN3c108BFloat16EEEZNS1_21segmented_reduce_implIS3_PKS6_PS6_PKiS6_N6hipcub16HIPCUB_304000_NS6detail27convert_result_type_wrapperISA_SB_N2at6native12_GLOBAL__N_19CustomMinEEEEE10hipError_tPvRmT0_T1_jT2_SS_T4_T3_P12ihipStream_tbEUlT_E_NS1_11comp_targetILNS1_3genE8ELNS1_11target_archE1030ELNS1_3gpuE2ELNS1_3repE0EEENS1_30default_config_static_selectorELNS0_4arch9wavefront6targetE1EEEvSR_
; %bb.0:
	.section	.rodata,"a",@progbits
	.p2align	6, 0x0
	.amdhsa_kernel _ZN7rocprim17ROCPRIM_400000_NS6detail17trampoline_kernelINS0_14default_configENS1_32segmented_reduce_config_selectorIN3c108BFloat16EEEZNS1_21segmented_reduce_implIS3_PKS6_PS6_PKiS6_N6hipcub16HIPCUB_304000_NS6detail27convert_result_type_wrapperISA_SB_N2at6native12_GLOBAL__N_19CustomMinEEEEE10hipError_tPvRmT0_T1_jT2_SS_T4_T3_P12ihipStream_tbEUlT_E_NS1_11comp_targetILNS1_3genE8ELNS1_11target_archE1030ELNS1_3gpuE2ELNS1_3repE0EEENS1_30default_config_static_selectorELNS0_4arch9wavefront6targetE1EEEvSR_
		.amdhsa_group_segment_fixed_size 0
		.amdhsa_private_segment_fixed_size 0
		.amdhsa_kernarg_size 48
		.amdhsa_user_sgpr_count 6
		.amdhsa_user_sgpr_private_segment_buffer 1
		.amdhsa_user_sgpr_dispatch_ptr 0
		.amdhsa_user_sgpr_queue_ptr 0
		.amdhsa_user_sgpr_kernarg_segment_ptr 1
		.amdhsa_user_sgpr_dispatch_id 0
		.amdhsa_user_sgpr_flat_scratch_init 0
		.amdhsa_user_sgpr_private_segment_size 0
		.amdhsa_uses_dynamic_stack 0
		.amdhsa_system_sgpr_private_segment_wavefront_offset 0
		.amdhsa_system_sgpr_workgroup_id_x 1
		.amdhsa_system_sgpr_workgroup_id_y 0
		.amdhsa_system_sgpr_workgroup_id_z 0
		.amdhsa_system_sgpr_workgroup_info 0
		.amdhsa_system_vgpr_workitem_id 0
		.amdhsa_next_free_vgpr 1
		.amdhsa_next_free_sgpr 0
		.amdhsa_reserve_vcc 0
		.amdhsa_reserve_flat_scratch 0
		.amdhsa_float_round_mode_32 0
		.amdhsa_float_round_mode_16_64 0
		.amdhsa_float_denorm_mode_32 3
		.amdhsa_float_denorm_mode_16_64 3
		.amdhsa_dx10_clamp 1
		.amdhsa_ieee_mode 1
		.amdhsa_fp16_overflow 0
		.amdhsa_exception_fp_ieee_invalid_op 0
		.amdhsa_exception_fp_denorm_src 0
		.amdhsa_exception_fp_ieee_div_zero 0
		.amdhsa_exception_fp_ieee_overflow 0
		.amdhsa_exception_fp_ieee_underflow 0
		.amdhsa_exception_fp_ieee_inexact 0
		.amdhsa_exception_int_div_zero 0
	.end_amdhsa_kernel
	.section	.text._ZN7rocprim17ROCPRIM_400000_NS6detail17trampoline_kernelINS0_14default_configENS1_32segmented_reduce_config_selectorIN3c108BFloat16EEEZNS1_21segmented_reduce_implIS3_PKS6_PS6_PKiS6_N6hipcub16HIPCUB_304000_NS6detail27convert_result_type_wrapperISA_SB_N2at6native12_GLOBAL__N_19CustomMinEEEEE10hipError_tPvRmT0_T1_jT2_SS_T4_T3_P12ihipStream_tbEUlT_E_NS1_11comp_targetILNS1_3genE8ELNS1_11target_archE1030ELNS1_3gpuE2ELNS1_3repE0EEENS1_30default_config_static_selectorELNS0_4arch9wavefront6targetE1EEEvSR_,"axG",@progbits,_ZN7rocprim17ROCPRIM_400000_NS6detail17trampoline_kernelINS0_14default_configENS1_32segmented_reduce_config_selectorIN3c108BFloat16EEEZNS1_21segmented_reduce_implIS3_PKS6_PS6_PKiS6_N6hipcub16HIPCUB_304000_NS6detail27convert_result_type_wrapperISA_SB_N2at6native12_GLOBAL__N_19CustomMinEEEEE10hipError_tPvRmT0_T1_jT2_SS_T4_T3_P12ihipStream_tbEUlT_E_NS1_11comp_targetILNS1_3genE8ELNS1_11target_archE1030ELNS1_3gpuE2ELNS1_3repE0EEENS1_30default_config_static_selectorELNS0_4arch9wavefront6targetE1EEEvSR_,comdat
.Lfunc_end135:
	.size	_ZN7rocprim17ROCPRIM_400000_NS6detail17trampoline_kernelINS0_14default_configENS1_32segmented_reduce_config_selectorIN3c108BFloat16EEEZNS1_21segmented_reduce_implIS3_PKS6_PS6_PKiS6_N6hipcub16HIPCUB_304000_NS6detail27convert_result_type_wrapperISA_SB_N2at6native12_GLOBAL__N_19CustomMinEEEEE10hipError_tPvRmT0_T1_jT2_SS_T4_T3_P12ihipStream_tbEUlT_E_NS1_11comp_targetILNS1_3genE8ELNS1_11target_archE1030ELNS1_3gpuE2ELNS1_3repE0EEENS1_30default_config_static_selectorELNS0_4arch9wavefront6targetE1EEEvSR_, .Lfunc_end135-_ZN7rocprim17ROCPRIM_400000_NS6detail17trampoline_kernelINS0_14default_configENS1_32segmented_reduce_config_selectorIN3c108BFloat16EEEZNS1_21segmented_reduce_implIS3_PKS6_PS6_PKiS6_N6hipcub16HIPCUB_304000_NS6detail27convert_result_type_wrapperISA_SB_N2at6native12_GLOBAL__N_19CustomMinEEEEE10hipError_tPvRmT0_T1_jT2_SS_T4_T3_P12ihipStream_tbEUlT_E_NS1_11comp_targetILNS1_3genE8ELNS1_11target_archE1030ELNS1_3gpuE2ELNS1_3repE0EEENS1_30default_config_static_selectorELNS0_4arch9wavefront6targetE1EEEvSR_
                                        ; -- End function
	.set _ZN7rocprim17ROCPRIM_400000_NS6detail17trampoline_kernelINS0_14default_configENS1_32segmented_reduce_config_selectorIN3c108BFloat16EEEZNS1_21segmented_reduce_implIS3_PKS6_PS6_PKiS6_N6hipcub16HIPCUB_304000_NS6detail27convert_result_type_wrapperISA_SB_N2at6native12_GLOBAL__N_19CustomMinEEEEE10hipError_tPvRmT0_T1_jT2_SS_T4_T3_P12ihipStream_tbEUlT_E_NS1_11comp_targetILNS1_3genE8ELNS1_11target_archE1030ELNS1_3gpuE2ELNS1_3repE0EEENS1_30default_config_static_selectorELNS0_4arch9wavefront6targetE1EEEvSR_.num_vgpr, 0
	.set _ZN7rocprim17ROCPRIM_400000_NS6detail17trampoline_kernelINS0_14default_configENS1_32segmented_reduce_config_selectorIN3c108BFloat16EEEZNS1_21segmented_reduce_implIS3_PKS6_PS6_PKiS6_N6hipcub16HIPCUB_304000_NS6detail27convert_result_type_wrapperISA_SB_N2at6native12_GLOBAL__N_19CustomMinEEEEE10hipError_tPvRmT0_T1_jT2_SS_T4_T3_P12ihipStream_tbEUlT_E_NS1_11comp_targetILNS1_3genE8ELNS1_11target_archE1030ELNS1_3gpuE2ELNS1_3repE0EEENS1_30default_config_static_selectorELNS0_4arch9wavefront6targetE1EEEvSR_.num_agpr, 0
	.set _ZN7rocprim17ROCPRIM_400000_NS6detail17trampoline_kernelINS0_14default_configENS1_32segmented_reduce_config_selectorIN3c108BFloat16EEEZNS1_21segmented_reduce_implIS3_PKS6_PS6_PKiS6_N6hipcub16HIPCUB_304000_NS6detail27convert_result_type_wrapperISA_SB_N2at6native12_GLOBAL__N_19CustomMinEEEEE10hipError_tPvRmT0_T1_jT2_SS_T4_T3_P12ihipStream_tbEUlT_E_NS1_11comp_targetILNS1_3genE8ELNS1_11target_archE1030ELNS1_3gpuE2ELNS1_3repE0EEENS1_30default_config_static_selectorELNS0_4arch9wavefront6targetE1EEEvSR_.numbered_sgpr, 0
	.set _ZN7rocprim17ROCPRIM_400000_NS6detail17trampoline_kernelINS0_14default_configENS1_32segmented_reduce_config_selectorIN3c108BFloat16EEEZNS1_21segmented_reduce_implIS3_PKS6_PS6_PKiS6_N6hipcub16HIPCUB_304000_NS6detail27convert_result_type_wrapperISA_SB_N2at6native12_GLOBAL__N_19CustomMinEEEEE10hipError_tPvRmT0_T1_jT2_SS_T4_T3_P12ihipStream_tbEUlT_E_NS1_11comp_targetILNS1_3genE8ELNS1_11target_archE1030ELNS1_3gpuE2ELNS1_3repE0EEENS1_30default_config_static_selectorELNS0_4arch9wavefront6targetE1EEEvSR_.num_named_barrier, 0
	.set _ZN7rocprim17ROCPRIM_400000_NS6detail17trampoline_kernelINS0_14default_configENS1_32segmented_reduce_config_selectorIN3c108BFloat16EEEZNS1_21segmented_reduce_implIS3_PKS6_PS6_PKiS6_N6hipcub16HIPCUB_304000_NS6detail27convert_result_type_wrapperISA_SB_N2at6native12_GLOBAL__N_19CustomMinEEEEE10hipError_tPvRmT0_T1_jT2_SS_T4_T3_P12ihipStream_tbEUlT_E_NS1_11comp_targetILNS1_3genE8ELNS1_11target_archE1030ELNS1_3gpuE2ELNS1_3repE0EEENS1_30default_config_static_selectorELNS0_4arch9wavefront6targetE1EEEvSR_.private_seg_size, 0
	.set _ZN7rocprim17ROCPRIM_400000_NS6detail17trampoline_kernelINS0_14default_configENS1_32segmented_reduce_config_selectorIN3c108BFloat16EEEZNS1_21segmented_reduce_implIS3_PKS6_PS6_PKiS6_N6hipcub16HIPCUB_304000_NS6detail27convert_result_type_wrapperISA_SB_N2at6native12_GLOBAL__N_19CustomMinEEEEE10hipError_tPvRmT0_T1_jT2_SS_T4_T3_P12ihipStream_tbEUlT_E_NS1_11comp_targetILNS1_3genE8ELNS1_11target_archE1030ELNS1_3gpuE2ELNS1_3repE0EEENS1_30default_config_static_selectorELNS0_4arch9wavefront6targetE1EEEvSR_.uses_vcc, 0
	.set _ZN7rocprim17ROCPRIM_400000_NS6detail17trampoline_kernelINS0_14default_configENS1_32segmented_reduce_config_selectorIN3c108BFloat16EEEZNS1_21segmented_reduce_implIS3_PKS6_PS6_PKiS6_N6hipcub16HIPCUB_304000_NS6detail27convert_result_type_wrapperISA_SB_N2at6native12_GLOBAL__N_19CustomMinEEEEE10hipError_tPvRmT0_T1_jT2_SS_T4_T3_P12ihipStream_tbEUlT_E_NS1_11comp_targetILNS1_3genE8ELNS1_11target_archE1030ELNS1_3gpuE2ELNS1_3repE0EEENS1_30default_config_static_selectorELNS0_4arch9wavefront6targetE1EEEvSR_.uses_flat_scratch, 0
	.set _ZN7rocprim17ROCPRIM_400000_NS6detail17trampoline_kernelINS0_14default_configENS1_32segmented_reduce_config_selectorIN3c108BFloat16EEEZNS1_21segmented_reduce_implIS3_PKS6_PS6_PKiS6_N6hipcub16HIPCUB_304000_NS6detail27convert_result_type_wrapperISA_SB_N2at6native12_GLOBAL__N_19CustomMinEEEEE10hipError_tPvRmT0_T1_jT2_SS_T4_T3_P12ihipStream_tbEUlT_E_NS1_11comp_targetILNS1_3genE8ELNS1_11target_archE1030ELNS1_3gpuE2ELNS1_3repE0EEENS1_30default_config_static_selectorELNS0_4arch9wavefront6targetE1EEEvSR_.has_dyn_sized_stack, 0
	.set _ZN7rocprim17ROCPRIM_400000_NS6detail17trampoline_kernelINS0_14default_configENS1_32segmented_reduce_config_selectorIN3c108BFloat16EEEZNS1_21segmented_reduce_implIS3_PKS6_PS6_PKiS6_N6hipcub16HIPCUB_304000_NS6detail27convert_result_type_wrapperISA_SB_N2at6native12_GLOBAL__N_19CustomMinEEEEE10hipError_tPvRmT0_T1_jT2_SS_T4_T3_P12ihipStream_tbEUlT_E_NS1_11comp_targetILNS1_3genE8ELNS1_11target_archE1030ELNS1_3gpuE2ELNS1_3repE0EEENS1_30default_config_static_selectorELNS0_4arch9wavefront6targetE1EEEvSR_.has_recursion, 0
	.set _ZN7rocprim17ROCPRIM_400000_NS6detail17trampoline_kernelINS0_14default_configENS1_32segmented_reduce_config_selectorIN3c108BFloat16EEEZNS1_21segmented_reduce_implIS3_PKS6_PS6_PKiS6_N6hipcub16HIPCUB_304000_NS6detail27convert_result_type_wrapperISA_SB_N2at6native12_GLOBAL__N_19CustomMinEEEEE10hipError_tPvRmT0_T1_jT2_SS_T4_T3_P12ihipStream_tbEUlT_E_NS1_11comp_targetILNS1_3genE8ELNS1_11target_archE1030ELNS1_3gpuE2ELNS1_3repE0EEENS1_30default_config_static_selectorELNS0_4arch9wavefront6targetE1EEEvSR_.has_indirect_call, 0
	.section	.AMDGPU.csdata,"",@progbits
; Kernel info:
; codeLenInByte = 0
; TotalNumSgprs: 4
; NumVgprs: 0
; ScratchSize: 0
; MemoryBound: 0
; FloatMode: 240
; IeeeMode: 1
; LDSByteSize: 0 bytes/workgroup (compile time only)
; SGPRBlocks: 0
; VGPRBlocks: 0
; NumSGPRsForWavesPerEU: 4
; NumVGPRsForWavesPerEU: 1
; Occupancy: 10
; WaveLimiterHint : 0
; COMPUTE_PGM_RSRC2:SCRATCH_EN: 0
; COMPUTE_PGM_RSRC2:USER_SGPR: 6
; COMPUTE_PGM_RSRC2:TRAP_HANDLER: 0
; COMPUTE_PGM_RSRC2:TGID_X_EN: 1
; COMPUTE_PGM_RSRC2:TGID_Y_EN: 0
; COMPUTE_PGM_RSRC2:TGID_Z_EN: 0
; COMPUTE_PGM_RSRC2:TIDIG_COMP_CNT: 0
	.section	.text._ZN7rocprim17ROCPRIM_400000_NS6detail17trampoline_kernelINS0_14default_configENS1_32segmented_reduce_config_selectorIN3c108BFloat16EEEZNS1_21segmented_reduce_implIS3_PKS6_PS6_PKiS6_N6hipcub16HIPCUB_304000_NS6detail27convert_result_type_wrapperISA_SB_N2at6native12_GLOBAL__N_110CustomProdEEEEE10hipError_tPvRmT0_T1_jT2_SS_T4_T3_P12ihipStream_tbEUlT_E_NS1_11comp_targetILNS1_3genE0ELNS1_11target_archE4294967295ELNS1_3gpuE0ELNS1_3repE0EEENS1_30default_config_static_selectorELNS0_4arch9wavefront6targetE1EEEvSR_,"axG",@progbits,_ZN7rocprim17ROCPRIM_400000_NS6detail17trampoline_kernelINS0_14default_configENS1_32segmented_reduce_config_selectorIN3c108BFloat16EEEZNS1_21segmented_reduce_implIS3_PKS6_PS6_PKiS6_N6hipcub16HIPCUB_304000_NS6detail27convert_result_type_wrapperISA_SB_N2at6native12_GLOBAL__N_110CustomProdEEEEE10hipError_tPvRmT0_T1_jT2_SS_T4_T3_P12ihipStream_tbEUlT_E_NS1_11comp_targetILNS1_3genE0ELNS1_11target_archE4294967295ELNS1_3gpuE0ELNS1_3repE0EEENS1_30default_config_static_selectorELNS0_4arch9wavefront6targetE1EEEvSR_,comdat
	.globl	_ZN7rocprim17ROCPRIM_400000_NS6detail17trampoline_kernelINS0_14default_configENS1_32segmented_reduce_config_selectorIN3c108BFloat16EEEZNS1_21segmented_reduce_implIS3_PKS6_PS6_PKiS6_N6hipcub16HIPCUB_304000_NS6detail27convert_result_type_wrapperISA_SB_N2at6native12_GLOBAL__N_110CustomProdEEEEE10hipError_tPvRmT0_T1_jT2_SS_T4_T3_P12ihipStream_tbEUlT_E_NS1_11comp_targetILNS1_3genE0ELNS1_11target_archE4294967295ELNS1_3gpuE0ELNS1_3repE0EEENS1_30default_config_static_selectorELNS0_4arch9wavefront6targetE1EEEvSR_ ; -- Begin function _ZN7rocprim17ROCPRIM_400000_NS6detail17trampoline_kernelINS0_14default_configENS1_32segmented_reduce_config_selectorIN3c108BFloat16EEEZNS1_21segmented_reduce_implIS3_PKS6_PS6_PKiS6_N6hipcub16HIPCUB_304000_NS6detail27convert_result_type_wrapperISA_SB_N2at6native12_GLOBAL__N_110CustomProdEEEEE10hipError_tPvRmT0_T1_jT2_SS_T4_T3_P12ihipStream_tbEUlT_E_NS1_11comp_targetILNS1_3genE0ELNS1_11target_archE4294967295ELNS1_3gpuE0ELNS1_3repE0EEENS1_30default_config_static_selectorELNS0_4arch9wavefront6targetE1EEEvSR_
	.p2align	8
	.type	_ZN7rocprim17ROCPRIM_400000_NS6detail17trampoline_kernelINS0_14default_configENS1_32segmented_reduce_config_selectorIN3c108BFloat16EEEZNS1_21segmented_reduce_implIS3_PKS6_PS6_PKiS6_N6hipcub16HIPCUB_304000_NS6detail27convert_result_type_wrapperISA_SB_N2at6native12_GLOBAL__N_110CustomProdEEEEE10hipError_tPvRmT0_T1_jT2_SS_T4_T3_P12ihipStream_tbEUlT_E_NS1_11comp_targetILNS1_3genE0ELNS1_11target_archE4294967295ELNS1_3gpuE0ELNS1_3repE0EEENS1_30default_config_static_selectorELNS0_4arch9wavefront6targetE1EEEvSR_,@function
_ZN7rocprim17ROCPRIM_400000_NS6detail17trampoline_kernelINS0_14default_configENS1_32segmented_reduce_config_selectorIN3c108BFloat16EEEZNS1_21segmented_reduce_implIS3_PKS6_PS6_PKiS6_N6hipcub16HIPCUB_304000_NS6detail27convert_result_type_wrapperISA_SB_N2at6native12_GLOBAL__N_110CustomProdEEEEE10hipError_tPvRmT0_T1_jT2_SS_T4_T3_P12ihipStream_tbEUlT_E_NS1_11comp_targetILNS1_3genE0ELNS1_11target_archE4294967295ELNS1_3gpuE0ELNS1_3repE0EEENS1_30default_config_static_selectorELNS0_4arch9wavefront6targetE1EEEvSR_: ; @_ZN7rocprim17ROCPRIM_400000_NS6detail17trampoline_kernelINS0_14default_configENS1_32segmented_reduce_config_selectorIN3c108BFloat16EEEZNS1_21segmented_reduce_implIS3_PKS6_PS6_PKiS6_N6hipcub16HIPCUB_304000_NS6detail27convert_result_type_wrapperISA_SB_N2at6native12_GLOBAL__N_110CustomProdEEEEE10hipError_tPvRmT0_T1_jT2_SS_T4_T3_P12ihipStream_tbEUlT_E_NS1_11comp_targetILNS1_3genE0ELNS1_11target_archE4294967295ELNS1_3gpuE0ELNS1_3repE0EEENS1_30default_config_static_selectorELNS0_4arch9wavefront6targetE1EEEvSR_
; %bb.0:
	.section	.rodata,"a",@progbits
	.p2align	6, 0x0
	.amdhsa_kernel _ZN7rocprim17ROCPRIM_400000_NS6detail17trampoline_kernelINS0_14default_configENS1_32segmented_reduce_config_selectorIN3c108BFloat16EEEZNS1_21segmented_reduce_implIS3_PKS6_PS6_PKiS6_N6hipcub16HIPCUB_304000_NS6detail27convert_result_type_wrapperISA_SB_N2at6native12_GLOBAL__N_110CustomProdEEEEE10hipError_tPvRmT0_T1_jT2_SS_T4_T3_P12ihipStream_tbEUlT_E_NS1_11comp_targetILNS1_3genE0ELNS1_11target_archE4294967295ELNS1_3gpuE0ELNS1_3repE0EEENS1_30default_config_static_selectorELNS0_4arch9wavefront6targetE1EEEvSR_
		.amdhsa_group_segment_fixed_size 0
		.amdhsa_private_segment_fixed_size 0
		.amdhsa_kernarg_size 48
		.amdhsa_user_sgpr_count 6
		.amdhsa_user_sgpr_private_segment_buffer 1
		.amdhsa_user_sgpr_dispatch_ptr 0
		.amdhsa_user_sgpr_queue_ptr 0
		.amdhsa_user_sgpr_kernarg_segment_ptr 1
		.amdhsa_user_sgpr_dispatch_id 0
		.amdhsa_user_sgpr_flat_scratch_init 0
		.amdhsa_user_sgpr_private_segment_size 0
		.amdhsa_uses_dynamic_stack 0
		.amdhsa_system_sgpr_private_segment_wavefront_offset 0
		.amdhsa_system_sgpr_workgroup_id_x 1
		.amdhsa_system_sgpr_workgroup_id_y 0
		.amdhsa_system_sgpr_workgroup_id_z 0
		.amdhsa_system_sgpr_workgroup_info 0
		.amdhsa_system_vgpr_workitem_id 0
		.amdhsa_next_free_vgpr 1
		.amdhsa_next_free_sgpr 0
		.amdhsa_reserve_vcc 0
		.amdhsa_reserve_flat_scratch 0
		.amdhsa_float_round_mode_32 0
		.amdhsa_float_round_mode_16_64 0
		.amdhsa_float_denorm_mode_32 3
		.amdhsa_float_denorm_mode_16_64 3
		.amdhsa_dx10_clamp 1
		.amdhsa_ieee_mode 1
		.amdhsa_fp16_overflow 0
		.amdhsa_exception_fp_ieee_invalid_op 0
		.amdhsa_exception_fp_denorm_src 0
		.amdhsa_exception_fp_ieee_div_zero 0
		.amdhsa_exception_fp_ieee_overflow 0
		.amdhsa_exception_fp_ieee_underflow 0
		.amdhsa_exception_fp_ieee_inexact 0
		.amdhsa_exception_int_div_zero 0
	.end_amdhsa_kernel
	.section	.text._ZN7rocprim17ROCPRIM_400000_NS6detail17trampoline_kernelINS0_14default_configENS1_32segmented_reduce_config_selectorIN3c108BFloat16EEEZNS1_21segmented_reduce_implIS3_PKS6_PS6_PKiS6_N6hipcub16HIPCUB_304000_NS6detail27convert_result_type_wrapperISA_SB_N2at6native12_GLOBAL__N_110CustomProdEEEEE10hipError_tPvRmT0_T1_jT2_SS_T4_T3_P12ihipStream_tbEUlT_E_NS1_11comp_targetILNS1_3genE0ELNS1_11target_archE4294967295ELNS1_3gpuE0ELNS1_3repE0EEENS1_30default_config_static_selectorELNS0_4arch9wavefront6targetE1EEEvSR_,"axG",@progbits,_ZN7rocprim17ROCPRIM_400000_NS6detail17trampoline_kernelINS0_14default_configENS1_32segmented_reduce_config_selectorIN3c108BFloat16EEEZNS1_21segmented_reduce_implIS3_PKS6_PS6_PKiS6_N6hipcub16HIPCUB_304000_NS6detail27convert_result_type_wrapperISA_SB_N2at6native12_GLOBAL__N_110CustomProdEEEEE10hipError_tPvRmT0_T1_jT2_SS_T4_T3_P12ihipStream_tbEUlT_E_NS1_11comp_targetILNS1_3genE0ELNS1_11target_archE4294967295ELNS1_3gpuE0ELNS1_3repE0EEENS1_30default_config_static_selectorELNS0_4arch9wavefront6targetE1EEEvSR_,comdat
.Lfunc_end136:
	.size	_ZN7rocprim17ROCPRIM_400000_NS6detail17trampoline_kernelINS0_14default_configENS1_32segmented_reduce_config_selectorIN3c108BFloat16EEEZNS1_21segmented_reduce_implIS3_PKS6_PS6_PKiS6_N6hipcub16HIPCUB_304000_NS6detail27convert_result_type_wrapperISA_SB_N2at6native12_GLOBAL__N_110CustomProdEEEEE10hipError_tPvRmT0_T1_jT2_SS_T4_T3_P12ihipStream_tbEUlT_E_NS1_11comp_targetILNS1_3genE0ELNS1_11target_archE4294967295ELNS1_3gpuE0ELNS1_3repE0EEENS1_30default_config_static_selectorELNS0_4arch9wavefront6targetE1EEEvSR_, .Lfunc_end136-_ZN7rocprim17ROCPRIM_400000_NS6detail17trampoline_kernelINS0_14default_configENS1_32segmented_reduce_config_selectorIN3c108BFloat16EEEZNS1_21segmented_reduce_implIS3_PKS6_PS6_PKiS6_N6hipcub16HIPCUB_304000_NS6detail27convert_result_type_wrapperISA_SB_N2at6native12_GLOBAL__N_110CustomProdEEEEE10hipError_tPvRmT0_T1_jT2_SS_T4_T3_P12ihipStream_tbEUlT_E_NS1_11comp_targetILNS1_3genE0ELNS1_11target_archE4294967295ELNS1_3gpuE0ELNS1_3repE0EEENS1_30default_config_static_selectorELNS0_4arch9wavefront6targetE1EEEvSR_
                                        ; -- End function
	.set _ZN7rocprim17ROCPRIM_400000_NS6detail17trampoline_kernelINS0_14default_configENS1_32segmented_reduce_config_selectorIN3c108BFloat16EEEZNS1_21segmented_reduce_implIS3_PKS6_PS6_PKiS6_N6hipcub16HIPCUB_304000_NS6detail27convert_result_type_wrapperISA_SB_N2at6native12_GLOBAL__N_110CustomProdEEEEE10hipError_tPvRmT0_T1_jT2_SS_T4_T3_P12ihipStream_tbEUlT_E_NS1_11comp_targetILNS1_3genE0ELNS1_11target_archE4294967295ELNS1_3gpuE0ELNS1_3repE0EEENS1_30default_config_static_selectorELNS0_4arch9wavefront6targetE1EEEvSR_.num_vgpr, 0
	.set _ZN7rocprim17ROCPRIM_400000_NS6detail17trampoline_kernelINS0_14default_configENS1_32segmented_reduce_config_selectorIN3c108BFloat16EEEZNS1_21segmented_reduce_implIS3_PKS6_PS6_PKiS6_N6hipcub16HIPCUB_304000_NS6detail27convert_result_type_wrapperISA_SB_N2at6native12_GLOBAL__N_110CustomProdEEEEE10hipError_tPvRmT0_T1_jT2_SS_T4_T3_P12ihipStream_tbEUlT_E_NS1_11comp_targetILNS1_3genE0ELNS1_11target_archE4294967295ELNS1_3gpuE0ELNS1_3repE0EEENS1_30default_config_static_selectorELNS0_4arch9wavefront6targetE1EEEvSR_.num_agpr, 0
	.set _ZN7rocprim17ROCPRIM_400000_NS6detail17trampoline_kernelINS0_14default_configENS1_32segmented_reduce_config_selectorIN3c108BFloat16EEEZNS1_21segmented_reduce_implIS3_PKS6_PS6_PKiS6_N6hipcub16HIPCUB_304000_NS6detail27convert_result_type_wrapperISA_SB_N2at6native12_GLOBAL__N_110CustomProdEEEEE10hipError_tPvRmT0_T1_jT2_SS_T4_T3_P12ihipStream_tbEUlT_E_NS1_11comp_targetILNS1_3genE0ELNS1_11target_archE4294967295ELNS1_3gpuE0ELNS1_3repE0EEENS1_30default_config_static_selectorELNS0_4arch9wavefront6targetE1EEEvSR_.numbered_sgpr, 0
	.set _ZN7rocprim17ROCPRIM_400000_NS6detail17trampoline_kernelINS0_14default_configENS1_32segmented_reduce_config_selectorIN3c108BFloat16EEEZNS1_21segmented_reduce_implIS3_PKS6_PS6_PKiS6_N6hipcub16HIPCUB_304000_NS6detail27convert_result_type_wrapperISA_SB_N2at6native12_GLOBAL__N_110CustomProdEEEEE10hipError_tPvRmT0_T1_jT2_SS_T4_T3_P12ihipStream_tbEUlT_E_NS1_11comp_targetILNS1_3genE0ELNS1_11target_archE4294967295ELNS1_3gpuE0ELNS1_3repE0EEENS1_30default_config_static_selectorELNS0_4arch9wavefront6targetE1EEEvSR_.num_named_barrier, 0
	.set _ZN7rocprim17ROCPRIM_400000_NS6detail17trampoline_kernelINS0_14default_configENS1_32segmented_reduce_config_selectorIN3c108BFloat16EEEZNS1_21segmented_reduce_implIS3_PKS6_PS6_PKiS6_N6hipcub16HIPCUB_304000_NS6detail27convert_result_type_wrapperISA_SB_N2at6native12_GLOBAL__N_110CustomProdEEEEE10hipError_tPvRmT0_T1_jT2_SS_T4_T3_P12ihipStream_tbEUlT_E_NS1_11comp_targetILNS1_3genE0ELNS1_11target_archE4294967295ELNS1_3gpuE0ELNS1_3repE0EEENS1_30default_config_static_selectorELNS0_4arch9wavefront6targetE1EEEvSR_.private_seg_size, 0
	.set _ZN7rocprim17ROCPRIM_400000_NS6detail17trampoline_kernelINS0_14default_configENS1_32segmented_reduce_config_selectorIN3c108BFloat16EEEZNS1_21segmented_reduce_implIS3_PKS6_PS6_PKiS6_N6hipcub16HIPCUB_304000_NS6detail27convert_result_type_wrapperISA_SB_N2at6native12_GLOBAL__N_110CustomProdEEEEE10hipError_tPvRmT0_T1_jT2_SS_T4_T3_P12ihipStream_tbEUlT_E_NS1_11comp_targetILNS1_3genE0ELNS1_11target_archE4294967295ELNS1_3gpuE0ELNS1_3repE0EEENS1_30default_config_static_selectorELNS0_4arch9wavefront6targetE1EEEvSR_.uses_vcc, 0
	.set _ZN7rocprim17ROCPRIM_400000_NS6detail17trampoline_kernelINS0_14default_configENS1_32segmented_reduce_config_selectorIN3c108BFloat16EEEZNS1_21segmented_reduce_implIS3_PKS6_PS6_PKiS6_N6hipcub16HIPCUB_304000_NS6detail27convert_result_type_wrapperISA_SB_N2at6native12_GLOBAL__N_110CustomProdEEEEE10hipError_tPvRmT0_T1_jT2_SS_T4_T3_P12ihipStream_tbEUlT_E_NS1_11comp_targetILNS1_3genE0ELNS1_11target_archE4294967295ELNS1_3gpuE0ELNS1_3repE0EEENS1_30default_config_static_selectorELNS0_4arch9wavefront6targetE1EEEvSR_.uses_flat_scratch, 0
	.set _ZN7rocprim17ROCPRIM_400000_NS6detail17trampoline_kernelINS0_14default_configENS1_32segmented_reduce_config_selectorIN3c108BFloat16EEEZNS1_21segmented_reduce_implIS3_PKS6_PS6_PKiS6_N6hipcub16HIPCUB_304000_NS6detail27convert_result_type_wrapperISA_SB_N2at6native12_GLOBAL__N_110CustomProdEEEEE10hipError_tPvRmT0_T1_jT2_SS_T4_T3_P12ihipStream_tbEUlT_E_NS1_11comp_targetILNS1_3genE0ELNS1_11target_archE4294967295ELNS1_3gpuE0ELNS1_3repE0EEENS1_30default_config_static_selectorELNS0_4arch9wavefront6targetE1EEEvSR_.has_dyn_sized_stack, 0
	.set _ZN7rocprim17ROCPRIM_400000_NS6detail17trampoline_kernelINS0_14default_configENS1_32segmented_reduce_config_selectorIN3c108BFloat16EEEZNS1_21segmented_reduce_implIS3_PKS6_PS6_PKiS6_N6hipcub16HIPCUB_304000_NS6detail27convert_result_type_wrapperISA_SB_N2at6native12_GLOBAL__N_110CustomProdEEEEE10hipError_tPvRmT0_T1_jT2_SS_T4_T3_P12ihipStream_tbEUlT_E_NS1_11comp_targetILNS1_3genE0ELNS1_11target_archE4294967295ELNS1_3gpuE0ELNS1_3repE0EEENS1_30default_config_static_selectorELNS0_4arch9wavefront6targetE1EEEvSR_.has_recursion, 0
	.set _ZN7rocprim17ROCPRIM_400000_NS6detail17trampoline_kernelINS0_14default_configENS1_32segmented_reduce_config_selectorIN3c108BFloat16EEEZNS1_21segmented_reduce_implIS3_PKS6_PS6_PKiS6_N6hipcub16HIPCUB_304000_NS6detail27convert_result_type_wrapperISA_SB_N2at6native12_GLOBAL__N_110CustomProdEEEEE10hipError_tPvRmT0_T1_jT2_SS_T4_T3_P12ihipStream_tbEUlT_E_NS1_11comp_targetILNS1_3genE0ELNS1_11target_archE4294967295ELNS1_3gpuE0ELNS1_3repE0EEENS1_30default_config_static_selectorELNS0_4arch9wavefront6targetE1EEEvSR_.has_indirect_call, 0
	.section	.AMDGPU.csdata,"",@progbits
; Kernel info:
; codeLenInByte = 0
; TotalNumSgprs: 4
; NumVgprs: 0
; ScratchSize: 0
; MemoryBound: 0
; FloatMode: 240
; IeeeMode: 1
; LDSByteSize: 0 bytes/workgroup (compile time only)
; SGPRBlocks: 0
; VGPRBlocks: 0
; NumSGPRsForWavesPerEU: 4
; NumVGPRsForWavesPerEU: 1
; Occupancy: 10
; WaveLimiterHint : 0
; COMPUTE_PGM_RSRC2:SCRATCH_EN: 0
; COMPUTE_PGM_RSRC2:USER_SGPR: 6
; COMPUTE_PGM_RSRC2:TRAP_HANDLER: 0
; COMPUTE_PGM_RSRC2:TGID_X_EN: 1
; COMPUTE_PGM_RSRC2:TGID_Y_EN: 0
; COMPUTE_PGM_RSRC2:TGID_Z_EN: 0
; COMPUTE_PGM_RSRC2:TIDIG_COMP_CNT: 0
	.section	.text._ZN7rocprim17ROCPRIM_400000_NS6detail17trampoline_kernelINS0_14default_configENS1_32segmented_reduce_config_selectorIN3c108BFloat16EEEZNS1_21segmented_reduce_implIS3_PKS6_PS6_PKiS6_N6hipcub16HIPCUB_304000_NS6detail27convert_result_type_wrapperISA_SB_N2at6native12_GLOBAL__N_110CustomProdEEEEE10hipError_tPvRmT0_T1_jT2_SS_T4_T3_P12ihipStream_tbEUlT_E_NS1_11comp_targetILNS1_3genE5ELNS1_11target_archE942ELNS1_3gpuE9ELNS1_3repE0EEENS1_30default_config_static_selectorELNS0_4arch9wavefront6targetE1EEEvSR_,"axG",@progbits,_ZN7rocprim17ROCPRIM_400000_NS6detail17trampoline_kernelINS0_14default_configENS1_32segmented_reduce_config_selectorIN3c108BFloat16EEEZNS1_21segmented_reduce_implIS3_PKS6_PS6_PKiS6_N6hipcub16HIPCUB_304000_NS6detail27convert_result_type_wrapperISA_SB_N2at6native12_GLOBAL__N_110CustomProdEEEEE10hipError_tPvRmT0_T1_jT2_SS_T4_T3_P12ihipStream_tbEUlT_E_NS1_11comp_targetILNS1_3genE5ELNS1_11target_archE942ELNS1_3gpuE9ELNS1_3repE0EEENS1_30default_config_static_selectorELNS0_4arch9wavefront6targetE1EEEvSR_,comdat
	.globl	_ZN7rocprim17ROCPRIM_400000_NS6detail17trampoline_kernelINS0_14default_configENS1_32segmented_reduce_config_selectorIN3c108BFloat16EEEZNS1_21segmented_reduce_implIS3_PKS6_PS6_PKiS6_N6hipcub16HIPCUB_304000_NS6detail27convert_result_type_wrapperISA_SB_N2at6native12_GLOBAL__N_110CustomProdEEEEE10hipError_tPvRmT0_T1_jT2_SS_T4_T3_P12ihipStream_tbEUlT_E_NS1_11comp_targetILNS1_3genE5ELNS1_11target_archE942ELNS1_3gpuE9ELNS1_3repE0EEENS1_30default_config_static_selectorELNS0_4arch9wavefront6targetE1EEEvSR_ ; -- Begin function _ZN7rocprim17ROCPRIM_400000_NS6detail17trampoline_kernelINS0_14default_configENS1_32segmented_reduce_config_selectorIN3c108BFloat16EEEZNS1_21segmented_reduce_implIS3_PKS6_PS6_PKiS6_N6hipcub16HIPCUB_304000_NS6detail27convert_result_type_wrapperISA_SB_N2at6native12_GLOBAL__N_110CustomProdEEEEE10hipError_tPvRmT0_T1_jT2_SS_T4_T3_P12ihipStream_tbEUlT_E_NS1_11comp_targetILNS1_3genE5ELNS1_11target_archE942ELNS1_3gpuE9ELNS1_3repE0EEENS1_30default_config_static_selectorELNS0_4arch9wavefront6targetE1EEEvSR_
	.p2align	8
	.type	_ZN7rocprim17ROCPRIM_400000_NS6detail17trampoline_kernelINS0_14default_configENS1_32segmented_reduce_config_selectorIN3c108BFloat16EEEZNS1_21segmented_reduce_implIS3_PKS6_PS6_PKiS6_N6hipcub16HIPCUB_304000_NS6detail27convert_result_type_wrapperISA_SB_N2at6native12_GLOBAL__N_110CustomProdEEEEE10hipError_tPvRmT0_T1_jT2_SS_T4_T3_P12ihipStream_tbEUlT_E_NS1_11comp_targetILNS1_3genE5ELNS1_11target_archE942ELNS1_3gpuE9ELNS1_3repE0EEENS1_30default_config_static_selectorELNS0_4arch9wavefront6targetE1EEEvSR_,@function
_ZN7rocprim17ROCPRIM_400000_NS6detail17trampoline_kernelINS0_14default_configENS1_32segmented_reduce_config_selectorIN3c108BFloat16EEEZNS1_21segmented_reduce_implIS3_PKS6_PS6_PKiS6_N6hipcub16HIPCUB_304000_NS6detail27convert_result_type_wrapperISA_SB_N2at6native12_GLOBAL__N_110CustomProdEEEEE10hipError_tPvRmT0_T1_jT2_SS_T4_T3_P12ihipStream_tbEUlT_E_NS1_11comp_targetILNS1_3genE5ELNS1_11target_archE942ELNS1_3gpuE9ELNS1_3repE0EEENS1_30default_config_static_selectorELNS0_4arch9wavefront6targetE1EEEvSR_: ; @_ZN7rocprim17ROCPRIM_400000_NS6detail17trampoline_kernelINS0_14default_configENS1_32segmented_reduce_config_selectorIN3c108BFloat16EEEZNS1_21segmented_reduce_implIS3_PKS6_PS6_PKiS6_N6hipcub16HIPCUB_304000_NS6detail27convert_result_type_wrapperISA_SB_N2at6native12_GLOBAL__N_110CustomProdEEEEE10hipError_tPvRmT0_T1_jT2_SS_T4_T3_P12ihipStream_tbEUlT_E_NS1_11comp_targetILNS1_3genE5ELNS1_11target_archE942ELNS1_3gpuE9ELNS1_3repE0EEENS1_30default_config_static_selectorELNS0_4arch9wavefront6targetE1EEEvSR_
; %bb.0:
	.section	.rodata,"a",@progbits
	.p2align	6, 0x0
	.amdhsa_kernel _ZN7rocprim17ROCPRIM_400000_NS6detail17trampoline_kernelINS0_14default_configENS1_32segmented_reduce_config_selectorIN3c108BFloat16EEEZNS1_21segmented_reduce_implIS3_PKS6_PS6_PKiS6_N6hipcub16HIPCUB_304000_NS6detail27convert_result_type_wrapperISA_SB_N2at6native12_GLOBAL__N_110CustomProdEEEEE10hipError_tPvRmT0_T1_jT2_SS_T4_T3_P12ihipStream_tbEUlT_E_NS1_11comp_targetILNS1_3genE5ELNS1_11target_archE942ELNS1_3gpuE9ELNS1_3repE0EEENS1_30default_config_static_selectorELNS0_4arch9wavefront6targetE1EEEvSR_
		.amdhsa_group_segment_fixed_size 0
		.amdhsa_private_segment_fixed_size 0
		.amdhsa_kernarg_size 48
		.amdhsa_user_sgpr_count 6
		.amdhsa_user_sgpr_private_segment_buffer 1
		.amdhsa_user_sgpr_dispatch_ptr 0
		.amdhsa_user_sgpr_queue_ptr 0
		.amdhsa_user_sgpr_kernarg_segment_ptr 1
		.amdhsa_user_sgpr_dispatch_id 0
		.amdhsa_user_sgpr_flat_scratch_init 0
		.amdhsa_user_sgpr_private_segment_size 0
		.amdhsa_uses_dynamic_stack 0
		.amdhsa_system_sgpr_private_segment_wavefront_offset 0
		.amdhsa_system_sgpr_workgroup_id_x 1
		.amdhsa_system_sgpr_workgroup_id_y 0
		.amdhsa_system_sgpr_workgroup_id_z 0
		.amdhsa_system_sgpr_workgroup_info 0
		.amdhsa_system_vgpr_workitem_id 0
		.amdhsa_next_free_vgpr 1
		.amdhsa_next_free_sgpr 0
		.amdhsa_reserve_vcc 0
		.amdhsa_reserve_flat_scratch 0
		.amdhsa_float_round_mode_32 0
		.amdhsa_float_round_mode_16_64 0
		.amdhsa_float_denorm_mode_32 3
		.amdhsa_float_denorm_mode_16_64 3
		.amdhsa_dx10_clamp 1
		.amdhsa_ieee_mode 1
		.amdhsa_fp16_overflow 0
		.amdhsa_exception_fp_ieee_invalid_op 0
		.amdhsa_exception_fp_denorm_src 0
		.amdhsa_exception_fp_ieee_div_zero 0
		.amdhsa_exception_fp_ieee_overflow 0
		.amdhsa_exception_fp_ieee_underflow 0
		.amdhsa_exception_fp_ieee_inexact 0
		.amdhsa_exception_int_div_zero 0
	.end_amdhsa_kernel
	.section	.text._ZN7rocprim17ROCPRIM_400000_NS6detail17trampoline_kernelINS0_14default_configENS1_32segmented_reduce_config_selectorIN3c108BFloat16EEEZNS1_21segmented_reduce_implIS3_PKS6_PS6_PKiS6_N6hipcub16HIPCUB_304000_NS6detail27convert_result_type_wrapperISA_SB_N2at6native12_GLOBAL__N_110CustomProdEEEEE10hipError_tPvRmT0_T1_jT2_SS_T4_T3_P12ihipStream_tbEUlT_E_NS1_11comp_targetILNS1_3genE5ELNS1_11target_archE942ELNS1_3gpuE9ELNS1_3repE0EEENS1_30default_config_static_selectorELNS0_4arch9wavefront6targetE1EEEvSR_,"axG",@progbits,_ZN7rocprim17ROCPRIM_400000_NS6detail17trampoline_kernelINS0_14default_configENS1_32segmented_reduce_config_selectorIN3c108BFloat16EEEZNS1_21segmented_reduce_implIS3_PKS6_PS6_PKiS6_N6hipcub16HIPCUB_304000_NS6detail27convert_result_type_wrapperISA_SB_N2at6native12_GLOBAL__N_110CustomProdEEEEE10hipError_tPvRmT0_T1_jT2_SS_T4_T3_P12ihipStream_tbEUlT_E_NS1_11comp_targetILNS1_3genE5ELNS1_11target_archE942ELNS1_3gpuE9ELNS1_3repE0EEENS1_30default_config_static_selectorELNS0_4arch9wavefront6targetE1EEEvSR_,comdat
.Lfunc_end137:
	.size	_ZN7rocprim17ROCPRIM_400000_NS6detail17trampoline_kernelINS0_14default_configENS1_32segmented_reduce_config_selectorIN3c108BFloat16EEEZNS1_21segmented_reduce_implIS3_PKS6_PS6_PKiS6_N6hipcub16HIPCUB_304000_NS6detail27convert_result_type_wrapperISA_SB_N2at6native12_GLOBAL__N_110CustomProdEEEEE10hipError_tPvRmT0_T1_jT2_SS_T4_T3_P12ihipStream_tbEUlT_E_NS1_11comp_targetILNS1_3genE5ELNS1_11target_archE942ELNS1_3gpuE9ELNS1_3repE0EEENS1_30default_config_static_selectorELNS0_4arch9wavefront6targetE1EEEvSR_, .Lfunc_end137-_ZN7rocprim17ROCPRIM_400000_NS6detail17trampoline_kernelINS0_14default_configENS1_32segmented_reduce_config_selectorIN3c108BFloat16EEEZNS1_21segmented_reduce_implIS3_PKS6_PS6_PKiS6_N6hipcub16HIPCUB_304000_NS6detail27convert_result_type_wrapperISA_SB_N2at6native12_GLOBAL__N_110CustomProdEEEEE10hipError_tPvRmT0_T1_jT2_SS_T4_T3_P12ihipStream_tbEUlT_E_NS1_11comp_targetILNS1_3genE5ELNS1_11target_archE942ELNS1_3gpuE9ELNS1_3repE0EEENS1_30default_config_static_selectorELNS0_4arch9wavefront6targetE1EEEvSR_
                                        ; -- End function
	.set _ZN7rocprim17ROCPRIM_400000_NS6detail17trampoline_kernelINS0_14default_configENS1_32segmented_reduce_config_selectorIN3c108BFloat16EEEZNS1_21segmented_reduce_implIS3_PKS6_PS6_PKiS6_N6hipcub16HIPCUB_304000_NS6detail27convert_result_type_wrapperISA_SB_N2at6native12_GLOBAL__N_110CustomProdEEEEE10hipError_tPvRmT0_T1_jT2_SS_T4_T3_P12ihipStream_tbEUlT_E_NS1_11comp_targetILNS1_3genE5ELNS1_11target_archE942ELNS1_3gpuE9ELNS1_3repE0EEENS1_30default_config_static_selectorELNS0_4arch9wavefront6targetE1EEEvSR_.num_vgpr, 0
	.set _ZN7rocprim17ROCPRIM_400000_NS6detail17trampoline_kernelINS0_14default_configENS1_32segmented_reduce_config_selectorIN3c108BFloat16EEEZNS1_21segmented_reduce_implIS3_PKS6_PS6_PKiS6_N6hipcub16HIPCUB_304000_NS6detail27convert_result_type_wrapperISA_SB_N2at6native12_GLOBAL__N_110CustomProdEEEEE10hipError_tPvRmT0_T1_jT2_SS_T4_T3_P12ihipStream_tbEUlT_E_NS1_11comp_targetILNS1_3genE5ELNS1_11target_archE942ELNS1_3gpuE9ELNS1_3repE0EEENS1_30default_config_static_selectorELNS0_4arch9wavefront6targetE1EEEvSR_.num_agpr, 0
	.set _ZN7rocprim17ROCPRIM_400000_NS6detail17trampoline_kernelINS0_14default_configENS1_32segmented_reduce_config_selectorIN3c108BFloat16EEEZNS1_21segmented_reduce_implIS3_PKS6_PS6_PKiS6_N6hipcub16HIPCUB_304000_NS6detail27convert_result_type_wrapperISA_SB_N2at6native12_GLOBAL__N_110CustomProdEEEEE10hipError_tPvRmT0_T1_jT2_SS_T4_T3_P12ihipStream_tbEUlT_E_NS1_11comp_targetILNS1_3genE5ELNS1_11target_archE942ELNS1_3gpuE9ELNS1_3repE0EEENS1_30default_config_static_selectorELNS0_4arch9wavefront6targetE1EEEvSR_.numbered_sgpr, 0
	.set _ZN7rocprim17ROCPRIM_400000_NS6detail17trampoline_kernelINS0_14default_configENS1_32segmented_reduce_config_selectorIN3c108BFloat16EEEZNS1_21segmented_reduce_implIS3_PKS6_PS6_PKiS6_N6hipcub16HIPCUB_304000_NS6detail27convert_result_type_wrapperISA_SB_N2at6native12_GLOBAL__N_110CustomProdEEEEE10hipError_tPvRmT0_T1_jT2_SS_T4_T3_P12ihipStream_tbEUlT_E_NS1_11comp_targetILNS1_3genE5ELNS1_11target_archE942ELNS1_3gpuE9ELNS1_3repE0EEENS1_30default_config_static_selectorELNS0_4arch9wavefront6targetE1EEEvSR_.num_named_barrier, 0
	.set _ZN7rocprim17ROCPRIM_400000_NS6detail17trampoline_kernelINS0_14default_configENS1_32segmented_reduce_config_selectorIN3c108BFloat16EEEZNS1_21segmented_reduce_implIS3_PKS6_PS6_PKiS6_N6hipcub16HIPCUB_304000_NS6detail27convert_result_type_wrapperISA_SB_N2at6native12_GLOBAL__N_110CustomProdEEEEE10hipError_tPvRmT0_T1_jT2_SS_T4_T3_P12ihipStream_tbEUlT_E_NS1_11comp_targetILNS1_3genE5ELNS1_11target_archE942ELNS1_3gpuE9ELNS1_3repE0EEENS1_30default_config_static_selectorELNS0_4arch9wavefront6targetE1EEEvSR_.private_seg_size, 0
	.set _ZN7rocprim17ROCPRIM_400000_NS6detail17trampoline_kernelINS0_14default_configENS1_32segmented_reduce_config_selectorIN3c108BFloat16EEEZNS1_21segmented_reduce_implIS3_PKS6_PS6_PKiS6_N6hipcub16HIPCUB_304000_NS6detail27convert_result_type_wrapperISA_SB_N2at6native12_GLOBAL__N_110CustomProdEEEEE10hipError_tPvRmT0_T1_jT2_SS_T4_T3_P12ihipStream_tbEUlT_E_NS1_11comp_targetILNS1_3genE5ELNS1_11target_archE942ELNS1_3gpuE9ELNS1_3repE0EEENS1_30default_config_static_selectorELNS0_4arch9wavefront6targetE1EEEvSR_.uses_vcc, 0
	.set _ZN7rocprim17ROCPRIM_400000_NS6detail17trampoline_kernelINS0_14default_configENS1_32segmented_reduce_config_selectorIN3c108BFloat16EEEZNS1_21segmented_reduce_implIS3_PKS6_PS6_PKiS6_N6hipcub16HIPCUB_304000_NS6detail27convert_result_type_wrapperISA_SB_N2at6native12_GLOBAL__N_110CustomProdEEEEE10hipError_tPvRmT0_T1_jT2_SS_T4_T3_P12ihipStream_tbEUlT_E_NS1_11comp_targetILNS1_3genE5ELNS1_11target_archE942ELNS1_3gpuE9ELNS1_3repE0EEENS1_30default_config_static_selectorELNS0_4arch9wavefront6targetE1EEEvSR_.uses_flat_scratch, 0
	.set _ZN7rocprim17ROCPRIM_400000_NS6detail17trampoline_kernelINS0_14default_configENS1_32segmented_reduce_config_selectorIN3c108BFloat16EEEZNS1_21segmented_reduce_implIS3_PKS6_PS6_PKiS6_N6hipcub16HIPCUB_304000_NS6detail27convert_result_type_wrapperISA_SB_N2at6native12_GLOBAL__N_110CustomProdEEEEE10hipError_tPvRmT0_T1_jT2_SS_T4_T3_P12ihipStream_tbEUlT_E_NS1_11comp_targetILNS1_3genE5ELNS1_11target_archE942ELNS1_3gpuE9ELNS1_3repE0EEENS1_30default_config_static_selectorELNS0_4arch9wavefront6targetE1EEEvSR_.has_dyn_sized_stack, 0
	.set _ZN7rocprim17ROCPRIM_400000_NS6detail17trampoline_kernelINS0_14default_configENS1_32segmented_reduce_config_selectorIN3c108BFloat16EEEZNS1_21segmented_reduce_implIS3_PKS6_PS6_PKiS6_N6hipcub16HIPCUB_304000_NS6detail27convert_result_type_wrapperISA_SB_N2at6native12_GLOBAL__N_110CustomProdEEEEE10hipError_tPvRmT0_T1_jT2_SS_T4_T3_P12ihipStream_tbEUlT_E_NS1_11comp_targetILNS1_3genE5ELNS1_11target_archE942ELNS1_3gpuE9ELNS1_3repE0EEENS1_30default_config_static_selectorELNS0_4arch9wavefront6targetE1EEEvSR_.has_recursion, 0
	.set _ZN7rocprim17ROCPRIM_400000_NS6detail17trampoline_kernelINS0_14default_configENS1_32segmented_reduce_config_selectorIN3c108BFloat16EEEZNS1_21segmented_reduce_implIS3_PKS6_PS6_PKiS6_N6hipcub16HIPCUB_304000_NS6detail27convert_result_type_wrapperISA_SB_N2at6native12_GLOBAL__N_110CustomProdEEEEE10hipError_tPvRmT0_T1_jT2_SS_T4_T3_P12ihipStream_tbEUlT_E_NS1_11comp_targetILNS1_3genE5ELNS1_11target_archE942ELNS1_3gpuE9ELNS1_3repE0EEENS1_30default_config_static_selectorELNS0_4arch9wavefront6targetE1EEEvSR_.has_indirect_call, 0
	.section	.AMDGPU.csdata,"",@progbits
; Kernel info:
; codeLenInByte = 0
; TotalNumSgprs: 4
; NumVgprs: 0
; ScratchSize: 0
; MemoryBound: 0
; FloatMode: 240
; IeeeMode: 1
; LDSByteSize: 0 bytes/workgroup (compile time only)
; SGPRBlocks: 0
; VGPRBlocks: 0
; NumSGPRsForWavesPerEU: 4
; NumVGPRsForWavesPerEU: 1
; Occupancy: 10
; WaveLimiterHint : 0
; COMPUTE_PGM_RSRC2:SCRATCH_EN: 0
; COMPUTE_PGM_RSRC2:USER_SGPR: 6
; COMPUTE_PGM_RSRC2:TRAP_HANDLER: 0
; COMPUTE_PGM_RSRC2:TGID_X_EN: 1
; COMPUTE_PGM_RSRC2:TGID_Y_EN: 0
; COMPUTE_PGM_RSRC2:TGID_Z_EN: 0
; COMPUTE_PGM_RSRC2:TIDIG_COMP_CNT: 0
	.section	.text._ZN7rocprim17ROCPRIM_400000_NS6detail17trampoline_kernelINS0_14default_configENS1_32segmented_reduce_config_selectorIN3c108BFloat16EEEZNS1_21segmented_reduce_implIS3_PKS6_PS6_PKiS6_N6hipcub16HIPCUB_304000_NS6detail27convert_result_type_wrapperISA_SB_N2at6native12_GLOBAL__N_110CustomProdEEEEE10hipError_tPvRmT0_T1_jT2_SS_T4_T3_P12ihipStream_tbEUlT_E_NS1_11comp_targetILNS1_3genE10ELNS1_11target_archE1201ELNS1_3gpuE5ELNS1_3repE0EEENS1_30default_config_static_selectorELNS0_4arch9wavefront6targetE1EEEvSR_,"axG",@progbits,_ZN7rocprim17ROCPRIM_400000_NS6detail17trampoline_kernelINS0_14default_configENS1_32segmented_reduce_config_selectorIN3c108BFloat16EEEZNS1_21segmented_reduce_implIS3_PKS6_PS6_PKiS6_N6hipcub16HIPCUB_304000_NS6detail27convert_result_type_wrapperISA_SB_N2at6native12_GLOBAL__N_110CustomProdEEEEE10hipError_tPvRmT0_T1_jT2_SS_T4_T3_P12ihipStream_tbEUlT_E_NS1_11comp_targetILNS1_3genE10ELNS1_11target_archE1201ELNS1_3gpuE5ELNS1_3repE0EEENS1_30default_config_static_selectorELNS0_4arch9wavefront6targetE1EEEvSR_,comdat
	.globl	_ZN7rocprim17ROCPRIM_400000_NS6detail17trampoline_kernelINS0_14default_configENS1_32segmented_reduce_config_selectorIN3c108BFloat16EEEZNS1_21segmented_reduce_implIS3_PKS6_PS6_PKiS6_N6hipcub16HIPCUB_304000_NS6detail27convert_result_type_wrapperISA_SB_N2at6native12_GLOBAL__N_110CustomProdEEEEE10hipError_tPvRmT0_T1_jT2_SS_T4_T3_P12ihipStream_tbEUlT_E_NS1_11comp_targetILNS1_3genE10ELNS1_11target_archE1201ELNS1_3gpuE5ELNS1_3repE0EEENS1_30default_config_static_selectorELNS0_4arch9wavefront6targetE1EEEvSR_ ; -- Begin function _ZN7rocprim17ROCPRIM_400000_NS6detail17trampoline_kernelINS0_14default_configENS1_32segmented_reduce_config_selectorIN3c108BFloat16EEEZNS1_21segmented_reduce_implIS3_PKS6_PS6_PKiS6_N6hipcub16HIPCUB_304000_NS6detail27convert_result_type_wrapperISA_SB_N2at6native12_GLOBAL__N_110CustomProdEEEEE10hipError_tPvRmT0_T1_jT2_SS_T4_T3_P12ihipStream_tbEUlT_E_NS1_11comp_targetILNS1_3genE10ELNS1_11target_archE1201ELNS1_3gpuE5ELNS1_3repE0EEENS1_30default_config_static_selectorELNS0_4arch9wavefront6targetE1EEEvSR_
	.p2align	8
	.type	_ZN7rocprim17ROCPRIM_400000_NS6detail17trampoline_kernelINS0_14default_configENS1_32segmented_reduce_config_selectorIN3c108BFloat16EEEZNS1_21segmented_reduce_implIS3_PKS6_PS6_PKiS6_N6hipcub16HIPCUB_304000_NS6detail27convert_result_type_wrapperISA_SB_N2at6native12_GLOBAL__N_110CustomProdEEEEE10hipError_tPvRmT0_T1_jT2_SS_T4_T3_P12ihipStream_tbEUlT_E_NS1_11comp_targetILNS1_3genE10ELNS1_11target_archE1201ELNS1_3gpuE5ELNS1_3repE0EEENS1_30default_config_static_selectorELNS0_4arch9wavefront6targetE1EEEvSR_,@function
_ZN7rocprim17ROCPRIM_400000_NS6detail17trampoline_kernelINS0_14default_configENS1_32segmented_reduce_config_selectorIN3c108BFloat16EEEZNS1_21segmented_reduce_implIS3_PKS6_PS6_PKiS6_N6hipcub16HIPCUB_304000_NS6detail27convert_result_type_wrapperISA_SB_N2at6native12_GLOBAL__N_110CustomProdEEEEE10hipError_tPvRmT0_T1_jT2_SS_T4_T3_P12ihipStream_tbEUlT_E_NS1_11comp_targetILNS1_3genE10ELNS1_11target_archE1201ELNS1_3gpuE5ELNS1_3repE0EEENS1_30default_config_static_selectorELNS0_4arch9wavefront6targetE1EEEvSR_: ; @_ZN7rocprim17ROCPRIM_400000_NS6detail17trampoline_kernelINS0_14default_configENS1_32segmented_reduce_config_selectorIN3c108BFloat16EEEZNS1_21segmented_reduce_implIS3_PKS6_PS6_PKiS6_N6hipcub16HIPCUB_304000_NS6detail27convert_result_type_wrapperISA_SB_N2at6native12_GLOBAL__N_110CustomProdEEEEE10hipError_tPvRmT0_T1_jT2_SS_T4_T3_P12ihipStream_tbEUlT_E_NS1_11comp_targetILNS1_3genE10ELNS1_11target_archE1201ELNS1_3gpuE5ELNS1_3repE0EEENS1_30default_config_static_selectorELNS0_4arch9wavefront6targetE1EEEvSR_
; %bb.0:
	.section	.rodata,"a",@progbits
	.p2align	6, 0x0
	.amdhsa_kernel _ZN7rocprim17ROCPRIM_400000_NS6detail17trampoline_kernelINS0_14default_configENS1_32segmented_reduce_config_selectorIN3c108BFloat16EEEZNS1_21segmented_reduce_implIS3_PKS6_PS6_PKiS6_N6hipcub16HIPCUB_304000_NS6detail27convert_result_type_wrapperISA_SB_N2at6native12_GLOBAL__N_110CustomProdEEEEE10hipError_tPvRmT0_T1_jT2_SS_T4_T3_P12ihipStream_tbEUlT_E_NS1_11comp_targetILNS1_3genE10ELNS1_11target_archE1201ELNS1_3gpuE5ELNS1_3repE0EEENS1_30default_config_static_selectorELNS0_4arch9wavefront6targetE1EEEvSR_
		.amdhsa_group_segment_fixed_size 0
		.amdhsa_private_segment_fixed_size 0
		.amdhsa_kernarg_size 48
		.amdhsa_user_sgpr_count 6
		.amdhsa_user_sgpr_private_segment_buffer 1
		.amdhsa_user_sgpr_dispatch_ptr 0
		.amdhsa_user_sgpr_queue_ptr 0
		.amdhsa_user_sgpr_kernarg_segment_ptr 1
		.amdhsa_user_sgpr_dispatch_id 0
		.amdhsa_user_sgpr_flat_scratch_init 0
		.amdhsa_user_sgpr_private_segment_size 0
		.amdhsa_uses_dynamic_stack 0
		.amdhsa_system_sgpr_private_segment_wavefront_offset 0
		.amdhsa_system_sgpr_workgroup_id_x 1
		.amdhsa_system_sgpr_workgroup_id_y 0
		.amdhsa_system_sgpr_workgroup_id_z 0
		.amdhsa_system_sgpr_workgroup_info 0
		.amdhsa_system_vgpr_workitem_id 0
		.amdhsa_next_free_vgpr 1
		.amdhsa_next_free_sgpr 0
		.amdhsa_reserve_vcc 0
		.amdhsa_reserve_flat_scratch 0
		.amdhsa_float_round_mode_32 0
		.amdhsa_float_round_mode_16_64 0
		.amdhsa_float_denorm_mode_32 3
		.amdhsa_float_denorm_mode_16_64 3
		.amdhsa_dx10_clamp 1
		.amdhsa_ieee_mode 1
		.amdhsa_fp16_overflow 0
		.amdhsa_exception_fp_ieee_invalid_op 0
		.amdhsa_exception_fp_denorm_src 0
		.amdhsa_exception_fp_ieee_div_zero 0
		.amdhsa_exception_fp_ieee_overflow 0
		.amdhsa_exception_fp_ieee_underflow 0
		.amdhsa_exception_fp_ieee_inexact 0
		.amdhsa_exception_int_div_zero 0
	.end_amdhsa_kernel
	.section	.text._ZN7rocprim17ROCPRIM_400000_NS6detail17trampoline_kernelINS0_14default_configENS1_32segmented_reduce_config_selectorIN3c108BFloat16EEEZNS1_21segmented_reduce_implIS3_PKS6_PS6_PKiS6_N6hipcub16HIPCUB_304000_NS6detail27convert_result_type_wrapperISA_SB_N2at6native12_GLOBAL__N_110CustomProdEEEEE10hipError_tPvRmT0_T1_jT2_SS_T4_T3_P12ihipStream_tbEUlT_E_NS1_11comp_targetILNS1_3genE10ELNS1_11target_archE1201ELNS1_3gpuE5ELNS1_3repE0EEENS1_30default_config_static_selectorELNS0_4arch9wavefront6targetE1EEEvSR_,"axG",@progbits,_ZN7rocprim17ROCPRIM_400000_NS6detail17trampoline_kernelINS0_14default_configENS1_32segmented_reduce_config_selectorIN3c108BFloat16EEEZNS1_21segmented_reduce_implIS3_PKS6_PS6_PKiS6_N6hipcub16HIPCUB_304000_NS6detail27convert_result_type_wrapperISA_SB_N2at6native12_GLOBAL__N_110CustomProdEEEEE10hipError_tPvRmT0_T1_jT2_SS_T4_T3_P12ihipStream_tbEUlT_E_NS1_11comp_targetILNS1_3genE10ELNS1_11target_archE1201ELNS1_3gpuE5ELNS1_3repE0EEENS1_30default_config_static_selectorELNS0_4arch9wavefront6targetE1EEEvSR_,comdat
.Lfunc_end138:
	.size	_ZN7rocprim17ROCPRIM_400000_NS6detail17trampoline_kernelINS0_14default_configENS1_32segmented_reduce_config_selectorIN3c108BFloat16EEEZNS1_21segmented_reduce_implIS3_PKS6_PS6_PKiS6_N6hipcub16HIPCUB_304000_NS6detail27convert_result_type_wrapperISA_SB_N2at6native12_GLOBAL__N_110CustomProdEEEEE10hipError_tPvRmT0_T1_jT2_SS_T4_T3_P12ihipStream_tbEUlT_E_NS1_11comp_targetILNS1_3genE10ELNS1_11target_archE1201ELNS1_3gpuE5ELNS1_3repE0EEENS1_30default_config_static_selectorELNS0_4arch9wavefront6targetE1EEEvSR_, .Lfunc_end138-_ZN7rocprim17ROCPRIM_400000_NS6detail17trampoline_kernelINS0_14default_configENS1_32segmented_reduce_config_selectorIN3c108BFloat16EEEZNS1_21segmented_reduce_implIS3_PKS6_PS6_PKiS6_N6hipcub16HIPCUB_304000_NS6detail27convert_result_type_wrapperISA_SB_N2at6native12_GLOBAL__N_110CustomProdEEEEE10hipError_tPvRmT0_T1_jT2_SS_T4_T3_P12ihipStream_tbEUlT_E_NS1_11comp_targetILNS1_3genE10ELNS1_11target_archE1201ELNS1_3gpuE5ELNS1_3repE0EEENS1_30default_config_static_selectorELNS0_4arch9wavefront6targetE1EEEvSR_
                                        ; -- End function
	.set _ZN7rocprim17ROCPRIM_400000_NS6detail17trampoline_kernelINS0_14default_configENS1_32segmented_reduce_config_selectorIN3c108BFloat16EEEZNS1_21segmented_reduce_implIS3_PKS6_PS6_PKiS6_N6hipcub16HIPCUB_304000_NS6detail27convert_result_type_wrapperISA_SB_N2at6native12_GLOBAL__N_110CustomProdEEEEE10hipError_tPvRmT0_T1_jT2_SS_T4_T3_P12ihipStream_tbEUlT_E_NS1_11comp_targetILNS1_3genE10ELNS1_11target_archE1201ELNS1_3gpuE5ELNS1_3repE0EEENS1_30default_config_static_selectorELNS0_4arch9wavefront6targetE1EEEvSR_.num_vgpr, 0
	.set _ZN7rocprim17ROCPRIM_400000_NS6detail17trampoline_kernelINS0_14default_configENS1_32segmented_reduce_config_selectorIN3c108BFloat16EEEZNS1_21segmented_reduce_implIS3_PKS6_PS6_PKiS6_N6hipcub16HIPCUB_304000_NS6detail27convert_result_type_wrapperISA_SB_N2at6native12_GLOBAL__N_110CustomProdEEEEE10hipError_tPvRmT0_T1_jT2_SS_T4_T3_P12ihipStream_tbEUlT_E_NS1_11comp_targetILNS1_3genE10ELNS1_11target_archE1201ELNS1_3gpuE5ELNS1_3repE0EEENS1_30default_config_static_selectorELNS0_4arch9wavefront6targetE1EEEvSR_.num_agpr, 0
	.set _ZN7rocprim17ROCPRIM_400000_NS6detail17trampoline_kernelINS0_14default_configENS1_32segmented_reduce_config_selectorIN3c108BFloat16EEEZNS1_21segmented_reduce_implIS3_PKS6_PS6_PKiS6_N6hipcub16HIPCUB_304000_NS6detail27convert_result_type_wrapperISA_SB_N2at6native12_GLOBAL__N_110CustomProdEEEEE10hipError_tPvRmT0_T1_jT2_SS_T4_T3_P12ihipStream_tbEUlT_E_NS1_11comp_targetILNS1_3genE10ELNS1_11target_archE1201ELNS1_3gpuE5ELNS1_3repE0EEENS1_30default_config_static_selectorELNS0_4arch9wavefront6targetE1EEEvSR_.numbered_sgpr, 0
	.set _ZN7rocprim17ROCPRIM_400000_NS6detail17trampoline_kernelINS0_14default_configENS1_32segmented_reduce_config_selectorIN3c108BFloat16EEEZNS1_21segmented_reduce_implIS3_PKS6_PS6_PKiS6_N6hipcub16HIPCUB_304000_NS6detail27convert_result_type_wrapperISA_SB_N2at6native12_GLOBAL__N_110CustomProdEEEEE10hipError_tPvRmT0_T1_jT2_SS_T4_T3_P12ihipStream_tbEUlT_E_NS1_11comp_targetILNS1_3genE10ELNS1_11target_archE1201ELNS1_3gpuE5ELNS1_3repE0EEENS1_30default_config_static_selectorELNS0_4arch9wavefront6targetE1EEEvSR_.num_named_barrier, 0
	.set _ZN7rocprim17ROCPRIM_400000_NS6detail17trampoline_kernelINS0_14default_configENS1_32segmented_reduce_config_selectorIN3c108BFloat16EEEZNS1_21segmented_reduce_implIS3_PKS6_PS6_PKiS6_N6hipcub16HIPCUB_304000_NS6detail27convert_result_type_wrapperISA_SB_N2at6native12_GLOBAL__N_110CustomProdEEEEE10hipError_tPvRmT0_T1_jT2_SS_T4_T3_P12ihipStream_tbEUlT_E_NS1_11comp_targetILNS1_3genE10ELNS1_11target_archE1201ELNS1_3gpuE5ELNS1_3repE0EEENS1_30default_config_static_selectorELNS0_4arch9wavefront6targetE1EEEvSR_.private_seg_size, 0
	.set _ZN7rocprim17ROCPRIM_400000_NS6detail17trampoline_kernelINS0_14default_configENS1_32segmented_reduce_config_selectorIN3c108BFloat16EEEZNS1_21segmented_reduce_implIS3_PKS6_PS6_PKiS6_N6hipcub16HIPCUB_304000_NS6detail27convert_result_type_wrapperISA_SB_N2at6native12_GLOBAL__N_110CustomProdEEEEE10hipError_tPvRmT0_T1_jT2_SS_T4_T3_P12ihipStream_tbEUlT_E_NS1_11comp_targetILNS1_3genE10ELNS1_11target_archE1201ELNS1_3gpuE5ELNS1_3repE0EEENS1_30default_config_static_selectorELNS0_4arch9wavefront6targetE1EEEvSR_.uses_vcc, 0
	.set _ZN7rocprim17ROCPRIM_400000_NS6detail17trampoline_kernelINS0_14default_configENS1_32segmented_reduce_config_selectorIN3c108BFloat16EEEZNS1_21segmented_reduce_implIS3_PKS6_PS6_PKiS6_N6hipcub16HIPCUB_304000_NS6detail27convert_result_type_wrapperISA_SB_N2at6native12_GLOBAL__N_110CustomProdEEEEE10hipError_tPvRmT0_T1_jT2_SS_T4_T3_P12ihipStream_tbEUlT_E_NS1_11comp_targetILNS1_3genE10ELNS1_11target_archE1201ELNS1_3gpuE5ELNS1_3repE0EEENS1_30default_config_static_selectorELNS0_4arch9wavefront6targetE1EEEvSR_.uses_flat_scratch, 0
	.set _ZN7rocprim17ROCPRIM_400000_NS6detail17trampoline_kernelINS0_14default_configENS1_32segmented_reduce_config_selectorIN3c108BFloat16EEEZNS1_21segmented_reduce_implIS3_PKS6_PS6_PKiS6_N6hipcub16HIPCUB_304000_NS6detail27convert_result_type_wrapperISA_SB_N2at6native12_GLOBAL__N_110CustomProdEEEEE10hipError_tPvRmT0_T1_jT2_SS_T4_T3_P12ihipStream_tbEUlT_E_NS1_11comp_targetILNS1_3genE10ELNS1_11target_archE1201ELNS1_3gpuE5ELNS1_3repE0EEENS1_30default_config_static_selectorELNS0_4arch9wavefront6targetE1EEEvSR_.has_dyn_sized_stack, 0
	.set _ZN7rocprim17ROCPRIM_400000_NS6detail17trampoline_kernelINS0_14default_configENS1_32segmented_reduce_config_selectorIN3c108BFloat16EEEZNS1_21segmented_reduce_implIS3_PKS6_PS6_PKiS6_N6hipcub16HIPCUB_304000_NS6detail27convert_result_type_wrapperISA_SB_N2at6native12_GLOBAL__N_110CustomProdEEEEE10hipError_tPvRmT0_T1_jT2_SS_T4_T3_P12ihipStream_tbEUlT_E_NS1_11comp_targetILNS1_3genE10ELNS1_11target_archE1201ELNS1_3gpuE5ELNS1_3repE0EEENS1_30default_config_static_selectorELNS0_4arch9wavefront6targetE1EEEvSR_.has_recursion, 0
	.set _ZN7rocprim17ROCPRIM_400000_NS6detail17trampoline_kernelINS0_14default_configENS1_32segmented_reduce_config_selectorIN3c108BFloat16EEEZNS1_21segmented_reduce_implIS3_PKS6_PS6_PKiS6_N6hipcub16HIPCUB_304000_NS6detail27convert_result_type_wrapperISA_SB_N2at6native12_GLOBAL__N_110CustomProdEEEEE10hipError_tPvRmT0_T1_jT2_SS_T4_T3_P12ihipStream_tbEUlT_E_NS1_11comp_targetILNS1_3genE10ELNS1_11target_archE1201ELNS1_3gpuE5ELNS1_3repE0EEENS1_30default_config_static_selectorELNS0_4arch9wavefront6targetE1EEEvSR_.has_indirect_call, 0
	.section	.AMDGPU.csdata,"",@progbits
; Kernel info:
; codeLenInByte = 0
; TotalNumSgprs: 4
; NumVgprs: 0
; ScratchSize: 0
; MemoryBound: 0
; FloatMode: 240
; IeeeMode: 1
; LDSByteSize: 0 bytes/workgroup (compile time only)
; SGPRBlocks: 0
; VGPRBlocks: 0
; NumSGPRsForWavesPerEU: 4
; NumVGPRsForWavesPerEU: 1
; Occupancy: 10
; WaveLimiterHint : 0
; COMPUTE_PGM_RSRC2:SCRATCH_EN: 0
; COMPUTE_PGM_RSRC2:USER_SGPR: 6
; COMPUTE_PGM_RSRC2:TRAP_HANDLER: 0
; COMPUTE_PGM_RSRC2:TGID_X_EN: 1
; COMPUTE_PGM_RSRC2:TGID_Y_EN: 0
; COMPUTE_PGM_RSRC2:TGID_Z_EN: 0
; COMPUTE_PGM_RSRC2:TIDIG_COMP_CNT: 0
	.section	.text._ZN7rocprim17ROCPRIM_400000_NS6detail17trampoline_kernelINS0_14default_configENS1_32segmented_reduce_config_selectorIN3c108BFloat16EEEZNS1_21segmented_reduce_implIS3_PKS6_PS6_PKiS6_N6hipcub16HIPCUB_304000_NS6detail27convert_result_type_wrapperISA_SB_N2at6native12_GLOBAL__N_110CustomProdEEEEE10hipError_tPvRmT0_T1_jT2_SS_T4_T3_P12ihipStream_tbEUlT_E_NS1_11comp_targetILNS1_3genE4ELNS1_11target_archE910ELNS1_3gpuE8ELNS1_3repE0EEENS1_30default_config_static_selectorELNS0_4arch9wavefront6targetE1EEEvSR_,"axG",@progbits,_ZN7rocprim17ROCPRIM_400000_NS6detail17trampoline_kernelINS0_14default_configENS1_32segmented_reduce_config_selectorIN3c108BFloat16EEEZNS1_21segmented_reduce_implIS3_PKS6_PS6_PKiS6_N6hipcub16HIPCUB_304000_NS6detail27convert_result_type_wrapperISA_SB_N2at6native12_GLOBAL__N_110CustomProdEEEEE10hipError_tPvRmT0_T1_jT2_SS_T4_T3_P12ihipStream_tbEUlT_E_NS1_11comp_targetILNS1_3genE4ELNS1_11target_archE910ELNS1_3gpuE8ELNS1_3repE0EEENS1_30default_config_static_selectorELNS0_4arch9wavefront6targetE1EEEvSR_,comdat
	.globl	_ZN7rocprim17ROCPRIM_400000_NS6detail17trampoline_kernelINS0_14default_configENS1_32segmented_reduce_config_selectorIN3c108BFloat16EEEZNS1_21segmented_reduce_implIS3_PKS6_PS6_PKiS6_N6hipcub16HIPCUB_304000_NS6detail27convert_result_type_wrapperISA_SB_N2at6native12_GLOBAL__N_110CustomProdEEEEE10hipError_tPvRmT0_T1_jT2_SS_T4_T3_P12ihipStream_tbEUlT_E_NS1_11comp_targetILNS1_3genE4ELNS1_11target_archE910ELNS1_3gpuE8ELNS1_3repE0EEENS1_30default_config_static_selectorELNS0_4arch9wavefront6targetE1EEEvSR_ ; -- Begin function _ZN7rocprim17ROCPRIM_400000_NS6detail17trampoline_kernelINS0_14default_configENS1_32segmented_reduce_config_selectorIN3c108BFloat16EEEZNS1_21segmented_reduce_implIS3_PKS6_PS6_PKiS6_N6hipcub16HIPCUB_304000_NS6detail27convert_result_type_wrapperISA_SB_N2at6native12_GLOBAL__N_110CustomProdEEEEE10hipError_tPvRmT0_T1_jT2_SS_T4_T3_P12ihipStream_tbEUlT_E_NS1_11comp_targetILNS1_3genE4ELNS1_11target_archE910ELNS1_3gpuE8ELNS1_3repE0EEENS1_30default_config_static_selectorELNS0_4arch9wavefront6targetE1EEEvSR_
	.p2align	8
	.type	_ZN7rocprim17ROCPRIM_400000_NS6detail17trampoline_kernelINS0_14default_configENS1_32segmented_reduce_config_selectorIN3c108BFloat16EEEZNS1_21segmented_reduce_implIS3_PKS6_PS6_PKiS6_N6hipcub16HIPCUB_304000_NS6detail27convert_result_type_wrapperISA_SB_N2at6native12_GLOBAL__N_110CustomProdEEEEE10hipError_tPvRmT0_T1_jT2_SS_T4_T3_P12ihipStream_tbEUlT_E_NS1_11comp_targetILNS1_3genE4ELNS1_11target_archE910ELNS1_3gpuE8ELNS1_3repE0EEENS1_30default_config_static_selectorELNS0_4arch9wavefront6targetE1EEEvSR_,@function
_ZN7rocprim17ROCPRIM_400000_NS6detail17trampoline_kernelINS0_14default_configENS1_32segmented_reduce_config_selectorIN3c108BFloat16EEEZNS1_21segmented_reduce_implIS3_PKS6_PS6_PKiS6_N6hipcub16HIPCUB_304000_NS6detail27convert_result_type_wrapperISA_SB_N2at6native12_GLOBAL__N_110CustomProdEEEEE10hipError_tPvRmT0_T1_jT2_SS_T4_T3_P12ihipStream_tbEUlT_E_NS1_11comp_targetILNS1_3genE4ELNS1_11target_archE910ELNS1_3gpuE8ELNS1_3repE0EEENS1_30default_config_static_selectorELNS0_4arch9wavefront6targetE1EEEvSR_: ; @_ZN7rocprim17ROCPRIM_400000_NS6detail17trampoline_kernelINS0_14default_configENS1_32segmented_reduce_config_selectorIN3c108BFloat16EEEZNS1_21segmented_reduce_implIS3_PKS6_PS6_PKiS6_N6hipcub16HIPCUB_304000_NS6detail27convert_result_type_wrapperISA_SB_N2at6native12_GLOBAL__N_110CustomProdEEEEE10hipError_tPvRmT0_T1_jT2_SS_T4_T3_P12ihipStream_tbEUlT_E_NS1_11comp_targetILNS1_3genE4ELNS1_11target_archE910ELNS1_3gpuE8ELNS1_3repE0EEENS1_30default_config_static_selectorELNS0_4arch9wavefront6targetE1EEEvSR_
; %bb.0:
	.section	.rodata,"a",@progbits
	.p2align	6, 0x0
	.amdhsa_kernel _ZN7rocprim17ROCPRIM_400000_NS6detail17trampoline_kernelINS0_14default_configENS1_32segmented_reduce_config_selectorIN3c108BFloat16EEEZNS1_21segmented_reduce_implIS3_PKS6_PS6_PKiS6_N6hipcub16HIPCUB_304000_NS6detail27convert_result_type_wrapperISA_SB_N2at6native12_GLOBAL__N_110CustomProdEEEEE10hipError_tPvRmT0_T1_jT2_SS_T4_T3_P12ihipStream_tbEUlT_E_NS1_11comp_targetILNS1_3genE4ELNS1_11target_archE910ELNS1_3gpuE8ELNS1_3repE0EEENS1_30default_config_static_selectorELNS0_4arch9wavefront6targetE1EEEvSR_
		.amdhsa_group_segment_fixed_size 0
		.amdhsa_private_segment_fixed_size 0
		.amdhsa_kernarg_size 48
		.amdhsa_user_sgpr_count 6
		.amdhsa_user_sgpr_private_segment_buffer 1
		.amdhsa_user_sgpr_dispatch_ptr 0
		.amdhsa_user_sgpr_queue_ptr 0
		.amdhsa_user_sgpr_kernarg_segment_ptr 1
		.amdhsa_user_sgpr_dispatch_id 0
		.amdhsa_user_sgpr_flat_scratch_init 0
		.amdhsa_user_sgpr_private_segment_size 0
		.amdhsa_uses_dynamic_stack 0
		.amdhsa_system_sgpr_private_segment_wavefront_offset 0
		.amdhsa_system_sgpr_workgroup_id_x 1
		.amdhsa_system_sgpr_workgroup_id_y 0
		.amdhsa_system_sgpr_workgroup_id_z 0
		.amdhsa_system_sgpr_workgroup_info 0
		.amdhsa_system_vgpr_workitem_id 0
		.amdhsa_next_free_vgpr 1
		.amdhsa_next_free_sgpr 0
		.amdhsa_reserve_vcc 0
		.amdhsa_reserve_flat_scratch 0
		.amdhsa_float_round_mode_32 0
		.amdhsa_float_round_mode_16_64 0
		.amdhsa_float_denorm_mode_32 3
		.amdhsa_float_denorm_mode_16_64 3
		.amdhsa_dx10_clamp 1
		.amdhsa_ieee_mode 1
		.amdhsa_fp16_overflow 0
		.amdhsa_exception_fp_ieee_invalid_op 0
		.amdhsa_exception_fp_denorm_src 0
		.amdhsa_exception_fp_ieee_div_zero 0
		.amdhsa_exception_fp_ieee_overflow 0
		.amdhsa_exception_fp_ieee_underflow 0
		.amdhsa_exception_fp_ieee_inexact 0
		.amdhsa_exception_int_div_zero 0
	.end_amdhsa_kernel
	.section	.text._ZN7rocprim17ROCPRIM_400000_NS6detail17trampoline_kernelINS0_14default_configENS1_32segmented_reduce_config_selectorIN3c108BFloat16EEEZNS1_21segmented_reduce_implIS3_PKS6_PS6_PKiS6_N6hipcub16HIPCUB_304000_NS6detail27convert_result_type_wrapperISA_SB_N2at6native12_GLOBAL__N_110CustomProdEEEEE10hipError_tPvRmT0_T1_jT2_SS_T4_T3_P12ihipStream_tbEUlT_E_NS1_11comp_targetILNS1_3genE4ELNS1_11target_archE910ELNS1_3gpuE8ELNS1_3repE0EEENS1_30default_config_static_selectorELNS0_4arch9wavefront6targetE1EEEvSR_,"axG",@progbits,_ZN7rocprim17ROCPRIM_400000_NS6detail17trampoline_kernelINS0_14default_configENS1_32segmented_reduce_config_selectorIN3c108BFloat16EEEZNS1_21segmented_reduce_implIS3_PKS6_PS6_PKiS6_N6hipcub16HIPCUB_304000_NS6detail27convert_result_type_wrapperISA_SB_N2at6native12_GLOBAL__N_110CustomProdEEEEE10hipError_tPvRmT0_T1_jT2_SS_T4_T3_P12ihipStream_tbEUlT_E_NS1_11comp_targetILNS1_3genE4ELNS1_11target_archE910ELNS1_3gpuE8ELNS1_3repE0EEENS1_30default_config_static_selectorELNS0_4arch9wavefront6targetE1EEEvSR_,comdat
.Lfunc_end139:
	.size	_ZN7rocprim17ROCPRIM_400000_NS6detail17trampoline_kernelINS0_14default_configENS1_32segmented_reduce_config_selectorIN3c108BFloat16EEEZNS1_21segmented_reduce_implIS3_PKS6_PS6_PKiS6_N6hipcub16HIPCUB_304000_NS6detail27convert_result_type_wrapperISA_SB_N2at6native12_GLOBAL__N_110CustomProdEEEEE10hipError_tPvRmT0_T1_jT2_SS_T4_T3_P12ihipStream_tbEUlT_E_NS1_11comp_targetILNS1_3genE4ELNS1_11target_archE910ELNS1_3gpuE8ELNS1_3repE0EEENS1_30default_config_static_selectorELNS0_4arch9wavefront6targetE1EEEvSR_, .Lfunc_end139-_ZN7rocprim17ROCPRIM_400000_NS6detail17trampoline_kernelINS0_14default_configENS1_32segmented_reduce_config_selectorIN3c108BFloat16EEEZNS1_21segmented_reduce_implIS3_PKS6_PS6_PKiS6_N6hipcub16HIPCUB_304000_NS6detail27convert_result_type_wrapperISA_SB_N2at6native12_GLOBAL__N_110CustomProdEEEEE10hipError_tPvRmT0_T1_jT2_SS_T4_T3_P12ihipStream_tbEUlT_E_NS1_11comp_targetILNS1_3genE4ELNS1_11target_archE910ELNS1_3gpuE8ELNS1_3repE0EEENS1_30default_config_static_selectorELNS0_4arch9wavefront6targetE1EEEvSR_
                                        ; -- End function
	.set _ZN7rocprim17ROCPRIM_400000_NS6detail17trampoline_kernelINS0_14default_configENS1_32segmented_reduce_config_selectorIN3c108BFloat16EEEZNS1_21segmented_reduce_implIS3_PKS6_PS6_PKiS6_N6hipcub16HIPCUB_304000_NS6detail27convert_result_type_wrapperISA_SB_N2at6native12_GLOBAL__N_110CustomProdEEEEE10hipError_tPvRmT0_T1_jT2_SS_T4_T3_P12ihipStream_tbEUlT_E_NS1_11comp_targetILNS1_3genE4ELNS1_11target_archE910ELNS1_3gpuE8ELNS1_3repE0EEENS1_30default_config_static_selectorELNS0_4arch9wavefront6targetE1EEEvSR_.num_vgpr, 0
	.set _ZN7rocprim17ROCPRIM_400000_NS6detail17trampoline_kernelINS0_14default_configENS1_32segmented_reduce_config_selectorIN3c108BFloat16EEEZNS1_21segmented_reduce_implIS3_PKS6_PS6_PKiS6_N6hipcub16HIPCUB_304000_NS6detail27convert_result_type_wrapperISA_SB_N2at6native12_GLOBAL__N_110CustomProdEEEEE10hipError_tPvRmT0_T1_jT2_SS_T4_T3_P12ihipStream_tbEUlT_E_NS1_11comp_targetILNS1_3genE4ELNS1_11target_archE910ELNS1_3gpuE8ELNS1_3repE0EEENS1_30default_config_static_selectorELNS0_4arch9wavefront6targetE1EEEvSR_.num_agpr, 0
	.set _ZN7rocprim17ROCPRIM_400000_NS6detail17trampoline_kernelINS0_14default_configENS1_32segmented_reduce_config_selectorIN3c108BFloat16EEEZNS1_21segmented_reduce_implIS3_PKS6_PS6_PKiS6_N6hipcub16HIPCUB_304000_NS6detail27convert_result_type_wrapperISA_SB_N2at6native12_GLOBAL__N_110CustomProdEEEEE10hipError_tPvRmT0_T1_jT2_SS_T4_T3_P12ihipStream_tbEUlT_E_NS1_11comp_targetILNS1_3genE4ELNS1_11target_archE910ELNS1_3gpuE8ELNS1_3repE0EEENS1_30default_config_static_selectorELNS0_4arch9wavefront6targetE1EEEvSR_.numbered_sgpr, 0
	.set _ZN7rocprim17ROCPRIM_400000_NS6detail17trampoline_kernelINS0_14default_configENS1_32segmented_reduce_config_selectorIN3c108BFloat16EEEZNS1_21segmented_reduce_implIS3_PKS6_PS6_PKiS6_N6hipcub16HIPCUB_304000_NS6detail27convert_result_type_wrapperISA_SB_N2at6native12_GLOBAL__N_110CustomProdEEEEE10hipError_tPvRmT0_T1_jT2_SS_T4_T3_P12ihipStream_tbEUlT_E_NS1_11comp_targetILNS1_3genE4ELNS1_11target_archE910ELNS1_3gpuE8ELNS1_3repE0EEENS1_30default_config_static_selectorELNS0_4arch9wavefront6targetE1EEEvSR_.num_named_barrier, 0
	.set _ZN7rocprim17ROCPRIM_400000_NS6detail17trampoline_kernelINS0_14default_configENS1_32segmented_reduce_config_selectorIN3c108BFloat16EEEZNS1_21segmented_reduce_implIS3_PKS6_PS6_PKiS6_N6hipcub16HIPCUB_304000_NS6detail27convert_result_type_wrapperISA_SB_N2at6native12_GLOBAL__N_110CustomProdEEEEE10hipError_tPvRmT0_T1_jT2_SS_T4_T3_P12ihipStream_tbEUlT_E_NS1_11comp_targetILNS1_3genE4ELNS1_11target_archE910ELNS1_3gpuE8ELNS1_3repE0EEENS1_30default_config_static_selectorELNS0_4arch9wavefront6targetE1EEEvSR_.private_seg_size, 0
	.set _ZN7rocprim17ROCPRIM_400000_NS6detail17trampoline_kernelINS0_14default_configENS1_32segmented_reduce_config_selectorIN3c108BFloat16EEEZNS1_21segmented_reduce_implIS3_PKS6_PS6_PKiS6_N6hipcub16HIPCUB_304000_NS6detail27convert_result_type_wrapperISA_SB_N2at6native12_GLOBAL__N_110CustomProdEEEEE10hipError_tPvRmT0_T1_jT2_SS_T4_T3_P12ihipStream_tbEUlT_E_NS1_11comp_targetILNS1_3genE4ELNS1_11target_archE910ELNS1_3gpuE8ELNS1_3repE0EEENS1_30default_config_static_selectorELNS0_4arch9wavefront6targetE1EEEvSR_.uses_vcc, 0
	.set _ZN7rocprim17ROCPRIM_400000_NS6detail17trampoline_kernelINS0_14default_configENS1_32segmented_reduce_config_selectorIN3c108BFloat16EEEZNS1_21segmented_reduce_implIS3_PKS6_PS6_PKiS6_N6hipcub16HIPCUB_304000_NS6detail27convert_result_type_wrapperISA_SB_N2at6native12_GLOBAL__N_110CustomProdEEEEE10hipError_tPvRmT0_T1_jT2_SS_T4_T3_P12ihipStream_tbEUlT_E_NS1_11comp_targetILNS1_3genE4ELNS1_11target_archE910ELNS1_3gpuE8ELNS1_3repE0EEENS1_30default_config_static_selectorELNS0_4arch9wavefront6targetE1EEEvSR_.uses_flat_scratch, 0
	.set _ZN7rocprim17ROCPRIM_400000_NS6detail17trampoline_kernelINS0_14default_configENS1_32segmented_reduce_config_selectorIN3c108BFloat16EEEZNS1_21segmented_reduce_implIS3_PKS6_PS6_PKiS6_N6hipcub16HIPCUB_304000_NS6detail27convert_result_type_wrapperISA_SB_N2at6native12_GLOBAL__N_110CustomProdEEEEE10hipError_tPvRmT0_T1_jT2_SS_T4_T3_P12ihipStream_tbEUlT_E_NS1_11comp_targetILNS1_3genE4ELNS1_11target_archE910ELNS1_3gpuE8ELNS1_3repE0EEENS1_30default_config_static_selectorELNS0_4arch9wavefront6targetE1EEEvSR_.has_dyn_sized_stack, 0
	.set _ZN7rocprim17ROCPRIM_400000_NS6detail17trampoline_kernelINS0_14default_configENS1_32segmented_reduce_config_selectorIN3c108BFloat16EEEZNS1_21segmented_reduce_implIS3_PKS6_PS6_PKiS6_N6hipcub16HIPCUB_304000_NS6detail27convert_result_type_wrapperISA_SB_N2at6native12_GLOBAL__N_110CustomProdEEEEE10hipError_tPvRmT0_T1_jT2_SS_T4_T3_P12ihipStream_tbEUlT_E_NS1_11comp_targetILNS1_3genE4ELNS1_11target_archE910ELNS1_3gpuE8ELNS1_3repE0EEENS1_30default_config_static_selectorELNS0_4arch9wavefront6targetE1EEEvSR_.has_recursion, 0
	.set _ZN7rocprim17ROCPRIM_400000_NS6detail17trampoline_kernelINS0_14default_configENS1_32segmented_reduce_config_selectorIN3c108BFloat16EEEZNS1_21segmented_reduce_implIS3_PKS6_PS6_PKiS6_N6hipcub16HIPCUB_304000_NS6detail27convert_result_type_wrapperISA_SB_N2at6native12_GLOBAL__N_110CustomProdEEEEE10hipError_tPvRmT0_T1_jT2_SS_T4_T3_P12ihipStream_tbEUlT_E_NS1_11comp_targetILNS1_3genE4ELNS1_11target_archE910ELNS1_3gpuE8ELNS1_3repE0EEENS1_30default_config_static_selectorELNS0_4arch9wavefront6targetE1EEEvSR_.has_indirect_call, 0
	.section	.AMDGPU.csdata,"",@progbits
; Kernel info:
; codeLenInByte = 0
; TotalNumSgprs: 4
; NumVgprs: 0
; ScratchSize: 0
; MemoryBound: 0
; FloatMode: 240
; IeeeMode: 1
; LDSByteSize: 0 bytes/workgroup (compile time only)
; SGPRBlocks: 0
; VGPRBlocks: 0
; NumSGPRsForWavesPerEU: 4
; NumVGPRsForWavesPerEU: 1
; Occupancy: 10
; WaveLimiterHint : 0
; COMPUTE_PGM_RSRC2:SCRATCH_EN: 0
; COMPUTE_PGM_RSRC2:USER_SGPR: 6
; COMPUTE_PGM_RSRC2:TRAP_HANDLER: 0
; COMPUTE_PGM_RSRC2:TGID_X_EN: 1
; COMPUTE_PGM_RSRC2:TGID_Y_EN: 0
; COMPUTE_PGM_RSRC2:TGID_Z_EN: 0
; COMPUTE_PGM_RSRC2:TIDIG_COMP_CNT: 0
	.section	.text._ZN7rocprim17ROCPRIM_400000_NS6detail17trampoline_kernelINS0_14default_configENS1_32segmented_reduce_config_selectorIN3c108BFloat16EEEZNS1_21segmented_reduce_implIS3_PKS6_PS6_PKiS6_N6hipcub16HIPCUB_304000_NS6detail27convert_result_type_wrapperISA_SB_N2at6native12_GLOBAL__N_110CustomProdEEEEE10hipError_tPvRmT0_T1_jT2_SS_T4_T3_P12ihipStream_tbEUlT_E_NS1_11comp_targetILNS1_3genE3ELNS1_11target_archE908ELNS1_3gpuE7ELNS1_3repE0EEENS1_30default_config_static_selectorELNS0_4arch9wavefront6targetE1EEEvSR_,"axG",@progbits,_ZN7rocprim17ROCPRIM_400000_NS6detail17trampoline_kernelINS0_14default_configENS1_32segmented_reduce_config_selectorIN3c108BFloat16EEEZNS1_21segmented_reduce_implIS3_PKS6_PS6_PKiS6_N6hipcub16HIPCUB_304000_NS6detail27convert_result_type_wrapperISA_SB_N2at6native12_GLOBAL__N_110CustomProdEEEEE10hipError_tPvRmT0_T1_jT2_SS_T4_T3_P12ihipStream_tbEUlT_E_NS1_11comp_targetILNS1_3genE3ELNS1_11target_archE908ELNS1_3gpuE7ELNS1_3repE0EEENS1_30default_config_static_selectorELNS0_4arch9wavefront6targetE1EEEvSR_,comdat
	.globl	_ZN7rocprim17ROCPRIM_400000_NS6detail17trampoline_kernelINS0_14default_configENS1_32segmented_reduce_config_selectorIN3c108BFloat16EEEZNS1_21segmented_reduce_implIS3_PKS6_PS6_PKiS6_N6hipcub16HIPCUB_304000_NS6detail27convert_result_type_wrapperISA_SB_N2at6native12_GLOBAL__N_110CustomProdEEEEE10hipError_tPvRmT0_T1_jT2_SS_T4_T3_P12ihipStream_tbEUlT_E_NS1_11comp_targetILNS1_3genE3ELNS1_11target_archE908ELNS1_3gpuE7ELNS1_3repE0EEENS1_30default_config_static_selectorELNS0_4arch9wavefront6targetE1EEEvSR_ ; -- Begin function _ZN7rocprim17ROCPRIM_400000_NS6detail17trampoline_kernelINS0_14default_configENS1_32segmented_reduce_config_selectorIN3c108BFloat16EEEZNS1_21segmented_reduce_implIS3_PKS6_PS6_PKiS6_N6hipcub16HIPCUB_304000_NS6detail27convert_result_type_wrapperISA_SB_N2at6native12_GLOBAL__N_110CustomProdEEEEE10hipError_tPvRmT0_T1_jT2_SS_T4_T3_P12ihipStream_tbEUlT_E_NS1_11comp_targetILNS1_3genE3ELNS1_11target_archE908ELNS1_3gpuE7ELNS1_3repE0EEENS1_30default_config_static_selectorELNS0_4arch9wavefront6targetE1EEEvSR_
	.p2align	8
	.type	_ZN7rocprim17ROCPRIM_400000_NS6detail17trampoline_kernelINS0_14default_configENS1_32segmented_reduce_config_selectorIN3c108BFloat16EEEZNS1_21segmented_reduce_implIS3_PKS6_PS6_PKiS6_N6hipcub16HIPCUB_304000_NS6detail27convert_result_type_wrapperISA_SB_N2at6native12_GLOBAL__N_110CustomProdEEEEE10hipError_tPvRmT0_T1_jT2_SS_T4_T3_P12ihipStream_tbEUlT_E_NS1_11comp_targetILNS1_3genE3ELNS1_11target_archE908ELNS1_3gpuE7ELNS1_3repE0EEENS1_30default_config_static_selectorELNS0_4arch9wavefront6targetE1EEEvSR_,@function
_ZN7rocprim17ROCPRIM_400000_NS6detail17trampoline_kernelINS0_14default_configENS1_32segmented_reduce_config_selectorIN3c108BFloat16EEEZNS1_21segmented_reduce_implIS3_PKS6_PS6_PKiS6_N6hipcub16HIPCUB_304000_NS6detail27convert_result_type_wrapperISA_SB_N2at6native12_GLOBAL__N_110CustomProdEEEEE10hipError_tPvRmT0_T1_jT2_SS_T4_T3_P12ihipStream_tbEUlT_E_NS1_11comp_targetILNS1_3genE3ELNS1_11target_archE908ELNS1_3gpuE7ELNS1_3repE0EEENS1_30default_config_static_selectorELNS0_4arch9wavefront6targetE1EEEvSR_: ; @_ZN7rocprim17ROCPRIM_400000_NS6detail17trampoline_kernelINS0_14default_configENS1_32segmented_reduce_config_selectorIN3c108BFloat16EEEZNS1_21segmented_reduce_implIS3_PKS6_PS6_PKiS6_N6hipcub16HIPCUB_304000_NS6detail27convert_result_type_wrapperISA_SB_N2at6native12_GLOBAL__N_110CustomProdEEEEE10hipError_tPvRmT0_T1_jT2_SS_T4_T3_P12ihipStream_tbEUlT_E_NS1_11comp_targetILNS1_3genE3ELNS1_11target_archE908ELNS1_3gpuE7ELNS1_3repE0EEENS1_30default_config_static_selectorELNS0_4arch9wavefront6targetE1EEEvSR_
; %bb.0:
	.section	.rodata,"a",@progbits
	.p2align	6, 0x0
	.amdhsa_kernel _ZN7rocprim17ROCPRIM_400000_NS6detail17trampoline_kernelINS0_14default_configENS1_32segmented_reduce_config_selectorIN3c108BFloat16EEEZNS1_21segmented_reduce_implIS3_PKS6_PS6_PKiS6_N6hipcub16HIPCUB_304000_NS6detail27convert_result_type_wrapperISA_SB_N2at6native12_GLOBAL__N_110CustomProdEEEEE10hipError_tPvRmT0_T1_jT2_SS_T4_T3_P12ihipStream_tbEUlT_E_NS1_11comp_targetILNS1_3genE3ELNS1_11target_archE908ELNS1_3gpuE7ELNS1_3repE0EEENS1_30default_config_static_selectorELNS0_4arch9wavefront6targetE1EEEvSR_
		.amdhsa_group_segment_fixed_size 0
		.amdhsa_private_segment_fixed_size 0
		.amdhsa_kernarg_size 48
		.amdhsa_user_sgpr_count 6
		.amdhsa_user_sgpr_private_segment_buffer 1
		.amdhsa_user_sgpr_dispatch_ptr 0
		.amdhsa_user_sgpr_queue_ptr 0
		.amdhsa_user_sgpr_kernarg_segment_ptr 1
		.amdhsa_user_sgpr_dispatch_id 0
		.amdhsa_user_sgpr_flat_scratch_init 0
		.amdhsa_user_sgpr_private_segment_size 0
		.amdhsa_uses_dynamic_stack 0
		.amdhsa_system_sgpr_private_segment_wavefront_offset 0
		.amdhsa_system_sgpr_workgroup_id_x 1
		.amdhsa_system_sgpr_workgroup_id_y 0
		.amdhsa_system_sgpr_workgroup_id_z 0
		.amdhsa_system_sgpr_workgroup_info 0
		.amdhsa_system_vgpr_workitem_id 0
		.amdhsa_next_free_vgpr 1
		.amdhsa_next_free_sgpr 0
		.amdhsa_reserve_vcc 0
		.amdhsa_reserve_flat_scratch 0
		.amdhsa_float_round_mode_32 0
		.amdhsa_float_round_mode_16_64 0
		.amdhsa_float_denorm_mode_32 3
		.amdhsa_float_denorm_mode_16_64 3
		.amdhsa_dx10_clamp 1
		.amdhsa_ieee_mode 1
		.amdhsa_fp16_overflow 0
		.amdhsa_exception_fp_ieee_invalid_op 0
		.amdhsa_exception_fp_denorm_src 0
		.amdhsa_exception_fp_ieee_div_zero 0
		.amdhsa_exception_fp_ieee_overflow 0
		.amdhsa_exception_fp_ieee_underflow 0
		.amdhsa_exception_fp_ieee_inexact 0
		.amdhsa_exception_int_div_zero 0
	.end_amdhsa_kernel
	.section	.text._ZN7rocprim17ROCPRIM_400000_NS6detail17trampoline_kernelINS0_14default_configENS1_32segmented_reduce_config_selectorIN3c108BFloat16EEEZNS1_21segmented_reduce_implIS3_PKS6_PS6_PKiS6_N6hipcub16HIPCUB_304000_NS6detail27convert_result_type_wrapperISA_SB_N2at6native12_GLOBAL__N_110CustomProdEEEEE10hipError_tPvRmT0_T1_jT2_SS_T4_T3_P12ihipStream_tbEUlT_E_NS1_11comp_targetILNS1_3genE3ELNS1_11target_archE908ELNS1_3gpuE7ELNS1_3repE0EEENS1_30default_config_static_selectorELNS0_4arch9wavefront6targetE1EEEvSR_,"axG",@progbits,_ZN7rocprim17ROCPRIM_400000_NS6detail17trampoline_kernelINS0_14default_configENS1_32segmented_reduce_config_selectorIN3c108BFloat16EEEZNS1_21segmented_reduce_implIS3_PKS6_PS6_PKiS6_N6hipcub16HIPCUB_304000_NS6detail27convert_result_type_wrapperISA_SB_N2at6native12_GLOBAL__N_110CustomProdEEEEE10hipError_tPvRmT0_T1_jT2_SS_T4_T3_P12ihipStream_tbEUlT_E_NS1_11comp_targetILNS1_3genE3ELNS1_11target_archE908ELNS1_3gpuE7ELNS1_3repE0EEENS1_30default_config_static_selectorELNS0_4arch9wavefront6targetE1EEEvSR_,comdat
.Lfunc_end140:
	.size	_ZN7rocprim17ROCPRIM_400000_NS6detail17trampoline_kernelINS0_14default_configENS1_32segmented_reduce_config_selectorIN3c108BFloat16EEEZNS1_21segmented_reduce_implIS3_PKS6_PS6_PKiS6_N6hipcub16HIPCUB_304000_NS6detail27convert_result_type_wrapperISA_SB_N2at6native12_GLOBAL__N_110CustomProdEEEEE10hipError_tPvRmT0_T1_jT2_SS_T4_T3_P12ihipStream_tbEUlT_E_NS1_11comp_targetILNS1_3genE3ELNS1_11target_archE908ELNS1_3gpuE7ELNS1_3repE0EEENS1_30default_config_static_selectorELNS0_4arch9wavefront6targetE1EEEvSR_, .Lfunc_end140-_ZN7rocprim17ROCPRIM_400000_NS6detail17trampoline_kernelINS0_14default_configENS1_32segmented_reduce_config_selectorIN3c108BFloat16EEEZNS1_21segmented_reduce_implIS3_PKS6_PS6_PKiS6_N6hipcub16HIPCUB_304000_NS6detail27convert_result_type_wrapperISA_SB_N2at6native12_GLOBAL__N_110CustomProdEEEEE10hipError_tPvRmT0_T1_jT2_SS_T4_T3_P12ihipStream_tbEUlT_E_NS1_11comp_targetILNS1_3genE3ELNS1_11target_archE908ELNS1_3gpuE7ELNS1_3repE0EEENS1_30default_config_static_selectorELNS0_4arch9wavefront6targetE1EEEvSR_
                                        ; -- End function
	.set _ZN7rocprim17ROCPRIM_400000_NS6detail17trampoline_kernelINS0_14default_configENS1_32segmented_reduce_config_selectorIN3c108BFloat16EEEZNS1_21segmented_reduce_implIS3_PKS6_PS6_PKiS6_N6hipcub16HIPCUB_304000_NS6detail27convert_result_type_wrapperISA_SB_N2at6native12_GLOBAL__N_110CustomProdEEEEE10hipError_tPvRmT0_T1_jT2_SS_T4_T3_P12ihipStream_tbEUlT_E_NS1_11comp_targetILNS1_3genE3ELNS1_11target_archE908ELNS1_3gpuE7ELNS1_3repE0EEENS1_30default_config_static_selectorELNS0_4arch9wavefront6targetE1EEEvSR_.num_vgpr, 0
	.set _ZN7rocprim17ROCPRIM_400000_NS6detail17trampoline_kernelINS0_14default_configENS1_32segmented_reduce_config_selectorIN3c108BFloat16EEEZNS1_21segmented_reduce_implIS3_PKS6_PS6_PKiS6_N6hipcub16HIPCUB_304000_NS6detail27convert_result_type_wrapperISA_SB_N2at6native12_GLOBAL__N_110CustomProdEEEEE10hipError_tPvRmT0_T1_jT2_SS_T4_T3_P12ihipStream_tbEUlT_E_NS1_11comp_targetILNS1_3genE3ELNS1_11target_archE908ELNS1_3gpuE7ELNS1_3repE0EEENS1_30default_config_static_selectorELNS0_4arch9wavefront6targetE1EEEvSR_.num_agpr, 0
	.set _ZN7rocprim17ROCPRIM_400000_NS6detail17trampoline_kernelINS0_14default_configENS1_32segmented_reduce_config_selectorIN3c108BFloat16EEEZNS1_21segmented_reduce_implIS3_PKS6_PS6_PKiS6_N6hipcub16HIPCUB_304000_NS6detail27convert_result_type_wrapperISA_SB_N2at6native12_GLOBAL__N_110CustomProdEEEEE10hipError_tPvRmT0_T1_jT2_SS_T4_T3_P12ihipStream_tbEUlT_E_NS1_11comp_targetILNS1_3genE3ELNS1_11target_archE908ELNS1_3gpuE7ELNS1_3repE0EEENS1_30default_config_static_selectorELNS0_4arch9wavefront6targetE1EEEvSR_.numbered_sgpr, 0
	.set _ZN7rocprim17ROCPRIM_400000_NS6detail17trampoline_kernelINS0_14default_configENS1_32segmented_reduce_config_selectorIN3c108BFloat16EEEZNS1_21segmented_reduce_implIS3_PKS6_PS6_PKiS6_N6hipcub16HIPCUB_304000_NS6detail27convert_result_type_wrapperISA_SB_N2at6native12_GLOBAL__N_110CustomProdEEEEE10hipError_tPvRmT0_T1_jT2_SS_T4_T3_P12ihipStream_tbEUlT_E_NS1_11comp_targetILNS1_3genE3ELNS1_11target_archE908ELNS1_3gpuE7ELNS1_3repE0EEENS1_30default_config_static_selectorELNS0_4arch9wavefront6targetE1EEEvSR_.num_named_barrier, 0
	.set _ZN7rocprim17ROCPRIM_400000_NS6detail17trampoline_kernelINS0_14default_configENS1_32segmented_reduce_config_selectorIN3c108BFloat16EEEZNS1_21segmented_reduce_implIS3_PKS6_PS6_PKiS6_N6hipcub16HIPCUB_304000_NS6detail27convert_result_type_wrapperISA_SB_N2at6native12_GLOBAL__N_110CustomProdEEEEE10hipError_tPvRmT0_T1_jT2_SS_T4_T3_P12ihipStream_tbEUlT_E_NS1_11comp_targetILNS1_3genE3ELNS1_11target_archE908ELNS1_3gpuE7ELNS1_3repE0EEENS1_30default_config_static_selectorELNS0_4arch9wavefront6targetE1EEEvSR_.private_seg_size, 0
	.set _ZN7rocprim17ROCPRIM_400000_NS6detail17trampoline_kernelINS0_14default_configENS1_32segmented_reduce_config_selectorIN3c108BFloat16EEEZNS1_21segmented_reduce_implIS3_PKS6_PS6_PKiS6_N6hipcub16HIPCUB_304000_NS6detail27convert_result_type_wrapperISA_SB_N2at6native12_GLOBAL__N_110CustomProdEEEEE10hipError_tPvRmT0_T1_jT2_SS_T4_T3_P12ihipStream_tbEUlT_E_NS1_11comp_targetILNS1_3genE3ELNS1_11target_archE908ELNS1_3gpuE7ELNS1_3repE0EEENS1_30default_config_static_selectorELNS0_4arch9wavefront6targetE1EEEvSR_.uses_vcc, 0
	.set _ZN7rocprim17ROCPRIM_400000_NS6detail17trampoline_kernelINS0_14default_configENS1_32segmented_reduce_config_selectorIN3c108BFloat16EEEZNS1_21segmented_reduce_implIS3_PKS6_PS6_PKiS6_N6hipcub16HIPCUB_304000_NS6detail27convert_result_type_wrapperISA_SB_N2at6native12_GLOBAL__N_110CustomProdEEEEE10hipError_tPvRmT0_T1_jT2_SS_T4_T3_P12ihipStream_tbEUlT_E_NS1_11comp_targetILNS1_3genE3ELNS1_11target_archE908ELNS1_3gpuE7ELNS1_3repE0EEENS1_30default_config_static_selectorELNS0_4arch9wavefront6targetE1EEEvSR_.uses_flat_scratch, 0
	.set _ZN7rocprim17ROCPRIM_400000_NS6detail17trampoline_kernelINS0_14default_configENS1_32segmented_reduce_config_selectorIN3c108BFloat16EEEZNS1_21segmented_reduce_implIS3_PKS6_PS6_PKiS6_N6hipcub16HIPCUB_304000_NS6detail27convert_result_type_wrapperISA_SB_N2at6native12_GLOBAL__N_110CustomProdEEEEE10hipError_tPvRmT0_T1_jT2_SS_T4_T3_P12ihipStream_tbEUlT_E_NS1_11comp_targetILNS1_3genE3ELNS1_11target_archE908ELNS1_3gpuE7ELNS1_3repE0EEENS1_30default_config_static_selectorELNS0_4arch9wavefront6targetE1EEEvSR_.has_dyn_sized_stack, 0
	.set _ZN7rocprim17ROCPRIM_400000_NS6detail17trampoline_kernelINS0_14default_configENS1_32segmented_reduce_config_selectorIN3c108BFloat16EEEZNS1_21segmented_reduce_implIS3_PKS6_PS6_PKiS6_N6hipcub16HIPCUB_304000_NS6detail27convert_result_type_wrapperISA_SB_N2at6native12_GLOBAL__N_110CustomProdEEEEE10hipError_tPvRmT0_T1_jT2_SS_T4_T3_P12ihipStream_tbEUlT_E_NS1_11comp_targetILNS1_3genE3ELNS1_11target_archE908ELNS1_3gpuE7ELNS1_3repE0EEENS1_30default_config_static_selectorELNS0_4arch9wavefront6targetE1EEEvSR_.has_recursion, 0
	.set _ZN7rocprim17ROCPRIM_400000_NS6detail17trampoline_kernelINS0_14default_configENS1_32segmented_reduce_config_selectorIN3c108BFloat16EEEZNS1_21segmented_reduce_implIS3_PKS6_PS6_PKiS6_N6hipcub16HIPCUB_304000_NS6detail27convert_result_type_wrapperISA_SB_N2at6native12_GLOBAL__N_110CustomProdEEEEE10hipError_tPvRmT0_T1_jT2_SS_T4_T3_P12ihipStream_tbEUlT_E_NS1_11comp_targetILNS1_3genE3ELNS1_11target_archE908ELNS1_3gpuE7ELNS1_3repE0EEENS1_30default_config_static_selectorELNS0_4arch9wavefront6targetE1EEEvSR_.has_indirect_call, 0
	.section	.AMDGPU.csdata,"",@progbits
; Kernel info:
; codeLenInByte = 0
; TotalNumSgprs: 4
; NumVgprs: 0
; ScratchSize: 0
; MemoryBound: 0
; FloatMode: 240
; IeeeMode: 1
; LDSByteSize: 0 bytes/workgroup (compile time only)
; SGPRBlocks: 0
; VGPRBlocks: 0
; NumSGPRsForWavesPerEU: 4
; NumVGPRsForWavesPerEU: 1
; Occupancy: 10
; WaveLimiterHint : 0
; COMPUTE_PGM_RSRC2:SCRATCH_EN: 0
; COMPUTE_PGM_RSRC2:USER_SGPR: 6
; COMPUTE_PGM_RSRC2:TRAP_HANDLER: 0
; COMPUTE_PGM_RSRC2:TGID_X_EN: 1
; COMPUTE_PGM_RSRC2:TGID_Y_EN: 0
; COMPUTE_PGM_RSRC2:TGID_Z_EN: 0
; COMPUTE_PGM_RSRC2:TIDIG_COMP_CNT: 0
	.section	.text._ZN7rocprim17ROCPRIM_400000_NS6detail17trampoline_kernelINS0_14default_configENS1_32segmented_reduce_config_selectorIN3c108BFloat16EEEZNS1_21segmented_reduce_implIS3_PKS6_PS6_PKiS6_N6hipcub16HIPCUB_304000_NS6detail27convert_result_type_wrapperISA_SB_N2at6native12_GLOBAL__N_110CustomProdEEEEE10hipError_tPvRmT0_T1_jT2_SS_T4_T3_P12ihipStream_tbEUlT_E_NS1_11comp_targetILNS1_3genE2ELNS1_11target_archE906ELNS1_3gpuE6ELNS1_3repE0EEENS1_30default_config_static_selectorELNS0_4arch9wavefront6targetE1EEEvSR_,"axG",@progbits,_ZN7rocprim17ROCPRIM_400000_NS6detail17trampoline_kernelINS0_14default_configENS1_32segmented_reduce_config_selectorIN3c108BFloat16EEEZNS1_21segmented_reduce_implIS3_PKS6_PS6_PKiS6_N6hipcub16HIPCUB_304000_NS6detail27convert_result_type_wrapperISA_SB_N2at6native12_GLOBAL__N_110CustomProdEEEEE10hipError_tPvRmT0_T1_jT2_SS_T4_T3_P12ihipStream_tbEUlT_E_NS1_11comp_targetILNS1_3genE2ELNS1_11target_archE906ELNS1_3gpuE6ELNS1_3repE0EEENS1_30default_config_static_selectorELNS0_4arch9wavefront6targetE1EEEvSR_,comdat
	.globl	_ZN7rocprim17ROCPRIM_400000_NS6detail17trampoline_kernelINS0_14default_configENS1_32segmented_reduce_config_selectorIN3c108BFloat16EEEZNS1_21segmented_reduce_implIS3_PKS6_PS6_PKiS6_N6hipcub16HIPCUB_304000_NS6detail27convert_result_type_wrapperISA_SB_N2at6native12_GLOBAL__N_110CustomProdEEEEE10hipError_tPvRmT0_T1_jT2_SS_T4_T3_P12ihipStream_tbEUlT_E_NS1_11comp_targetILNS1_3genE2ELNS1_11target_archE906ELNS1_3gpuE6ELNS1_3repE0EEENS1_30default_config_static_selectorELNS0_4arch9wavefront6targetE1EEEvSR_ ; -- Begin function _ZN7rocprim17ROCPRIM_400000_NS6detail17trampoline_kernelINS0_14default_configENS1_32segmented_reduce_config_selectorIN3c108BFloat16EEEZNS1_21segmented_reduce_implIS3_PKS6_PS6_PKiS6_N6hipcub16HIPCUB_304000_NS6detail27convert_result_type_wrapperISA_SB_N2at6native12_GLOBAL__N_110CustomProdEEEEE10hipError_tPvRmT0_T1_jT2_SS_T4_T3_P12ihipStream_tbEUlT_E_NS1_11comp_targetILNS1_3genE2ELNS1_11target_archE906ELNS1_3gpuE6ELNS1_3repE0EEENS1_30default_config_static_selectorELNS0_4arch9wavefront6targetE1EEEvSR_
	.p2align	8
	.type	_ZN7rocprim17ROCPRIM_400000_NS6detail17trampoline_kernelINS0_14default_configENS1_32segmented_reduce_config_selectorIN3c108BFloat16EEEZNS1_21segmented_reduce_implIS3_PKS6_PS6_PKiS6_N6hipcub16HIPCUB_304000_NS6detail27convert_result_type_wrapperISA_SB_N2at6native12_GLOBAL__N_110CustomProdEEEEE10hipError_tPvRmT0_T1_jT2_SS_T4_T3_P12ihipStream_tbEUlT_E_NS1_11comp_targetILNS1_3genE2ELNS1_11target_archE906ELNS1_3gpuE6ELNS1_3repE0EEENS1_30default_config_static_selectorELNS0_4arch9wavefront6targetE1EEEvSR_,@function
_ZN7rocprim17ROCPRIM_400000_NS6detail17trampoline_kernelINS0_14default_configENS1_32segmented_reduce_config_selectorIN3c108BFloat16EEEZNS1_21segmented_reduce_implIS3_PKS6_PS6_PKiS6_N6hipcub16HIPCUB_304000_NS6detail27convert_result_type_wrapperISA_SB_N2at6native12_GLOBAL__N_110CustomProdEEEEE10hipError_tPvRmT0_T1_jT2_SS_T4_T3_P12ihipStream_tbEUlT_E_NS1_11comp_targetILNS1_3genE2ELNS1_11target_archE906ELNS1_3gpuE6ELNS1_3repE0EEENS1_30default_config_static_selectorELNS0_4arch9wavefront6targetE1EEEvSR_: ; @_ZN7rocprim17ROCPRIM_400000_NS6detail17trampoline_kernelINS0_14default_configENS1_32segmented_reduce_config_selectorIN3c108BFloat16EEEZNS1_21segmented_reduce_implIS3_PKS6_PS6_PKiS6_N6hipcub16HIPCUB_304000_NS6detail27convert_result_type_wrapperISA_SB_N2at6native12_GLOBAL__N_110CustomProdEEEEE10hipError_tPvRmT0_T1_jT2_SS_T4_T3_P12ihipStream_tbEUlT_E_NS1_11comp_targetILNS1_3genE2ELNS1_11target_archE906ELNS1_3gpuE6ELNS1_3repE0EEENS1_30default_config_static_selectorELNS0_4arch9wavefront6targetE1EEEvSR_
; %bb.0:
	s_load_dword s2, s[4:5], 0x28
	s_load_dwordx8 s[36:43], s[4:5], 0x0
	s_load_dwordx2 s[0:1], s[4:5], 0x20
	s_mov_b32 s7, 0
	v_cmp_eq_u32_e32 vcc, 0, v0
	s_waitcnt lgkmcnt(0)
	s_lshr_b32 s33, s2, 16
	s_lshl_b64 s[2:3], s[40:41], 2
	s_add_u32 s4, s42, s2
	s_addc_u32 s5, s43, s3
	s_add_u32 s8, s0, s2
	s_addc_u32 s9, s1, s3
	s_lshl_b64 s[0:1], s[6:7], 2
	s_add_u32 s2, s4, s0
	s_addc_u32 s3, s5, s1
	s_add_u32 s0, s8, s0
	s_addc_u32 s1, s9, s1
	s_load_dword s42, s[2:3], 0x0
	s_load_dword s48, s[0:1], 0x0
	s_waitcnt lgkmcnt(0)
	s_cmp_gt_i32 s48, s42
	s_cbranch_scc1 .LBB141_3
; %bb.1:
	s_and_b64 s[34:35], vcc, exec
	s_cbranch_execz .LBB141_4
; %bb.2:
	v_mov_b32_e32 v1, s33
	s_and_saveexec_b64 s[0:1], s[34:35]
	s_cbranch_execnz .LBB141_115
	s_branch .LBB141_116
.LBB141_3:
	s_mov_b64 s[34:35], 0
.LBB141_4:
	s_add_i32 s0, s42, 0x1000
	s_cmp_le_i32 s0, s48
	s_movk_i32 s1, 0x1000
	s_cbranch_scc0 .LBB141_61
; %bb.5:
	s_ashr_i32 s43, s42, 31
	s_lshl_b64 s[2:3], s[42:43], 1
	s_add_u32 s2, s36, s2
	s_addc_u32 s3, s37, s3
	v_lshlrev_b32_e32 v11, 1, v0
	global_load_ushort v16, v11, s[2:3] offset:512
	global_load_ushort v15, v11, s[2:3] offset:1024
	global_load_ushort v14, v11, s[2:3] offset:1536
	global_load_ushort v13, v11, s[2:3] offset:2048
	global_load_ushort v12, v11, s[2:3] offset:2560
	global_load_ushort v10, v11, s[2:3] offset:3072
	global_load_ushort v8, v11, s[2:3] offset:3584
	global_load_ushort v17, v11, s[2:3]
	v_mov_b32_e32 v1, s3
	v_add_co_u32_e32 v2, vcc, s2, v11
	v_addc_co_u32_e32 v1, vcc, 0, v1, vcc
	v_add_co_u32_e32 v21, vcc, s1, v2
	v_addc_co_u32_e32 v22, vcc, 0, v1, vcc
	global_load_ushort v7, v[21:22], off
	global_load_ushort v5, v[21:22], off offset:512
	global_load_ushort v4, v[21:22], off offset:1024
	;; [unrolled: 1-line block ×7, first 2 shown]
	s_movk_i32 s1, 0x7fff
	v_mov_b32_e32 v18, 0x7fc00000
	v_mov_b32_e32 v20, 0x7fc0
	s_add_i32 s2, s42, 0x2000
	s_cmp_ge_i32 s2, s48
	s_waitcnt vmcnt(15)
	v_lshlrev_b32_e32 v19, 16, v16
	s_waitcnt vmcnt(14)
	v_lshlrev_b32_e32 v22, 16, v15
	;; [unrolled: 2-line block ×4, first 2 shown]
	v_mul_f32_e32 v19, v21, v19
	v_bfe_u32 v21, v19, 16, 1
	v_add3_u32 v21, v19, v21, s1
	v_and_b32_e32 v21, 0xffff0000, v21
	v_cmp_o_f32_e32 vcc, v19, v19
	v_cndmask_b32_e32 v21, v18, v21, vcc
	v_mul_f32_e32 v21, v21, v22
	v_bfe_u32 v22, v21, 16, 1
	v_add3_u32 v22, v21, v22, s1
	v_and_b32_e32 v22, 0xffff0000, v22
	v_cmp_o_f32_e32 vcc, v21, v21
	v_cndmask_b32_e32 v22, v18, v22, vcc
	v_mul_f32_e32 v22, v22, v23
	v_bfe_u32 v23, v22, 16, 1
	v_add3_u32 v23, v22, v23, s1
	v_and_b32_e32 v23, 0xffff0000, v23
	v_cmp_o_f32_e32 vcc, v22, v22
	v_lshlrev_b32_e32 v19, 16, v13
	v_cndmask_b32_e32 v23, v18, v23, vcc
	v_mul_f32_e32 v19, v23, v19
	v_bfe_u32 v23, v19, 16, 1
	v_add3_u32 v23, v19, v23, s1
	v_and_b32_e32 v23, 0xffff0000, v23
	v_cmp_o_f32_e32 vcc, v19, v19
	v_lshlrev_b32_e32 v21, 16, v12
	;; [unrolled: 7-line block ×4, first 2 shown]
	v_cndmask_b32_e32 v23, v18, v23, vcc
	v_mul_f32_e32 v19, v23, v19
	v_bfe_u32 v23, v19, 16, 1
	v_add3_u32 v23, v19, v23, s1
	v_and_b32_e32 v23, 0xffff0000, v23
	v_cmp_o_f32_e32 vcc, v19, v19
	s_waitcnt vmcnt(7)
	v_lshlrev_b32_e32 v21, 16, v7
	v_cndmask_b32_e32 v23, v18, v23, vcc
	v_mul_f32_e32 v21, v23, v21
	v_bfe_u32 v23, v21, 16, 1
	v_add3_u32 v23, v21, v23, s1
	v_and_b32_e32 v23, 0xffff0000, v23
	v_cmp_o_f32_e32 vcc, v21, v21
	s_waitcnt vmcnt(6)
	v_lshlrev_b32_e32 v22, 16, v5
	;; [unrolled: 8-line block ×8, first 2 shown]
	v_cndmask_b32_e32 v19, v18, v21, vcc
	v_mul_f32_e32 v19, v19, v22
	v_bfe_u32 v21, v19, 16, 1
	v_cmp_o_f32_e32 vcc, v19, v19
	v_add3_u32 v19, v19, v21, s1
	v_cndmask_b32_sdwa v19, v20, v19, vcc dst_sel:DWORD dst_unused:UNUSED_PAD src0_sel:DWORD src1_sel:WORD_1
	s_cbranch_scc1 .LBB141_8
; %bb.6:
	v_mov_b32_e32 v1, s37
	v_add_co_u32_e32 v21, vcc, s36, v11
	v_addc_co_u32_e32 v22, vcc, 0, v1, vcc
	s_movk_i32 s4, 0x1000
.LBB141_7:                              ; =>This Inner Loop Header: Depth=1
	s_mov_b32 s2, s0
	s_ashr_i32 s3, s0, 31
	s_add_i32 s5, s2, 0x2000
	s_lshl_b64 s[2:3], s[2:3], 1
	v_mov_b32_e32 v2, s3
	v_add_co_u32_e32 v1, vcc, s2, v21
	v_addc_co_u32_e32 v2, vcc, v22, v2, vcc
	global_load_ushort v17, v[1:2], off
	global_load_ushort v16, v[1:2], off offset:512
	global_load_ushort v15, v[1:2], off offset:1024
	;; [unrolled: 1-line block ×7, first 2 shown]
	v_add_co_u32_e32 v23, vcc, s4, v1
	v_addc_co_u32_e32 v24, vcc, 0, v2, vcc
	global_load_ushort v7, v[23:24], off
	global_load_ushort v5, v[23:24], off offset:512
	global_load_ushort v4, v[23:24], off offset:1024
	;; [unrolled: 1-line block ×7, first 2 shown]
	v_lshlrev_b32_e32 v19, 16, v19
	s_addk_i32 s0, 0x1000
	s_cmp_lt_i32 s5, s48
	s_waitcnt vmcnt(15)
	v_lshlrev_b32_e32 v23, 16, v17
	v_mul_f32_e32 v19, v19, v23
	v_bfe_u32 v23, v19, 16, 1
	v_add3_u32 v23, v19, v23, s1
	v_and_b32_e32 v23, 0xffff0000, v23
	v_cmp_o_f32_e32 vcc, v19, v19
	s_waitcnt vmcnt(14)
	v_lshlrev_b32_e32 v24, 16, v16
	v_cndmask_b32_e32 v23, v18, v23, vcc
	v_mul_f32_e32 v23, v23, v24
	v_bfe_u32 v24, v23, 16, 1
	v_add3_u32 v24, v23, v24, s1
	v_and_b32_e32 v24, 0xffff0000, v24
	v_cmp_o_f32_e32 vcc, v23, v23
	s_waitcnt vmcnt(13)
	v_lshlrev_b32_e32 v25, 16, v15
	v_cndmask_b32_e32 v24, v18, v24, vcc
	;; [unrolled: 8-line block ×15, first 2 shown]
	v_mul_f32_e32 v19, v23, v19
	v_bfe_u32 v23, v19, 16, 1
	v_cmp_o_f32_e32 vcc, v19, v19
	v_add3_u32 v19, v19, v23, s1
	v_cndmask_b32_sdwa v19, v20, v19, vcc dst_sel:DWORD dst_unused:UNUSED_PAD src0_sel:DWORD src1_sel:WORD_1
	s_cbranch_scc1 .LBB141_7
.LBB141_8:
	s_ashr_i32 s1, s0, 31
	s_sub_i32 s43, s48, s0
	s_lshl_b64 s[0:1], s[0:1], 1
	s_add_u32 s44, s36, s0
	s_addc_u32 s45, s37, s1
	v_cmp_gt_u32_e32 vcc, s43, v0
	s_and_saveexec_b64 s[0:1], vcc
	s_cbranch_execz .LBB141_10
; %bb.9:
	global_load_ushort v17, v11, s[44:45]
.LBB141_10:
	s_or_b64 exec, exec, s[0:1]
	v_or_b32_e32 v18, 0x100, v0
	v_cmp_gt_u32_e64 s[30:31], s43, v18
	s_and_saveexec_b64 s[0:1], s[30:31]
	s_cbranch_execz .LBB141_12
; %bb.11:
	global_load_ushort v16, v11, s[44:45] offset:512
.LBB141_12:
	s_or_b64 exec, exec, s[0:1]
	v_or_b32_e32 v18, 0x200, v0
	v_cmp_gt_u32_e64 s[28:29], s43, v18
	s_and_saveexec_b64 s[0:1], s[28:29]
	s_cbranch_execz .LBB141_14
; %bb.13:
	global_load_ushort v15, v11, s[44:45] offset:1024
.LBB141_14:
	;; [unrolled: 8-line block ×7, first 2 shown]
	s_or_b64 exec, exec, s[0:1]
	v_or_b32_e32 v11, 0x800, v0
	v_cmp_gt_u32_e64 s[16:17], s43, v11
	s_and_saveexec_b64 s[0:1], s[16:17]
	s_cbranch_execz .LBB141_26
; %bb.25:
	v_lshlrev_b32_e32 v7, 1, v11
	global_load_ushort v7, v7, s[44:45]
.LBB141_26:
	s_or_b64 exec, exec, s[0:1]
	v_or_b32_e32 v11, 0x900, v0
	v_cmp_gt_u32_e64 s[14:15], s43, v11
	s_and_saveexec_b64 s[0:1], s[14:15]
	s_cbranch_execz .LBB141_28
; %bb.27:
	v_lshlrev_b32_e32 v5, 1, v11
	global_load_ushort v5, v5, s[44:45]
.LBB141_28:
	;; [unrolled: 9-line block ×7, first 2 shown]
	s_or_b64 exec, exec, s[0:1]
	v_or_b32_e32 v11, 0xf00, v0
	v_cmp_gt_u32_e64 s[0:1], s43, v11
	s_and_saveexec_b64 s[46:47], s[0:1]
	s_cbranch_execnz .LBB141_90
; %bb.39:
	s_or_b64 exec, exec, s[46:47]
	s_and_saveexec_b64 s[44:45], vcc
	s_cbranch_execnz .LBB141_91
.LBB141_40:
	s_or_b64 exec, exec, s[44:45]
	s_and_saveexec_b64 s[44:45], s[30:31]
	s_cbranch_execnz .LBB141_92
.LBB141_41:
	s_or_b64 exec, exec, s[44:45]
	s_and_saveexec_b64 s[30:31], s[28:29]
	s_cbranch_execnz .LBB141_93
.LBB141_42:
	s_or_b64 exec, exec, s[30:31]
	s_and_saveexec_b64 s[28:29], s[26:27]
	s_cbranch_execnz .LBB141_94
.LBB141_43:
	s_or_b64 exec, exec, s[28:29]
	s_and_saveexec_b64 s[26:27], s[24:25]
	s_cbranch_execnz .LBB141_95
.LBB141_44:
	s_or_b64 exec, exec, s[26:27]
	s_and_saveexec_b64 s[24:25], s[22:23]
	s_cbranch_execnz .LBB141_96
.LBB141_45:
	s_or_b64 exec, exec, s[24:25]
	s_and_saveexec_b64 s[22:23], s[20:21]
	s_cbranch_execnz .LBB141_97
.LBB141_46:
	s_or_b64 exec, exec, s[22:23]
	s_and_saveexec_b64 s[20:21], s[18:19]
	s_cbranch_execnz .LBB141_98
.LBB141_47:
	s_or_b64 exec, exec, s[20:21]
	s_and_saveexec_b64 s[18:19], s[16:17]
	s_cbranch_execnz .LBB141_99
.LBB141_48:
	s_or_b64 exec, exec, s[18:19]
	s_and_saveexec_b64 s[16:17], s[14:15]
	s_cbranch_execnz .LBB141_100
.LBB141_49:
	s_or_b64 exec, exec, s[16:17]
	s_and_saveexec_b64 s[14:15], s[12:13]
	s_cbranch_execnz .LBB141_101
.LBB141_50:
	s_or_b64 exec, exec, s[14:15]
	s_and_saveexec_b64 s[12:13], s[10:11]
	s_cbranch_execnz .LBB141_102
.LBB141_51:
	s_or_b64 exec, exec, s[12:13]
	s_and_saveexec_b64 s[10:11], s[8:9]
	s_cbranch_execnz .LBB141_103
.LBB141_52:
	s_or_b64 exec, exec, s[10:11]
	s_and_saveexec_b64 s[8:9], s[4:5]
	s_cbranch_execnz .LBB141_104
.LBB141_53:
	s_or_b64 exec, exec, s[8:9]
	s_and_saveexec_b64 s[4:5], s[2:3]
	s_cbranch_execnz .LBB141_105
.LBB141_54:
	s_or_b64 exec, exec, s[4:5]
	s_and_saveexec_b64 s[2:3], s[0:1]
	s_cbranch_execz .LBB141_56
.LBB141_55:
	s_waitcnt vmcnt(0)
	v_lshlrev_b32_e32 v1, 16, v19
	v_lshlrev_b32_e32 v2, 16, v6
	v_mul_f32_e32 v1, v2, v1
	v_bfe_u32 v2, v1, 16, 1
	s_movk_i32 s0, 0x7fff
	v_add3_u32 v2, v1, v2, s0
	v_cmp_o_f32_e32 vcc, v1, v1
	v_mov_b32_e32 v1, 0x7fc0
	v_cndmask_b32_sdwa v19, v1, v2, vcc dst_sel:DWORD dst_unused:UNUSED_PAD src0_sel:DWORD src1_sel:WORD_1
.LBB141_56:
	s_or_b64 exec, exec, s[2:3]
	s_waitcnt vmcnt(0)
	v_and_b32_e32 v2, 0xffff, v19
	v_lshlrev_b32_e32 v3, 16, v19
	s_movk_i32 s0, 0x7fff
	v_mov_b32_dpp v2, v2 quad_perm:[1,0,3,2] row_mask:0xf bank_mask:0xf bound_ctrl:1
	v_lshlrev_b32_e32 v2, 16, v2
	v_mul_f32_e32 v2, v3, v2
	v_bfe_u32 v3, v2, 16, 1
	v_add3_u32 v3, v2, v3, s0
	v_lshrrev_b32_e32 v3, 16, v3
	v_mov_b32_e32 v4, 0x7fc0
	v_cmp_o_f32_e32 vcc, v2, v2
	v_cndmask_b32_e32 v2, v4, v3, vcc
	v_mbcnt_lo_u32_b32 v1, -1, 0
	v_mbcnt_hi_u32_b32 v1, -1, v1
	v_mov_b32_dpp v3, v2 quad_perm:[2,3,0,1] row_mask:0xf bank_mask:0xf bound_ctrl:1
	v_lshlrev_b32_e32 v3, 16, v3
	v_lshlrev_b32_e32 v2, 16, v2
	v_mul_f32_e32 v2, v3, v2
	v_bfe_u32 v3, v2, 16, 1
	v_add3_u32 v3, v2, v3, s0
	v_lshrrev_b32_e32 v3, 16, v3
	v_cmp_o_f32_e32 vcc, v2, v2
	v_cndmask_b32_e32 v2, v4, v3, vcc
	s_nop 1
	v_mov_b32_dpp v3, v2 row_ror:4 row_mask:0xf bank_mask:0xf bound_ctrl:1
	v_lshlrev_b32_e32 v3, 16, v3
	v_lshlrev_b32_e32 v2, 16, v2
	v_mul_f32_e32 v2, v3, v2
	v_bfe_u32 v3, v2, 16, 1
	v_add3_u32 v3, v2, v3, s0
	v_lshrrev_b32_e32 v3, 16, v3
	v_cmp_o_f32_e32 vcc, v2, v2
	v_cndmask_b32_e32 v2, v4, v3, vcc
	s_nop 1
	v_mov_b32_dpp v3, v2 row_ror:8 row_mask:0xf bank_mask:0xf bound_ctrl:1
	v_lshlrev_b32_e32 v3, 16, v3
	v_lshlrev_b32_e32 v2, 16, v2
	v_mul_f32_e32 v2, v3, v2
	v_bfe_u32 v3, v2, 16, 1
	v_add3_u32 v3, v2, v3, s0
	v_lshrrev_b32_e32 v3, 16, v3
	v_cmp_o_f32_e32 vcc, v2, v2
	v_cndmask_b32_e32 v2, v4, v3, vcc
	s_nop 1
	v_mov_b32_dpp v3, v2 row_bcast:15 row_mask:0xf bank_mask:0xf bound_ctrl:1
	v_lshlrev_b32_e32 v3, 16, v3
	v_lshlrev_b32_e32 v2, 16, v2
	v_mul_f32_e32 v2, v3, v2
	v_bfe_u32 v3, v2, 16, 1
	v_add3_u32 v3, v2, v3, s0
	v_lshrrev_b32_e32 v3, 16, v3
	v_cmp_o_f32_e32 vcc, v2, v2
	v_cndmask_b32_e32 v2, v4, v3, vcc
	s_nop 1
	v_mov_b32_dpp v3, v2 row_bcast:31 row_mask:0xf bank_mask:0xf bound_ctrl:1
	v_lshlrev_b32_e32 v3, 16, v3
	v_lshlrev_b32_e32 v2, 16, v2
	v_mul_f32_e32 v2, v3, v2
	v_bfe_u32 v3, v2, 16, 1
	v_add3_u32 v5, v2, v3, s0
	v_lshlrev_b32_e32 v3, 2, v1
	v_cmp_o_f32_e32 vcc, v2, v2
	v_or_b32_e32 v6, 0xfc, v3
	v_cndmask_b32_sdwa v2, v4, v5, vcc dst_sel:DWORD dst_unused:UNUSED_PAD src0_sel:DWORD src1_sel:WORD_1
	ds_bpermute_b32 v2, v6, v2
	v_cmp_eq_u32_e32 vcc, 0, v1
	s_and_saveexec_b64 s[0:1], vcc
	s_xor_b64 s[0:1], exec, s[0:1]
	s_cbranch_execz .LBB141_58
; %bb.57:
	v_lshrrev_b32_e32 v4, 5, v0
	v_and_b32_e32 v4, 6, v4
	s_waitcnt lgkmcnt(0)
	ds_write_b16 v4, v2
.LBB141_58:
	s_or_b64 exec, exec, s[0:1]
	v_cmp_gt_u32_e32 vcc, 64, v0
	s_waitcnt lgkmcnt(0)
	s_barrier
	s_and_saveexec_b64 s[0:1], vcc
	s_cbranch_execz .LBB141_60
; %bb.59:
	v_and_b32_e32 v2, 3, v1
	v_lshlrev_b32_e32 v4, 1, v2
	ds_read_u16 v4, v4
	v_cmp_ne_u32_e32 vcc, 3, v2
	v_addc_co_u32_e32 v1, vcc, 0, v1, vcc
	v_lshlrev_b32_e32 v1, 2, v1
	s_waitcnt lgkmcnt(0)
	ds_bpermute_b32 v1, v1, v4
	v_lshlrev_b32_e32 v4, 16, v4
	s_movk_i32 s2, 0x7fff
	v_or_b32_e32 v2, 8, v3
	v_mov_b32_e32 v3, 0x7fc0
	s_waitcnt lgkmcnt(0)
	v_lshlrev_b32_e32 v1, 16, v1
	v_mul_f32_e32 v1, v4, v1
	v_bfe_u32 v4, v1, 16, 1
	v_add3_u32 v4, v1, v4, s2
	v_lshrrev_b32_e32 v4, 16, v4
	v_cmp_o_f32_e32 vcc, v1, v1
	v_cndmask_b32_e32 v1, v3, v4, vcc
	ds_bpermute_b32 v2, v2, v1
	v_lshlrev_b32_e32 v1, 16, v1
	s_waitcnt lgkmcnt(0)
	v_lshlrev_b32_e32 v2, 16, v2
	v_mul_f32_e32 v1, v2, v1
	v_bfe_u32 v2, v1, 16, 1
	v_cmp_o_f32_e32 vcc, v1, v1
	v_add3_u32 v1, v1, v2, s2
	v_cndmask_b32_sdwa v2, v3, v1, vcc dst_sel:DWORD dst_unused:UNUSED_PAD src0_sel:DWORD src1_sel:WORD_1
.LBB141_60:
	s_or_b64 exec, exec, s[0:1]
	s_branch .LBB141_112
.LBB141_61:
                                        ; implicit-def: $vgpr2
	s_cbranch_execz .LBB141_112
; %bb.62:
	s_sub_i32 s8, s48, s42
	v_cmp_gt_u32_e32 vcc, s8, v0
                                        ; implicit-def: $vgpr3
	s_and_saveexec_b64 s[0:1], vcc
	s_cbranch_execz .LBB141_68
; %bb.63:
	v_add_u32_e32 v1, s42, v0
	v_ashrrev_i32_e32 v2, 31, v1
	v_lshlrev_b64 v[2:3], 1, v[1:2]
	v_mov_b32_e32 v4, s37
	v_add_co_u32_e32 v2, vcc, s36, v2
	v_addc_co_u32_e32 v3, vcc, v4, v3, vcc
	global_load_ushort v3, v[2:3], off
	v_add_u32_e32 v1, 0x100, v1
	v_cmp_gt_i32_e32 vcc, s48, v1
	s_and_saveexec_b64 s[2:3], vcc
	s_cbranch_execz .LBB141_67
; %bb.64:
	s_mov_b64 s[4:5], 0
	v_mov_b32_e32 v4, s37
	s_movk_i32 s9, 0x7fff
	v_mov_b32_e32 v5, 0x7fc0
.LBB141_65:                             ; =>This Inner Loop Header: Depth=1
	v_ashrrev_i32_e32 v2, 31, v1
	v_lshlrev_b64 v[6:7], 1, v[1:2]
	s_waitcnt vmcnt(0)
	v_lshlrev_b32_e32 v3, 16, v3
	v_add_co_u32_e32 v6, vcc, s36, v6
	v_addc_co_u32_e32 v7, vcc, v4, v7, vcc
	global_load_ushort v2, v[6:7], off
	v_add_u32_e32 v1, 0x100, v1
	v_cmp_le_i32_e32 vcc, s48, v1
	s_or_b64 s[4:5], vcc, s[4:5]
	s_waitcnt vmcnt(0)
	v_lshlrev_b32_e32 v2, 16, v2
	v_mul_f32_e32 v2, v3, v2
	v_bfe_u32 v3, v2, 16, 1
	v_cmp_o_f32_e32 vcc, v2, v2
	v_add3_u32 v2, v2, v3, s9
	v_cndmask_b32_sdwa v3, v5, v2, vcc dst_sel:DWORD dst_unused:UNUSED_PAD src0_sel:DWORD src1_sel:WORD_1
	s_andn2_b64 exec, exec, s[4:5]
	s_cbranch_execnz .LBB141_65
; %bb.66:
	s_or_b64 exec, exec, s[4:5]
.LBB141_67:
	s_or_b64 exec, exec, s[2:3]
.LBB141_68:
	s_or_b64 exec, exec, s[0:1]
	s_cmpk_lt_u32 s8, 0x100
	v_mbcnt_lo_u32_b32 v1, -1, 0
	s_cbranch_scc0 .LBB141_106
; %bb.69:
	v_mbcnt_hi_u32_b32 v4, -1, v1
	v_and_b32_e32 v5, 63, v4
	v_cmp_ne_u32_e32 vcc, 63, v5
	v_addc_co_u32_e32 v6, vcc, 0, v4, vcc
	v_lshlrev_b32_e32 v6, 2, v6
	s_waitcnt vmcnt(0)
	v_and_b32_e32 v7, 0xffff, v3
	ds_bpermute_b32 v8, v6, v7
	v_and_b32_e32 v2, 0xc0, v0
	v_sub_u32_e64 v6, s8, v2 clamp
	v_add_u32_e32 v2, 1, v5
	v_cmp_lt_u32_e32 vcc, v2, v6
	v_mov_b32_e32 v2, v3
	s_and_saveexec_b64 s[0:1], vcc
	s_cbranch_execz .LBB141_71
; %bb.70:
	v_lshlrev_b32_e32 v2, 16, v7
	s_waitcnt lgkmcnt(0)
	v_lshlrev_b32_e32 v7, 16, v8
	v_mul_f32_e32 v2, v2, v7
	v_bfe_u32 v7, v2, 16, 1
	s_movk_i32 s2, 0x7fff
	v_add3_u32 v7, v2, v7, s2
	v_cmp_o_f32_e32 vcc, v2, v2
	v_mov_b32_e32 v2, 0x7fc0
	v_cndmask_b32_sdwa v2, v2, v7, vcc dst_sel:DWORD dst_unused:UNUSED_PAD src0_sel:DWORD src1_sel:WORD_1
	v_and_b32_e32 v7, 0xffff, v2
.LBB141_71:
	s_or_b64 exec, exec, s[0:1]
	v_cmp_gt_u32_e32 vcc, 62, v5
	s_waitcnt lgkmcnt(0)
	v_cndmask_b32_e64 v8, 0, 2, vcc
	v_add_lshl_u32 v8, v8, v4, 2
	ds_bpermute_b32 v8, v8, v7
	v_add_u32_e32 v9, 2, v5
	v_cmp_lt_u32_e32 vcc, v9, v6
	s_and_saveexec_b64 s[0:1], vcc
	s_cbranch_execz .LBB141_73
; %bb.72:
	v_lshlrev_b32_e32 v2, 16, v7
	s_waitcnt lgkmcnt(0)
	v_lshlrev_b32_e32 v7, 16, v8
	v_mul_f32_e32 v2, v2, v7
	v_bfe_u32 v7, v2, 16, 1
	s_movk_i32 s2, 0x7fff
	v_add3_u32 v7, v2, v7, s2
	v_cmp_o_f32_e32 vcc, v2, v2
	v_mov_b32_e32 v2, 0x7fc0
	v_cndmask_b32_sdwa v2, v2, v7, vcc dst_sel:DWORD dst_unused:UNUSED_PAD src0_sel:DWORD src1_sel:WORD_1
	v_and_b32_e32 v7, 0xffff, v2
.LBB141_73:
	s_or_b64 exec, exec, s[0:1]
	v_cmp_gt_u32_e32 vcc, 60, v5
	s_waitcnt lgkmcnt(0)
	v_cndmask_b32_e64 v8, 0, 4, vcc
	v_add_lshl_u32 v8, v8, v4, 2
	ds_bpermute_b32 v8, v8, v7
	v_add_u32_e32 v9, 4, v5
	v_cmp_lt_u32_e32 vcc, v9, v6
	;; [unrolled: 23-line block ×4, first 2 shown]
	s_and_saveexec_b64 s[0:1], vcc
	s_cbranch_execz .LBB141_79
; %bb.78:
	v_lshlrev_b32_e32 v2, 16, v7
	s_waitcnt lgkmcnt(0)
	v_lshlrev_b32_e32 v7, 16, v8
	v_mul_f32_e32 v2, v2, v7
	v_bfe_u32 v7, v2, 16, 1
	s_movk_i32 s2, 0x7fff
	v_add3_u32 v7, v2, v7, s2
	v_cmp_o_f32_e32 vcc, v2, v2
	v_mov_b32_e32 v2, 0x7fc0
	v_cndmask_b32_sdwa v2, v2, v7, vcc dst_sel:DWORD dst_unused:UNUSED_PAD src0_sel:DWORD src1_sel:WORD_1
	v_and_b32_e32 v7, 0xffff, v2
.LBB141_79:
	s_or_b64 exec, exec, s[0:1]
	s_waitcnt lgkmcnt(0)
	v_lshlrev_b32_e32 v8, 2, v4
	v_or_b32_e32 v9, 0x80, v8
	ds_bpermute_b32 v9, v9, v7
	v_add_u32_e32 v5, 32, v5
	v_cmp_lt_u32_e32 vcc, v5, v6
	s_and_saveexec_b64 s[0:1], vcc
	s_cbranch_execz .LBB141_81
; %bb.80:
	v_lshlrev_b32_e32 v2, 16, v7
	s_waitcnt lgkmcnt(0)
	v_lshlrev_b32_e32 v5, 16, v9
	v_mul_f32_e32 v2, v2, v5
	v_bfe_u32 v5, v2, 16, 1
	s_movk_i32 s2, 0x7fff
	v_add3_u32 v5, v2, v5, s2
	v_cmp_o_f32_e32 vcc, v2, v2
	v_mov_b32_e32 v2, 0x7fc0
	v_cndmask_b32_sdwa v2, v2, v5, vcc dst_sel:DWORD dst_unused:UNUSED_PAD src0_sel:DWORD src1_sel:WORD_1
.LBB141_81:
	s_or_b64 exec, exec, s[0:1]
	v_cmp_eq_u32_e32 vcc, 0, v4
	s_and_saveexec_b64 s[0:1], vcc
; %bb.82:
	v_lshrrev_b32_e32 v5, 5, v0
	v_and_b32_e32 v5, 6, v5
	ds_write_b16 v5, v2
; %bb.83:
	s_or_b64 exec, exec, s[0:1]
	v_cmp_gt_u32_e32 vcc, 4, v0
	s_waitcnt lgkmcnt(0)
	s_barrier
	s_and_saveexec_b64 s[0:1], vcc
	s_cbranch_execz .LBB141_89
; %bb.84:
	v_lshlrev_b32_e32 v2, 1, v4
	ds_read_u16 v2, v2
	v_and_b32_e32 v5, 3, v4
	v_cmp_ne_u32_e32 vcc, 3, v5
	v_addc_co_u32_e32 v4, vcc, 0, v4, vcc
	v_lshlrev_b32_e32 v6, 2, v4
	s_waitcnt lgkmcnt(0)
	v_and_b32_e32 v4, 0xffff, v2
	ds_bpermute_b32 v6, v6, v4
	s_add_i32 s8, s8, 63
	s_lshr_b32 s4, s8, 6
	v_add_u32_e32 v7, 1, v5
	v_cmp_gt_u32_e32 vcc, s4, v7
	s_and_saveexec_b64 s[2:3], vcc
	s_cbranch_execz .LBB141_86
; %bb.85:
	v_lshlrev_b32_e32 v2, 16, v4
	s_waitcnt lgkmcnt(0)
	v_lshlrev_b32_e32 v4, 16, v6
	v_mul_f32_e32 v2, v2, v4
	v_bfe_u32 v4, v2, 16, 1
	s_movk_i32 s5, 0x7fff
	v_add3_u32 v4, v2, v4, s5
	v_cmp_o_f32_e32 vcc, v2, v2
	v_mov_b32_e32 v2, 0x7fc0
	v_cndmask_b32_sdwa v2, v2, v4, vcc dst_sel:DWORD dst_unused:UNUSED_PAD src0_sel:DWORD src1_sel:WORD_1
	v_and_b32_e32 v4, 0xffff, v2
.LBB141_86:
	s_or_b64 exec, exec, s[2:3]
	s_waitcnt lgkmcnt(0)
	v_or_b32_e32 v6, 8, v8
	ds_bpermute_b32 v6, v6, v4
	v_add_u32_e32 v5, 2, v5
	v_cmp_gt_u32_e32 vcc, s4, v5
	s_and_saveexec_b64 s[2:3], vcc
	s_cbranch_execz .LBB141_88
; %bb.87:
	v_lshlrev_b32_e32 v2, 16, v4
	s_waitcnt lgkmcnt(0)
	v_lshlrev_b32_e32 v4, 16, v6
	v_mul_f32_e32 v2, v2, v4
	v_bfe_u32 v4, v2, 16, 1
	s_movk_i32 s4, 0x7fff
	v_add3_u32 v4, v2, v4, s4
	v_cmp_o_f32_e32 vcc, v2, v2
	v_mov_b32_e32 v2, 0x7fc0
	v_cndmask_b32_sdwa v2, v2, v4, vcc dst_sel:DWORD dst_unused:UNUSED_PAD src0_sel:DWORD src1_sel:WORD_1
.LBB141_88:
	s_or_b64 exec, exec, s[2:3]
.LBB141_89:
	s_or_b64 exec, exec, s[0:1]
	s_branch .LBB141_112
.LBB141_90:
	v_lshlrev_b32_e32 v6, 1, v11
	global_load_ushort v6, v6, s[44:45]
	s_or_b64 exec, exec, s[46:47]
	s_and_saveexec_b64 s[44:45], vcc
	s_cbranch_execz .LBB141_40
.LBB141_91:
	v_lshlrev_b32_e32 v11, 16, v19
	s_waitcnt vmcnt(0)
	v_lshlrev_b32_e32 v17, 16, v17
	v_mul_f32_e32 v11, v11, v17
	v_bfe_u32 v17, v11, 16, 1
	s_movk_i32 s43, 0x7fff
	v_add3_u32 v17, v11, v17, s43
	v_cmp_o_f32_e32 vcc, v11, v11
	v_mov_b32_e32 v11, 0x7fc0
	v_cndmask_b32_sdwa v19, v11, v17, vcc dst_sel:DWORD dst_unused:UNUSED_PAD src0_sel:DWORD src1_sel:WORD_1
	s_or_b64 exec, exec, s[44:45]
	s_and_saveexec_b64 s[44:45], s[30:31]
	s_cbranch_execz .LBB141_41
.LBB141_92:
	v_lshlrev_b32_e32 v11, 16, v19
	s_waitcnt vmcnt(0)
	v_lshlrev_b32_e32 v16, 16, v16
	v_mul_f32_e32 v11, v16, v11
	v_bfe_u32 v16, v11, 16, 1
	s_movk_i32 s30, 0x7fff
	v_add3_u32 v16, v11, v16, s30
	v_cmp_o_f32_e32 vcc, v11, v11
	v_mov_b32_e32 v11, 0x7fc0
	v_cndmask_b32_sdwa v19, v11, v16, vcc dst_sel:DWORD dst_unused:UNUSED_PAD src0_sel:DWORD src1_sel:WORD_1
	s_or_b64 exec, exec, s[44:45]
	s_and_saveexec_b64 s[30:31], s[28:29]
	s_cbranch_execz .LBB141_42
.LBB141_93:
	v_lshlrev_b32_e32 v11, 16, v19
	s_waitcnt vmcnt(0)
	v_lshlrev_b32_e32 v15, 16, v15
	v_mul_f32_e32 v11, v15, v11
	v_bfe_u32 v15, v11, 16, 1
	s_movk_i32 s28, 0x7fff
	v_add3_u32 v15, v11, v15, s28
	v_cmp_o_f32_e32 vcc, v11, v11
	v_mov_b32_e32 v11, 0x7fc0
	v_cndmask_b32_sdwa v19, v11, v15, vcc dst_sel:DWORD dst_unused:UNUSED_PAD src0_sel:DWORD src1_sel:WORD_1
	s_or_b64 exec, exec, s[30:31]
	s_and_saveexec_b64 s[28:29], s[26:27]
	s_cbranch_execz .LBB141_43
.LBB141_94:
	v_lshlrev_b32_e32 v11, 16, v19
	s_waitcnt vmcnt(0)
	v_lshlrev_b32_e32 v14, 16, v14
	v_mul_f32_e32 v11, v14, v11
	v_bfe_u32 v14, v11, 16, 1
	s_movk_i32 s26, 0x7fff
	v_add3_u32 v14, v11, v14, s26
	v_cmp_o_f32_e32 vcc, v11, v11
	v_mov_b32_e32 v11, 0x7fc0
	v_cndmask_b32_sdwa v19, v11, v14, vcc dst_sel:DWORD dst_unused:UNUSED_PAD src0_sel:DWORD src1_sel:WORD_1
	s_or_b64 exec, exec, s[28:29]
	s_and_saveexec_b64 s[26:27], s[24:25]
	s_cbranch_execz .LBB141_44
.LBB141_95:
	v_lshlrev_b32_e32 v11, 16, v19
	s_waitcnt vmcnt(0)
	v_lshlrev_b32_e32 v13, 16, v13
	v_mul_f32_e32 v11, v13, v11
	v_bfe_u32 v13, v11, 16, 1
	s_movk_i32 s24, 0x7fff
	v_add3_u32 v13, v11, v13, s24
	v_cmp_o_f32_e32 vcc, v11, v11
	v_mov_b32_e32 v11, 0x7fc0
	v_cndmask_b32_sdwa v19, v11, v13, vcc dst_sel:DWORD dst_unused:UNUSED_PAD src0_sel:DWORD src1_sel:WORD_1
	s_or_b64 exec, exec, s[26:27]
	s_and_saveexec_b64 s[24:25], s[22:23]
	s_cbranch_execz .LBB141_45
.LBB141_96:
	v_lshlrev_b32_e32 v11, 16, v19
	s_waitcnt vmcnt(0)
	v_lshlrev_b32_e32 v12, 16, v12
	v_mul_f32_e32 v11, v12, v11
	v_bfe_u32 v12, v11, 16, 1
	s_movk_i32 s22, 0x7fff
	v_add3_u32 v12, v11, v12, s22
	v_cmp_o_f32_e32 vcc, v11, v11
	v_mov_b32_e32 v11, 0x7fc0
	v_cndmask_b32_sdwa v19, v11, v12, vcc dst_sel:DWORD dst_unused:UNUSED_PAD src0_sel:DWORD src1_sel:WORD_1
	s_or_b64 exec, exec, s[24:25]
	s_and_saveexec_b64 s[22:23], s[20:21]
	s_cbranch_execz .LBB141_46
.LBB141_97:
	v_lshlrev_b32_e32 v11, 16, v19
	s_waitcnt vmcnt(0)
	v_lshlrev_b32_e32 v10, 16, v10
	v_mul_f32_e32 v10, v10, v11
	v_bfe_u32 v11, v10, 16, 1
	s_movk_i32 s20, 0x7fff
	v_add3_u32 v11, v10, v11, s20
	v_cmp_o_f32_e32 vcc, v10, v10
	v_mov_b32_e32 v10, 0x7fc0
	v_cndmask_b32_sdwa v19, v10, v11, vcc dst_sel:DWORD dst_unused:UNUSED_PAD src0_sel:DWORD src1_sel:WORD_1
	s_or_b64 exec, exec, s[22:23]
	s_and_saveexec_b64 s[20:21], s[18:19]
	s_cbranch_execz .LBB141_47
.LBB141_98:
	s_waitcnt vmcnt(0)
	v_lshlrev_b32_e32 v10, 16, v19
	v_lshlrev_b32_e32 v8, 16, v8
	v_mul_f32_e32 v8, v8, v10
	v_bfe_u32 v10, v8, 16, 1
	s_movk_i32 s18, 0x7fff
	v_add3_u32 v10, v8, v10, s18
	v_cmp_o_f32_e32 vcc, v8, v8
	v_mov_b32_e32 v8, 0x7fc0
	v_cndmask_b32_sdwa v19, v8, v10, vcc dst_sel:DWORD dst_unused:UNUSED_PAD src0_sel:DWORD src1_sel:WORD_1
	s_or_b64 exec, exec, s[20:21]
	s_and_saveexec_b64 s[18:19], s[16:17]
	s_cbranch_execz .LBB141_48
.LBB141_99:
	s_waitcnt vmcnt(0)
	v_lshlrev_b32_e32 v8, 16, v19
	v_lshlrev_b32_e32 v7, 16, v7
	v_mul_f32_e32 v7, v7, v8
	v_bfe_u32 v8, v7, 16, 1
	s_movk_i32 s16, 0x7fff
	v_add3_u32 v8, v7, v8, s16
	v_cmp_o_f32_e32 vcc, v7, v7
	v_mov_b32_e32 v7, 0x7fc0
	v_cndmask_b32_sdwa v19, v7, v8, vcc dst_sel:DWORD dst_unused:UNUSED_PAD src0_sel:DWORD src1_sel:WORD_1
	s_or_b64 exec, exec, s[18:19]
	s_and_saveexec_b64 s[16:17], s[14:15]
	s_cbranch_execz .LBB141_49
.LBB141_100:
	s_waitcnt vmcnt(0)
	v_lshlrev_b32_e32 v7, 16, v19
	v_lshlrev_b32_e32 v5, 16, v5
	v_mul_f32_e32 v5, v5, v7
	v_bfe_u32 v7, v5, 16, 1
	s_movk_i32 s14, 0x7fff
	v_add3_u32 v7, v5, v7, s14
	v_cmp_o_f32_e32 vcc, v5, v5
	v_mov_b32_e32 v5, 0x7fc0
	v_cndmask_b32_sdwa v19, v5, v7, vcc dst_sel:DWORD dst_unused:UNUSED_PAD src0_sel:DWORD src1_sel:WORD_1
	s_or_b64 exec, exec, s[16:17]
	s_and_saveexec_b64 s[14:15], s[12:13]
	s_cbranch_execz .LBB141_50
.LBB141_101:
	s_waitcnt vmcnt(0)
	v_lshlrev_b32_e32 v5, 16, v19
	v_lshlrev_b32_e32 v4, 16, v4
	v_mul_f32_e32 v4, v4, v5
	v_bfe_u32 v5, v4, 16, 1
	s_movk_i32 s12, 0x7fff
	v_add3_u32 v5, v4, v5, s12
	v_cmp_o_f32_e32 vcc, v4, v4
	v_mov_b32_e32 v4, 0x7fc0
	v_cndmask_b32_sdwa v19, v4, v5, vcc dst_sel:DWORD dst_unused:UNUSED_PAD src0_sel:DWORD src1_sel:WORD_1
	s_or_b64 exec, exec, s[14:15]
	s_and_saveexec_b64 s[12:13], s[10:11]
	s_cbranch_execz .LBB141_51
.LBB141_102:
	s_waitcnt vmcnt(0)
	v_lshlrev_b32_e32 v4, 16, v19
	v_lshlrev_b32_e32 v3, 16, v3
	v_mul_f32_e32 v3, v3, v4
	v_bfe_u32 v4, v3, 16, 1
	s_movk_i32 s10, 0x7fff
	v_add3_u32 v4, v3, v4, s10
	v_cmp_o_f32_e32 vcc, v3, v3
	v_mov_b32_e32 v3, 0x7fc0
	v_cndmask_b32_sdwa v19, v3, v4, vcc dst_sel:DWORD dst_unused:UNUSED_PAD src0_sel:DWORD src1_sel:WORD_1
	s_or_b64 exec, exec, s[12:13]
	s_and_saveexec_b64 s[10:11], s[8:9]
	s_cbranch_execz .LBB141_52
.LBB141_103:
	s_waitcnt vmcnt(0)
	v_lshlrev_b32_e32 v3, 16, v19
	v_lshlrev_b32_e32 v2, 16, v2
	v_mul_f32_e32 v2, v2, v3
	v_bfe_u32 v3, v2, 16, 1
	s_movk_i32 s8, 0x7fff
	v_add3_u32 v3, v2, v3, s8
	v_cmp_o_f32_e32 vcc, v2, v2
	v_mov_b32_e32 v2, 0x7fc0
	v_cndmask_b32_sdwa v19, v2, v3, vcc dst_sel:DWORD dst_unused:UNUSED_PAD src0_sel:DWORD src1_sel:WORD_1
	s_or_b64 exec, exec, s[10:11]
	s_and_saveexec_b64 s[8:9], s[4:5]
	s_cbranch_execz .LBB141_53
.LBB141_104:
	s_waitcnt vmcnt(0)
	v_lshlrev_b32_e32 v2, 16, v19
	v_lshlrev_b32_e32 v1, 16, v1
	v_mul_f32_e32 v1, v1, v2
	v_bfe_u32 v2, v1, 16, 1
	s_movk_i32 s4, 0x7fff
	v_add3_u32 v2, v1, v2, s4
	v_cmp_o_f32_e32 vcc, v1, v1
	v_mov_b32_e32 v1, 0x7fc0
	v_cndmask_b32_sdwa v19, v1, v2, vcc dst_sel:DWORD dst_unused:UNUSED_PAD src0_sel:DWORD src1_sel:WORD_1
	s_or_b64 exec, exec, s[8:9]
	s_and_saveexec_b64 s[4:5], s[2:3]
	s_cbranch_execz .LBB141_54
.LBB141_105:
	s_waitcnt vmcnt(0)
	v_lshlrev_b32_e32 v1, 16, v19
	v_lshlrev_b32_e32 v2, 16, v9
	v_mul_f32_e32 v1, v2, v1
	v_bfe_u32 v2, v1, 16, 1
	s_movk_i32 s2, 0x7fff
	v_add3_u32 v2, v1, v2, s2
	v_cmp_o_f32_e32 vcc, v1, v1
	v_mov_b32_e32 v1, 0x7fc0
	v_cndmask_b32_sdwa v19, v1, v2, vcc dst_sel:DWORD dst_unused:UNUSED_PAD src0_sel:DWORD src1_sel:WORD_1
	s_or_b64 exec, exec, s[4:5]
	s_and_saveexec_b64 s[2:3], s[0:1]
	s_cbranch_execnz .LBB141_55
	s_branch .LBB141_56
.LBB141_106:
                                        ; implicit-def: $vgpr2
	s_cbranch_execz .LBB141_112
; %bb.107:
	s_waitcnt vmcnt(0)
	v_and_b32_e32 v2, 0xffff, v3
	v_lshlrev_b32_e32 v3, 16, v3
	s_movk_i32 s0, 0x7fff
	v_mov_b32_dpp v2, v2 quad_perm:[1,0,3,2] row_mask:0xf bank_mask:0xf bound_ctrl:1
	v_lshlrev_b32_e32 v2, 16, v2
	v_mul_f32_e32 v2, v3, v2
	v_bfe_u32 v3, v2, 16, 1
	v_add3_u32 v3, v2, v3, s0
	v_lshrrev_b32_e32 v3, 16, v3
	v_mov_b32_e32 v4, 0x7fc0
	v_cmp_o_f32_e32 vcc, v2, v2
	v_cndmask_b32_e32 v2, v4, v3, vcc
	v_mbcnt_hi_u32_b32 v1, -1, v1
	s_nop 0
	v_mov_b32_dpp v3, v2 quad_perm:[2,3,0,1] row_mask:0xf bank_mask:0xf bound_ctrl:1
	v_lshlrev_b32_e32 v3, 16, v3
	v_lshlrev_b32_e32 v2, 16, v2
	v_mul_f32_e32 v2, v3, v2
	v_bfe_u32 v3, v2, 16, 1
	v_add3_u32 v3, v2, v3, s0
	v_lshrrev_b32_e32 v3, 16, v3
	v_cmp_o_f32_e32 vcc, v2, v2
	v_cndmask_b32_e32 v2, v4, v3, vcc
	s_nop 1
	v_mov_b32_dpp v3, v2 row_ror:4 row_mask:0xf bank_mask:0xf bound_ctrl:1
	v_lshlrev_b32_e32 v3, 16, v3
	v_lshlrev_b32_e32 v2, 16, v2
	v_mul_f32_e32 v2, v3, v2
	v_bfe_u32 v3, v2, 16, 1
	v_add3_u32 v3, v2, v3, s0
	v_lshrrev_b32_e32 v3, 16, v3
	v_cmp_o_f32_e32 vcc, v2, v2
	v_cndmask_b32_e32 v2, v4, v3, vcc
	s_nop 1
	v_mov_b32_dpp v3, v2 row_ror:8 row_mask:0xf bank_mask:0xf bound_ctrl:1
	v_lshlrev_b32_e32 v3, 16, v3
	v_lshlrev_b32_e32 v2, 16, v2
	v_mul_f32_e32 v2, v3, v2
	v_bfe_u32 v3, v2, 16, 1
	v_add3_u32 v3, v2, v3, s0
	v_lshrrev_b32_e32 v3, 16, v3
	v_cmp_o_f32_e32 vcc, v2, v2
	v_cndmask_b32_e32 v2, v4, v3, vcc
	s_nop 1
	v_mov_b32_dpp v3, v2 row_bcast:15 row_mask:0xf bank_mask:0xf bound_ctrl:1
	v_lshlrev_b32_e32 v3, 16, v3
	v_lshlrev_b32_e32 v2, 16, v2
	v_mul_f32_e32 v2, v3, v2
	v_bfe_u32 v3, v2, 16, 1
	v_add3_u32 v3, v2, v3, s0
	v_lshrrev_b32_e32 v3, 16, v3
	v_cmp_o_f32_e32 vcc, v2, v2
	v_cndmask_b32_e32 v2, v4, v3, vcc
	s_nop 1
	v_mov_b32_dpp v3, v2 row_bcast:31 row_mask:0xf bank_mask:0xf bound_ctrl:1
	v_lshlrev_b32_e32 v3, 16, v3
	v_lshlrev_b32_e32 v2, 16, v2
	v_mul_f32_e32 v2, v3, v2
	v_bfe_u32 v3, v2, 16, 1
	v_add3_u32 v5, v2, v3, s0
	v_lshlrev_b32_e32 v3, 2, v1
	v_cmp_o_f32_e32 vcc, v2, v2
	s_waitcnt lgkmcnt(0)
	v_or_b32_e32 v6, 0xfc, v3
	v_cndmask_b32_sdwa v2, v4, v5, vcc dst_sel:DWORD dst_unused:UNUSED_PAD src0_sel:DWORD src1_sel:WORD_1
	ds_bpermute_b32 v2, v6, v2
	v_cmp_eq_u32_e32 vcc, 0, v1
	s_and_saveexec_b64 s[0:1], vcc
	s_cbranch_execz .LBB141_109
; %bb.108:
	v_lshrrev_b32_e32 v4, 5, v0
	v_and_b32_e32 v4, 6, v4
	s_waitcnt lgkmcnt(0)
	ds_write_b16 v4, v2
.LBB141_109:
	s_or_b64 exec, exec, s[0:1]
	v_cmp_gt_u32_e32 vcc, 64, v0
	s_waitcnt lgkmcnt(0)
	s_barrier
	s_and_saveexec_b64 s[0:1], vcc
	s_cbranch_execz .LBB141_111
; %bb.110:
	v_and_b32_e32 v2, 3, v1
	v_lshlrev_b32_e32 v4, 1, v2
	ds_read_u16 v4, v4
	v_cmp_ne_u32_e32 vcc, 3, v2
	v_addc_co_u32_e32 v1, vcc, 0, v1, vcc
	v_lshlrev_b32_e32 v1, 2, v1
	s_waitcnt lgkmcnt(0)
	ds_bpermute_b32 v1, v1, v4
	v_lshlrev_b32_e32 v4, 16, v4
	s_movk_i32 s2, 0x7fff
	v_or_b32_e32 v2, 8, v3
	v_mov_b32_e32 v3, 0x7fc0
	s_waitcnt lgkmcnt(0)
	v_lshlrev_b32_e32 v1, 16, v1
	v_mul_f32_e32 v1, v4, v1
	v_bfe_u32 v4, v1, 16, 1
	v_add3_u32 v4, v1, v4, s2
	v_lshrrev_b32_e32 v4, 16, v4
	v_cmp_o_f32_e32 vcc, v1, v1
	v_cndmask_b32_e32 v1, v3, v4, vcc
	ds_bpermute_b32 v2, v2, v1
	v_lshlrev_b32_e32 v1, 16, v1
	s_waitcnt lgkmcnt(0)
	v_lshlrev_b32_e32 v2, 16, v2
	v_mul_f32_e32 v1, v2, v1
	v_bfe_u32 v2, v1, 16, 1
	v_cmp_o_f32_e32 vcc, v1, v1
	v_add3_u32 v1, v1, v2, s2
	v_cndmask_b32_sdwa v2, v3, v1, vcc dst_sel:DWORD dst_unused:UNUSED_PAD src0_sel:DWORD src1_sel:WORD_1
.LBB141_111:
	s_or_b64 exec, exec, s[0:1]
.LBB141_112:
	v_cmp_eq_u32_e32 vcc, 0, v0
                                        ; implicit-def: $vgpr1
	s_and_saveexec_b64 s[0:1], vcc
	s_cbranch_execz .LBB141_114
; %bb.113:
	s_lshl_b32 s2, s33, 16
	v_lshlrev_b32_e32 v0, 16, v2
	v_mul_f32_e32 v0, s2, v0
	v_bfe_u32 v1, v0, 16, 1
	s_movk_i32 s2, 0x7fff
	v_add3_u32 v1, v0, v1, s2
	v_cmp_o_f32_e32 vcc, v0, v0
	v_mov_b32_e32 v0, 0x7fc0
	v_cndmask_b32_sdwa v1, v0, v1, vcc dst_sel:DWORD dst_unused:UNUSED_PAD src0_sel:DWORD src1_sel:WORD_1
	s_or_b64 s[34:35], s[34:35], exec
.LBB141_114:
	s_or_b64 exec, exec, s[0:1]
	s_and_saveexec_b64 s[0:1], s[34:35]
	s_cbranch_execz .LBB141_116
.LBB141_115:
	s_lshl_b64 s[0:1], s[40:41], 1
	s_add_u32 s2, s38, s0
	s_addc_u32 s3, s39, s1
	s_lshl_b64 s[0:1], s[6:7], 1
	s_add_u32 s0, s2, s0
	s_addc_u32 s1, s3, s1
	v_mov_b32_e32 v0, 0
	global_store_short v0, v1, s[0:1]
.LBB141_116:
	s_endpgm
	.section	.rodata,"a",@progbits
	.p2align	6, 0x0
	.amdhsa_kernel _ZN7rocprim17ROCPRIM_400000_NS6detail17trampoline_kernelINS0_14default_configENS1_32segmented_reduce_config_selectorIN3c108BFloat16EEEZNS1_21segmented_reduce_implIS3_PKS6_PS6_PKiS6_N6hipcub16HIPCUB_304000_NS6detail27convert_result_type_wrapperISA_SB_N2at6native12_GLOBAL__N_110CustomProdEEEEE10hipError_tPvRmT0_T1_jT2_SS_T4_T3_P12ihipStream_tbEUlT_E_NS1_11comp_targetILNS1_3genE2ELNS1_11target_archE906ELNS1_3gpuE6ELNS1_3repE0EEENS1_30default_config_static_selectorELNS0_4arch9wavefront6targetE1EEEvSR_
		.amdhsa_group_segment_fixed_size 8
		.amdhsa_private_segment_fixed_size 0
		.amdhsa_kernarg_size 48
		.amdhsa_user_sgpr_count 6
		.amdhsa_user_sgpr_private_segment_buffer 1
		.amdhsa_user_sgpr_dispatch_ptr 0
		.amdhsa_user_sgpr_queue_ptr 0
		.amdhsa_user_sgpr_kernarg_segment_ptr 1
		.amdhsa_user_sgpr_dispatch_id 0
		.amdhsa_user_sgpr_flat_scratch_init 0
		.amdhsa_user_sgpr_private_segment_size 0
		.amdhsa_uses_dynamic_stack 0
		.amdhsa_system_sgpr_private_segment_wavefront_offset 0
		.amdhsa_system_sgpr_workgroup_id_x 1
		.amdhsa_system_sgpr_workgroup_id_y 0
		.amdhsa_system_sgpr_workgroup_id_z 0
		.amdhsa_system_sgpr_workgroup_info 0
		.amdhsa_system_vgpr_workitem_id 0
		.amdhsa_next_free_vgpr 26
		.amdhsa_next_free_sgpr 49
		.amdhsa_reserve_vcc 1
		.amdhsa_reserve_flat_scratch 0
		.amdhsa_float_round_mode_32 0
		.amdhsa_float_round_mode_16_64 0
		.amdhsa_float_denorm_mode_32 3
		.amdhsa_float_denorm_mode_16_64 3
		.amdhsa_dx10_clamp 1
		.amdhsa_ieee_mode 1
		.amdhsa_fp16_overflow 0
		.amdhsa_exception_fp_ieee_invalid_op 0
		.amdhsa_exception_fp_denorm_src 0
		.amdhsa_exception_fp_ieee_div_zero 0
		.amdhsa_exception_fp_ieee_overflow 0
		.amdhsa_exception_fp_ieee_underflow 0
		.amdhsa_exception_fp_ieee_inexact 0
		.amdhsa_exception_int_div_zero 0
	.end_amdhsa_kernel
	.section	.text._ZN7rocprim17ROCPRIM_400000_NS6detail17trampoline_kernelINS0_14default_configENS1_32segmented_reduce_config_selectorIN3c108BFloat16EEEZNS1_21segmented_reduce_implIS3_PKS6_PS6_PKiS6_N6hipcub16HIPCUB_304000_NS6detail27convert_result_type_wrapperISA_SB_N2at6native12_GLOBAL__N_110CustomProdEEEEE10hipError_tPvRmT0_T1_jT2_SS_T4_T3_P12ihipStream_tbEUlT_E_NS1_11comp_targetILNS1_3genE2ELNS1_11target_archE906ELNS1_3gpuE6ELNS1_3repE0EEENS1_30default_config_static_selectorELNS0_4arch9wavefront6targetE1EEEvSR_,"axG",@progbits,_ZN7rocprim17ROCPRIM_400000_NS6detail17trampoline_kernelINS0_14default_configENS1_32segmented_reduce_config_selectorIN3c108BFloat16EEEZNS1_21segmented_reduce_implIS3_PKS6_PS6_PKiS6_N6hipcub16HIPCUB_304000_NS6detail27convert_result_type_wrapperISA_SB_N2at6native12_GLOBAL__N_110CustomProdEEEEE10hipError_tPvRmT0_T1_jT2_SS_T4_T3_P12ihipStream_tbEUlT_E_NS1_11comp_targetILNS1_3genE2ELNS1_11target_archE906ELNS1_3gpuE6ELNS1_3repE0EEENS1_30default_config_static_selectorELNS0_4arch9wavefront6targetE1EEEvSR_,comdat
.Lfunc_end141:
	.size	_ZN7rocprim17ROCPRIM_400000_NS6detail17trampoline_kernelINS0_14default_configENS1_32segmented_reduce_config_selectorIN3c108BFloat16EEEZNS1_21segmented_reduce_implIS3_PKS6_PS6_PKiS6_N6hipcub16HIPCUB_304000_NS6detail27convert_result_type_wrapperISA_SB_N2at6native12_GLOBAL__N_110CustomProdEEEEE10hipError_tPvRmT0_T1_jT2_SS_T4_T3_P12ihipStream_tbEUlT_E_NS1_11comp_targetILNS1_3genE2ELNS1_11target_archE906ELNS1_3gpuE6ELNS1_3repE0EEENS1_30default_config_static_selectorELNS0_4arch9wavefront6targetE1EEEvSR_, .Lfunc_end141-_ZN7rocprim17ROCPRIM_400000_NS6detail17trampoline_kernelINS0_14default_configENS1_32segmented_reduce_config_selectorIN3c108BFloat16EEEZNS1_21segmented_reduce_implIS3_PKS6_PS6_PKiS6_N6hipcub16HIPCUB_304000_NS6detail27convert_result_type_wrapperISA_SB_N2at6native12_GLOBAL__N_110CustomProdEEEEE10hipError_tPvRmT0_T1_jT2_SS_T4_T3_P12ihipStream_tbEUlT_E_NS1_11comp_targetILNS1_3genE2ELNS1_11target_archE906ELNS1_3gpuE6ELNS1_3repE0EEENS1_30default_config_static_selectorELNS0_4arch9wavefront6targetE1EEEvSR_
                                        ; -- End function
	.set _ZN7rocprim17ROCPRIM_400000_NS6detail17trampoline_kernelINS0_14default_configENS1_32segmented_reduce_config_selectorIN3c108BFloat16EEEZNS1_21segmented_reduce_implIS3_PKS6_PS6_PKiS6_N6hipcub16HIPCUB_304000_NS6detail27convert_result_type_wrapperISA_SB_N2at6native12_GLOBAL__N_110CustomProdEEEEE10hipError_tPvRmT0_T1_jT2_SS_T4_T3_P12ihipStream_tbEUlT_E_NS1_11comp_targetILNS1_3genE2ELNS1_11target_archE906ELNS1_3gpuE6ELNS1_3repE0EEENS1_30default_config_static_selectorELNS0_4arch9wavefront6targetE1EEEvSR_.num_vgpr, 26
	.set _ZN7rocprim17ROCPRIM_400000_NS6detail17trampoline_kernelINS0_14default_configENS1_32segmented_reduce_config_selectorIN3c108BFloat16EEEZNS1_21segmented_reduce_implIS3_PKS6_PS6_PKiS6_N6hipcub16HIPCUB_304000_NS6detail27convert_result_type_wrapperISA_SB_N2at6native12_GLOBAL__N_110CustomProdEEEEE10hipError_tPvRmT0_T1_jT2_SS_T4_T3_P12ihipStream_tbEUlT_E_NS1_11comp_targetILNS1_3genE2ELNS1_11target_archE906ELNS1_3gpuE6ELNS1_3repE0EEENS1_30default_config_static_selectorELNS0_4arch9wavefront6targetE1EEEvSR_.num_agpr, 0
	.set _ZN7rocprim17ROCPRIM_400000_NS6detail17trampoline_kernelINS0_14default_configENS1_32segmented_reduce_config_selectorIN3c108BFloat16EEEZNS1_21segmented_reduce_implIS3_PKS6_PS6_PKiS6_N6hipcub16HIPCUB_304000_NS6detail27convert_result_type_wrapperISA_SB_N2at6native12_GLOBAL__N_110CustomProdEEEEE10hipError_tPvRmT0_T1_jT2_SS_T4_T3_P12ihipStream_tbEUlT_E_NS1_11comp_targetILNS1_3genE2ELNS1_11target_archE906ELNS1_3gpuE6ELNS1_3repE0EEENS1_30default_config_static_selectorELNS0_4arch9wavefront6targetE1EEEvSR_.numbered_sgpr, 49
	.set _ZN7rocprim17ROCPRIM_400000_NS6detail17trampoline_kernelINS0_14default_configENS1_32segmented_reduce_config_selectorIN3c108BFloat16EEEZNS1_21segmented_reduce_implIS3_PKS6_PS6_PKiS6_N6hipcub16HIPCUB_304000_NS6detail27convert_result_type_wrapperISA_SB_N2at6native12_GLOBAL__N_110CustomProdEEEEE10hipError_tPvRmT0_T1_jT2_SS_T4_T3_P12ihipStream_tbEUlT_E_NS1_11comp_targetILNS1_3genE2ELNS1_11target_archE906ELNS1_3gpuE6ELNS1_3repE0EEENS1_30default_config_static_selectorELNS0_4arch9wavefront6targetE1EEEvSR_.num_named_barrier, 0
	.set _ZN7rocprim17ROCPRIM_400000_NS6detail17trampoline_kernelINS0_14default_configENS1_32segmented_reduce_config_selectorIN3c108BFloat16EEEZNS1_21segmented_reduce_implIS3_PKS6_PS6_PKiS6_N6hipcub16HIPCUB_304000_NS6detail27convert_result_type_wrapperISA_SB_N2at6native12_GLOBAL__N_110CustomProdEEEEE10hipError_tPvRmT0_T1_jT2_SS_T4_T3_P12ihipStream_tbEUlT_E_NS1_11comp_targetILNS1_3genE2ELNS1_11target_archE906ELNS1_3gpuE6ELNS1_3repE0EEENS1_30default_config_static_selectorELNS0_4arch9wavefront6targetE1EEEvSR_.private_seg_size, 0
	.set _ZN7rocprim17ROCPRIM_400000_NS6detail17trampoline_kernelINS0_14default_configENS1_32segmented_reduce_config_selectorIN3c108BFloat16EEEZNS1_21segmented_reduce_implIS3_PKS6_PS6_PKiS6_N6hipcub16HIPCUB_304000_NS6detail27convert_result_type_wrapperISA_SB_N2at6native12_GLOBAL__N_110CustomProdEEEEE10hipError_tPvRmT0_T1_jT2_SS_T4_T3_P12ihipStream_tbEUlT_E_NS1_11comp_targetILNS1_3genE2ELNS1_11target_archE906ELNS1_3gpuE6ELNS1_3repE0EEENS1_30default_config_static_selectorELNS0_4arch9wavefront6targetE1EEEvSR_.uses_vcc, 1
	.set _ZN7rocprim17ROCPRIM_400000_NS6detail17trampoline_kernelINS0_14default_configENS1_32segmented_reduce_config_selectorIN3c108BFloat16EEEZNS1_21segmented_reduce_implIS3_PKS6_PS6_PKiS6_N6hipcub16HIPCUB_304000_NS6detail27convert_result_type_wrapperISA_SB_N2at6native12_GLOBAL__N_110CustomProdEEEEE10hipError_tPvRmT0_T1_jT2_SS_T4_T3_P12ihipStream_tbEUlT_E_NS1_11comp_targetILNS1_3genE2ELNS1_11target_archE906ELNS1_3gpuE6ELNS1_3repE0EEENS1_30default_config_static_selectorELNS0_4arch9wavefront6targetE1EEEvSR_.uses_flat_scratch, 0
	.set _ZN7rocprim17ROCPRIM_400000_NS6detail17trampoline_kernelINS0_14default_configENS1_32segmented_reduce_config_selectorIN3c108BFloat16EEEZNS1_21segmented_reduce_implIS3_PKS6_PS6_PKiS6_N6hipcub16HIPCUB_304000_NS6detail27convert_result_type_wrapperISA_SB_N2at6native12_GLOBAL__N_110CustomProdEEEEE10hipError_tPvRmT0_T1_jT2_SS_T4_T3_P12ihipStream_tbEUlT_E_NS1_11comp_targetILNS1_3genE2ELNS1_11target_archE906ELNS1_3gpuE6ELNS1_3repE0EEENS1_30default_config_static_selectorELNS0_4arch9wavefront6targetE1EEEvSR_.has_dyn_sized_stack, 0
	.set _ZN7rocprim17ROCPRIM_400000_NS6detail17trampoline_kernelINS0_14default_configENS1_32segmented_reduce_config_selectorIN3c108BFloat16EEEZNS1_21segmented_reduce_implIS3_PKS6_PS6_PKiS6_N6hipcub16HIPCUB_304000_NS6detail27convert_result_type_wrapperISA_SB_N2at6native12_GLOBAL__N_110CustomProdEEEEE10hipError_tPvRmT0_T1_jT2_SS_T4_T3_P12ihipStream_tbEUlT_E_NS1_11comp_targetILNS1_3genE2ELNS1_11target_archE906ELNS1_3gpuE6ELNS1_3repE0EEENS1_30default_config_static_selectorELNS0_4arch9wavefront6targetE1EEEvSR_.has_recursion, 0
	.set _ZN7rocprim17ROCPRIM_400000_NS6detail17trampoline_kernelINS0_14default_configENS1_32segmented_reduce_config_selectorIN3c108BFloat16EEEZNS1_21segmented_reduce_implIS3_PKS6_PS6_PKiS6_N6hipcub16HIPCUB_304000_NS6detail27convert_result_type_wrapperISA_SB_N2at6native12_GLOBAL__N_110CustomProdEEEEE10hipError_tPvRmT0_T1_jT2_SS_T4_T3_P12ihipStream_tbEUlT_E_NS1_11comp_targetILNS1_3genE2ELNS1_11target_archE906ELNS1_3gpuE6ELNS1_3repE0EEENS1_30default_config_static_selectorELNS0_4arch9wavefront6targetE1EEEvSR_.has_indirect_call, 0
	.section	.AMDGPU.csdata,"",@progbits
; Kernel info:
; codeLenInByte = 6316
; TotalNumSgprs: 53
; NumVgprs: 26
; ScratchSize: 0
; MemoryBound: 0
; FloatMode: 240
; IeeeMode: 1
; LDSByteSize: 8 bytes/workgroup (compile time only)
; SGPRBlocks: 6
; VGPRBlocks: 6
; NumSGPRsForWavesPerEU: 53
; NumVGPRsForWavesPerEU: 26
; Occupancy: 9
; WaveLimiterHint : 1
; COMPUTE_PGM_RSRC2:SCRATCH_EN: 0
; COMPUTE_PGM_RSRC2:USER_SGPR: 6
; COMPUTE_PGM_RSRC2:TRAP_HANDLER: 0
; COMPUTE_PGM_RSRC2:TGID_X_EN: 1
; COMPUTE_PGM_RSRC2:TGID_Y_EN: 0
; COMPUTE_PGM_RSRC2:TGID_Z_EN: 0
; COMPUTE_PGM_RSRC2:TIDIG_COMP_CNT: 0
	.section	.text._ZN7rocprim17ROCPRIM_400000_NS6detail17trampoline_kernelINS0_14default_configENS1_32segmented_reduce_config_selectorIN3c108BFloat16EEEZNS1_21segmented_reduce_implIS3_PKS6_PS6_PKiS6_N6hipcub16HIPCUB_304000_NS6detail27convert_result_type_wrapperISA_SB_N2at6native12_GLOBAL__N_110CustomProdEEEEE10hipError_tPvRmT0_T1_jT2_SS_T4_T3_P12ihipStream_tbEUlT_E_NS1_11comp_targetILNS1_3genE9ELNS1_11target_archE1100ELNS1_3gpuE3ELNS1_3repE0EEENS1_30default_config_static_selectorELNS0_4arch9wavefront6targetE1EEEvSR_,"axG",@progbits,_ZN7rocprim17ROCPRIM_400000_NS6detail17trampoline_kernelINS0_14default_configENS1_32segmented_reduce_config_selectorIN3c108BFloat16EEEZNS1_21segmented_reduce_implIS3_PKS6_PS6_PKiS6_N6hipcub16HIPCUB_304000_NS6detail27convert_result_type_wrapperISA_SB_N2at6native12_GLOBAL__N_110CustomProdEEEEE10hipError_tPvRmT0_T1_jT2_SS_T4_T3_P12ihipStream_tbEUlT_E_NS1_11comp_targetILNS1_3genE9ELNS1_11target_archE1100ELNS1_3gpuE3ELNS1_3repE0EEENS1_30default_config_static_selectorELNS0_4arch9wavefront6targetE1EEEvSR_,comdat
	.globl	_ZN7rocprim17ROCPRIM_400000_NS6detail17trampoline_kernelINS0_14default_configENS1_32segmented_reduce_config_selectorIN3c108BFloat16EEEZNS1_21segmented_reduce_implIS3_PKS6_PS6_PKiS6_N6hipcub16HIPCUB_304000_NS6detail27convert_result_type_wrapperISA_SB_N2at6native12_GLOBAL__N_110CustomProdEEEEE10hipError_tPvRmT0_T1_jT2_SS_T4_T3_P12ihipStream_tbEUlT_E_NS1_11comp_targetILNS1_3genE9ELNS1_11target_archE1100ELNS1_3gpuE3ELNS1_3repE0EEENS1_30default_config_static_selectorELNS0_4arch9wavefront6targetE1EEEvSR_ ; -- Begin function _ZN7rocprim17ROCPRIM_400000_NS6detail17trampoline_kernelINS0_14default_configENS1_32segmented_reduce_config_selectorIN3c108BFloat16EEEZNS1_21segmented_reduce_implIS3_PKS6_PS6_PKiS6_N6hipcub16HIPCUB_304000_NS6detail27convert_result_type_wrapperISA_SB_N2at6native12_GLOBAL__N_110CustomProdEEEEE10hipError_tPvRmT0_T1_jT2_SS_T4_T3_P12ihipStream_tbEUlT_E_NS1_11comp_targetILNS1_3genE9ELNS1_11target_archE1100ELNS1_3gpuE3ELNS1_3repE0EEENS1_30default_config_static_selectorELNS0_4arch9wavefront6targetE1EEEvSR_
	.p2align	8
	.type	_ZN7rocprim17ROCPRIM_400000_NS6detail17trampoline_kernelINS0_14default_configENS1_32segmented_reduce_config_selectorIN3c108BFloat16EEEZNS1_21segmented_reduce_implIS3_PKS6_PS6_PKiS6_N6hipcub16HIPCUB_304000_NS6detail27convert_result_type_wrapperISA_SB_N2at6native12_GLOBAL__N_110CustomProdEEEEE10hipError_tPvRmT0_T1_jT2_SS_T4_T3_P12ihipStream_tbEUlT_E_NS1_11comp_targetILNS1_3genE9ELNS1_11target_archE1100ELNS1_3gpuE3ELNS1_3repE0EEENS1_30default_config_static_selectorELNS0_4arch9wavefront6targetE1EEEvSR_,@function
_ZN7rocprim17ROCPRIM_400000_NS6detail17trampoline_kernelINS0_14default_configENS1_32segmented_reduce_config_selectorIN3c108BFloat16EEEZNS1_21segmented_reduce_implIS3_PKS6_PS6_PKiS6_N6hipcub16HIPCUB_304000_NS6detail27convert_result_type_wrapperISA_SB_N2at6native12_GLOBAL__N_110CustomProdEEEEE10hipError_tPvRmT0_T1_jT2_SS_T4_T3_P12ihipStream_tbEUlT_E_NS1_11comp_targetILNS1_3genE9ELNS1_11target_archE1100ELNS1_3gpuE3ELNS1_3repE0EEENS1_30default_config_static_selectorELNS0_4arch9wavefront6targetE1EEEvSR_: ; @_ZN7rocprim17ROCPRIM_400000_NS6detail17trampoline_kernelINS0_14default_configENS1_32segmented_reduce_config_selectorIN3c108BFloat16EEEZNS1_21segmented_reduce_implIS3_PKS6_PS6_PKiS6_N6hipcub16HIPCUB_304000_NS6detail27convert_result_type_wrapperISA_SB_N2at6native12_GLOBAL__N_110CustomProdEEEEE10hipError_tPvRmT0_T1_jT2_SS_T4_T3_P12ihipStream_tbEUlT_E_NS1_11comp_targetILNS1_3genE9ELNS1_11target_archE1100ELNS1_3gpuE3ELNS1_3repE0EEENS1_30default_config_static_selectorELNS0_4arch9wavefront6targetE1EEEvSR_
; %bb.0:
	.section	.rodata,"a",@progbits
	.p2align	6, 0x0
	.amdhsa_kernel _ZN7rocprim17ROCPRIM_400000_NS6detail17trampoline_kernelINS0_14default_configENS1_32segmented_reduce_config_selectorIN3c108BFloat16EEEZNS1_21segmented_reduce_implIS3_PKS6_PS6_PKiS6_N6hipcub16HIPCUB_304000_NS6detail27convert_result_type_wrapperISA_SB_N2at6native12_GLOBAL__N_110CustomProdEEEEE10hipError_tPvRmT0_T1_jT2_SS_T4_T3_P12ihipStream_tbEUlT_E_NS1_11comp_targetILNS1_3genE9ELNS1_11target_archE1100ELNS1_3gpuE3ELNS1_3repE0EEENS1_30default_config_static_selectorELNS0_4arch9wavefront6targetE1EEEvSR_
		.amdhsa_group_segment_fixed_size 0
		.amdhsa_private_segment_fixed_size 0
		.amdhsa_kernarg_size 48
		.amdhsa_user_sgpr_count 6
		.amdhsa_user_sgpr_private_segment_buffer 1
		.amdhsa_user_sgpr_dispatch_ptr 0
		.amdhsa_user_sgpr_queue_ptr 0
		.amdhsa_user_sgpr_kernarg_segment_ptr 1
		.amdhsa_user_sgpr_dispatch_id 0
		.amdhsa_user_sgpr_flat_scratch_init 0
		.amdhsa_user_sgpr_private_segment_size 0
		.amdhsa_uses_dynamic_stack 0
		.amdhsa_system_sgpr_private_segment_wavefront_offset 0
		.amdhsa_system_sgpr_workgroup_id_x 1
		.amdhsa_system_sgpr_workgroup_id_y 0
		.amdhsa_system_sgpr_workgroup_id_z 0
		.amdhsa_system_sgpr_workgroup_info 0
		.amdhsa_system_vgpr_workitem_id 0
		.amdhsa_next_free_vgpr 1
		.amdhsa_next_free_sgpr 0
		.amdhsa_reserve_vcc 0
		.amdhsa_reserve_flat_scratch 0
		.amdhsa_float_round_mode_32 0
		.amdhsa_float_round_mode_16_64 0
		.amdhsa_float_denorm_mode_32 3
		.amdhsa_float_denorm_mode_16_64 3
		.amdhsa_dx10_clamp 1
		.amdhsa_ieee_mode 1
		.amdhsa_fp16_overflow 0
		.amdhsa_exception_fp_ieee_invalid_op 0
		.amdhsa_exception_fp_denorm_src 0
		.amdhsa_exception_fp_ieee_div_zero 0
		.amdhsa_exception_fp_ieee_overflow 0
		.amdhsa_exception_fp_ieee_underflow 0
		.amdhsa_exception_fp_ieee_inexact 0
		.amdhsa_exception_int_div_zero 0
	.end_amdhsa_kernel
	.section	.text._ZN7rocprim17ROCPRIM_400000_NS6detail17trampoline_kernelINS0_14default_configENS1_32segmented_reduce_config_selectorIN3c108BFloat16EEEZNS1_21segmented_reduce_implIS3_PKS6_PS6_PKiS6_N6hipcub16HIPCUB_304000_NS6detail27convert_result_type_wrapperISA_SB_N2at6native12_GLOBAL__N_110CustomProdEEEEE10hipError_tPvRmT0_T1_jT2_SS_T4_T3_P12ihipStream_tbEUlT_E_NS1_11comp_targetILNS1_3genE9ELNS1_11target_archE1100ELNS1_3gpuE3ELNS1_3repE0EEENS1_30default_config_static_selectorELNS0_4arch9wavefront6targetE1EEEvSR_,"axG",@progbits,_ZN7rocprim17ROCPRIM_400000_NS6detail17trampoline_kernelINS0_14default_configENS1_32segmented_reduce_config_selectorIN3c108BFloat16EEEZNS1_21segmented_reduce_implIS3_PKS6_PS6_PKiS6_N6hipcub16HIPCUB_304000_NS6detail27convert_result_type_wrapperISA_SB_N2at6native12_GLOBAL__N_110CustomProdEEEEE10hipError_tPvRmT0_T1_jT2_SS_T4_T3_P12ihipStream_tbEUlT_E_NS1_11comp_targetILNS1_3genE9ELNS1_11target_archE1100ELNS1_3gpuE3ELNS1_3repE0EEENS1_30default_config_static_selectorELNS0_4arch9wavefront6targetE1EEEvSR_,comdat
.Lfunc_end142:
	.size	_ZN7rocprim17ROCPRIM_400000_NS6detail17trampoline_kernelINS0_14default_configENS1_32segmented_reduce_config_selectorIN3c108BFloat16EEEZNS1_21segmented_reduce_implIS3_PKS6_PS6_PKiS6_N6hipcub16HIPCUB_304000_NS6detail27convert_result_type_wrapperISA_SB_N2at6native12_GLOBAL__N_110CustomProdEEEEE10hipError_tPvRmT0_T1_jT2_SS_T4_T3_P12ihipStream_tbEUlT_E_NS1_11comp_targetILNS1_3genE9ELNS1_11target_archE1100ELNS1_3gpuE3ELNS1_3repE0EEENS1_30default_config_static_selectorELNS0_4arch9wavefront6targetE1EEEvSR_, .Lfunc_end142-_ZN7rocprim17ROCPRIM_400000_NS6detail17trampoline_kernelINS0_14default_configENS1_32segmented_reduce_config_selectorIN3c108BFloat16EEEZNS1_21segmented_reduce_implIS3_PKS6_PS6_PKiS6_N6hipcub16HIPCUB_304000_NS6detail27convert_result_type_wrapperISA_SB_N2at6native12_GLOBAL__N_110CustomProdEEEEE10hipError_tPvRmT0_T1_jT2_SS_T4_T3_P12ihipStream_tbEUlT_E_NS1_11comp_targetILNS1_3genE9ELNS1_11target_archE1100ELNS1_3gpuE3ELNS1_3repE0EEENS1_30default_config_static_selectorELNS0_4arch9wavefront6targetE1EEEvSR_
                                        ; -- End function
	.set _ZN7rocprim17ROCPRIM_400000_NS6detail17trampoline_kernelINS0_14default_configENS1_32segmented_reduce_config_selectorIN3c108BFloat16EEEZNS1_21segmented_reduce_implIS3_PKS6_PS6_PKiS6_N6hipcub16HIPCUB_304000_NS6detail27convert_result_type_wrapperISA_SB_N2at6native12_GLOBAL__N_110CustomProdEEEEE10hipError_tPvRmT0_T1_jT2_SS_T4_T3_P12ihipStream_tbEUlT_E_NS1_11comp_targetILNS1_3genE9ELNS1_11target_archE1100ELNS1_3gpuE3ELNS1_3repE0EEENS1_30default_config_static_selectorELNS0_4arch9wavefront6targetE1EEEvSR_.num_vgpr, 0
	.set _ZN7rocprim17ROCPRIM_400000_NS6detail17trampoline_kernelINS0_14default_configENS1_32segmented_reduce_config_selectorIN3c108BFloat16EEEZNS1_21segmented_reduce_implIS3_PKS6_PS6_PKiS6_N6hipcub16HIPCUB_304000_NS6detail27convert_result_type_wrapperISA_SB_N2at6native12_GLOBAL__N_110CustomProdEEEEE10hipError_tPvRmT0_T1_jT2_SS_T4_T3_P12ihipStream_tbEUlT_E_NS1_11comp_targetILNS1_3genE9ELNS1_11target_archE1100ELNS1_3gpuE3ELNS1_3repE0EEENS1_30default_config_static_selectorELNS0_4arch9wavefront6targetE1EEEvSR_.num_agpr, 0
	.set _ZN7rocprim17ROCPRIM_400000_NS6detail17trampoline_kernelINS0_14default_configENS1_32segmented_reduce_config_selectorIN3c108BFloat16EEEZNS1_21segmented_reduce_implIS3_PKS6_PS6_PKiS6_N6hipcub16HIPCUB_304000_NS6detail27convert_result_type_wrapperISA_SB_N2at6native12_GLOBAL__N_110CustomProdEEEEE10hipError_tPvRmT0_T1_jT2_SS_T4_T3_P12ihipStream_tbEUlT_E_NS1_11comp_targetILNS1_3genE9ELNS1_11target_archE1100ELNS1_3gpuE3ELNS1_3repE0EEENS1_30default_config_static_selectorELNS0_4arch9wavefront6targetE1EEEvSR_.numbered_sgpr, 0
	.set _ZN7rocprim17ROCPRIM_400000_NS6detail17trampoline_kernelINS0_14default_configENS1_32segmented_reduce_config_selectorIN3c108BFloat16EEEZNS1_21segmented_reduce_implIS3_PKS6_PS6_PKiS6_N6hipcub16HIPCUB_304000_NS6detail27convert_result_type_wrapperISA_SB_N2at6native12_GLOBAL__N_110CustomProdEEEEE10hipError_tPvRmT0_T1_jT2_SS_T4_T3_P12ihipStream_tbEUlT_E_NS1_11comp_targetILNS1_3genE9ELNS1_11target_archE1100ELNS1_3gpuE3ELNS1_3repE0EEENS1_30default_config_static_selectorELNS0_4arch9wavefront6targetE1EEEvSR_.num_named_barrier, 0
	.set _ZN7rocprim17ROCPRIM_400000_NS6detail17trampoline_kernelINS0_14default_configENS1_32segmented_reduce_config_selectorIN3c108BFloat16EEEZNS1_21segmented_reduce_implIS3_PKS6_PS6_PKiS6_N6hipcub16HIPCUB_304000_NS6detail27convert_result_type_wrapperISA_SB_N2at6native12_GLOBAL__N_110CustomProdEEEEE10hipError_tPvRmT0_T1_jT2_SS_T4_T3_P12ihipStream_tbEUlT_E_NS1_11comp_targetILNS1_3genE9ELNS1_11target_archE1100ELNS1_3gpuE3ELNS1_3repE0EEENS1_30default_config_static_selectorELNS0_4arch9wavefront6targetE1EEEvSR_.private_seg_size, 0
	.set _ZN7rocprim17ROCPRIM_400000_NS6detail17trampoline_kernelINS0_14default_configENS1_32segmented_reduce_config_selectorIN3c108BFloat16EEEZNS1_21segmented_reduce_implIS3_PKS6_PS6_PKiS6_N6hipcub16HIPCUB_304000_NS6detail27convert_result_type_wrapperISA_SB_N2at6native12_GLOBAL__N_110CustomProdEEEEE10hipError_tPvRmT0_T1_jT2_SS_T4_T3_P12ihipStream_tbEUlT_E_NS1_11comp_targetILNS1_3genE9ELNS1_11target_archE1100ELNS1_3gpuE3ELNS1_3repE0EEENS1_30default_config_static_selectorELNS0_4arch9wavefront6targetE1EEEvSR_.uses_vcc, 0
	.set _ZN7rocprim17ROCPRIM_400000_NS6detail17trampoline_kernelINS0_14default_configENS1_32segmented_reduce_config_selectorIN3c108BFloat16EEEZNS1_21segmented_reduce_implIS3_PKS6_PS6_PKiS6_N6hipcub16HIPCUB_304000_NS6detail27convert_result_type_wrapperISA_SB_N2at6native12_GLOBAL__N_110CustomProdEEEEE10hipError_tPvRmT0_T1_jT2_SS_T4_T3_P12ihipStream_tbEUlT_E_NS1_11comp_targetILNS1_3genE9ELNS1_11target_archE1100ELNS1_3gpuE3ELNS1_3repE0EEENS1_30default_config_static_selectorELNS0_4arch9wavefront6targetE1EEEvSR_.uses_flat_scratch, 0
	.set _ZN7rocprim17ROCPRIM_400000_NS6detail17trampoline_kernelINS0_14default_configENS1_32segmented_reduce_config_selectorIN3c108BFloat16EEEZNS1_21segmented_reduce_implIS3_PKS6_PS6_PKiS6_N6hipcub16HIPCUB_304000_NS6detail27convert_result_type_wrapperISA_SB_N2at6native12_GLOBAL__N_110CustomProdEEEEE10hipError_tPvRmT0_T1_jT2_SS_T4_T3_P12ihipStream_tbEUlT_E_NS1_11comp_targetILNS1_3genE9ELNS1_11target_archE1100ELNS1_3gpuE3ELNS1_3repE0EEENS1_30default_config_static_selectorELNS0_4arch9wavefront6targetE1EEEvSR_.has_dyn_sized_stack, 0
	.set _ZN7rocprim17ROCPRIM_400000_NS6detail17trampoline_kernelINS0_14default_configENS1_32segmented_reduce_config_selectorIN3c108BFloat16EEEZNS1_21segmented_reduce_implIS3_PKS6_PS6_PKiS6_N6hipcub16HIPCUB_304000_NS6detail27convert_result_type_wrapperISA_SB_N2at6native12_GLOBAL__N_110CustomProdEEEEE10hipError_tPvRmT0_T1_jT2_SS_T4_T3_P12ihipStream_tbEUlT_E_NS1_11comp_targetILNS1_3genE9ELNS1_11target_archE1100ELNS1_3gpuE3ELNS1_3repE0EEENS1_30default_config_static_selectorELNS0_4arch9wavefront6targetE1EEEvSR_.has_recursion, 0
	.set _ZN7rocprim17ROCPRIM_400000_NS6detail17trampoline_kernelINS0_14default_configENS1_32segmented_reduce_config_selectorIN3c108BFloat16EEEZNS1_21segmented_reduce_implIS3_PKS6_PS6_PKiS6_N6hipcub16HIPCUB_304000_NS6detail27convert_result_type_wrapperISA_SB_N2at6native12_GLOBAL__N_110CustomProdEEEEE10hipError_tPvRmT0_T1_jT2_SS_T4_T3_P12ihipStream_tbEUlT_E_NS1_11comp_targetILNS1_3genE9ELNS1_11target_archE1100ELNS1_3gpuE3ELNS1_3repE0EEENS1_30default_config_static_selectorELNS0_4arch9wavefront6targetE1EEEvSR_.has_indirect_call, 0
	.section	.AMDGPU.csdata,"",@progbits
; Kernel info:
; codeLenInByte = 0
; TotalNumSgprs: 4
; NumVgprs: 0
; ScratchSize: 0
; MemoryBound: 0
; FloatMode: 240
; IeeeMode: 1
; LDSByteSize: 0 bytes/workgroup (compile time only)
; SGPRBlocks: 0
; VGPRBlocks: 0
; NumSGPRsForWavesPerEU: 4
; NumVGPRsForWavesPerEU: 1
; Occupancy: 10
; WaveLimiterHint : 0
; COMPUTE_PGM_RSRC2:SCRATCH_EN: 0
; COMPUTE_PGM_RSRC2:USER_SGPR: 6
; COMPUTE_PGM_RSRC2:TRAP_HANDLER: 0
; COMPUTE_PGM_RSRC2:TGID_X_EN: 1
; COMPUTE_PGM_RSRC2:TGID_Y_EN: 0
; COMPUTE_PGM_RSRC2:TGID_Z_EN: 0
; COMPUTE_PGM_RSRC2:TIDIG_COMP_CNT: 0
	.section	.text._ZN7rocprim17ROCPRIM_400000_NS6detail17trampoline_kernelINS0_14default_configENS1_32segmented_reduce_config_selectorIN3c108BFloat16EEEZNS1_21segmented_reduce_implIS3_PKS6_PS6_PKiS6_N6hipcub16HIPCUB_304000_NS6detail27convert_result_type_wrapperISA_SB_N2at6native12_GLOBAL__N_110CustomProdEEEEE10hipError_tPvRmT0_T1_jT2_SS_T4_T3_P12ihipStream_tbEUlT_E_NS1_11comp_targetILNS1_3genE8ELNS1_11target_archE1030ELNS1_3gpuE2ELNS1_3repE0EEENS1_30default_config_static_selectorELNS0_4arch9wavefront6targetE1EEEvSR_,"axG",@progbits,_ZN7rocprim17ROCPRIM_400000_NS6detail17trampoline_kernelINS0_14default_configENS1_32segmented_reduce_config_selectorIN3c108BFloat16EEEZNS1_21segmented_reduce_implIS3_PKS6_PS6_PKiS6_N6hipcub16HIPCUB_304000_NS6detail27convert_result_type_wrapperISA_SB_N2at6native12_GLOBAL__N_110CustomProdEEEEE10hipError_tPvRmT0_T1_jT2_SS_T4_T3_P12ihipStream_tbEUlT_E_NS1_11comp_targetILNS1_3genE8ELNS1_11target_archE1030ELNS1_3gpuE2ELNS1_3repE0EEENS1_30default_config_static_selectorELNS0_4arch9wavefront6targetE1EEEvSR_,comdat
	.globl	_ZN7rocprim17ROCPRIM_400000_NS6detail17trampoline_kernelINS0_14default_configENS1_32segmented_reduce_config_selectorIN3c108BFloat16EEEZNS1_21segmented_reduce_implIS3_PKS6_PS6_PKiS6_N6hipcub16HIPCUB_304000_NS6detail27convert_result_type_wrapperISA_SB_N2at6native12_GLOBAL__N_110CustomProdEEEEE10hipError_tPvRmT0_T1_jT2_SS_T4_T3_P12ihipStream_tbEUlT_E_NS1_11comp_targetILNS1_3genE8ELNS1_11target_archE1030ELNS1_3gpuE2ELNS1_3repE0EEENS1_30default_config_static_selectorELNS0_4arch9wavefront6targetE1EEEvSR_ ; -- Begin function _ZN7rocprim17ROCPRIM_400000_NS6detail17trampoline_kernelINS0_14default_configENS1_32segmented_reduce_config_selectorIN3c108BFloat16EEEZNS1_21segmented_reduce_implIS3_PKS6_PS6_PKiS6_N6hipcub16HIPCUB_304000_NS6detail27convert_result_type_wrapperISA_SB_N2at6native12_GLOBAL__N_110CustomProdEEEEE10hipError_tPvRmT0_T1_jT2_SS_T4_T3_P12ihipStream_tbEUlT_E_NS1_11comp_targetILNS1_3genE8ELNS1_11target_archE1030ELNS1_3gpuE2ELNS1_3repE0EEENS1_30default_config_static_selectorELNS0_4arch9wavefront6targetE1EEEvSR_
	.p2align	8
	.type	_ZN7rocprim17ROCPRIM_400000_NS6detail17trampoline_kernelINS0_14default_configENS1_32segmented_reduce_config_selectorIN3c108BFloat16EEEZNS1_21segmented_reduce_implIS3_PKS6_PS6_PKiS6_N6hipcub16HIPCUB_304000_NS6detail27convert_result_type_wrapperISA_SB_N2at6native12_GLOBAL__N_110CustomProdEEEEE10hipError_tPvRmT0_T1_jT2_SS_T4_T3_P12ihipStream_tbEUlT_E_NS1_11comp_targetILNS1_3genE8ELNS1_11target_archE1030ELNS1_3gpuE2ELNS1_3repE0EEENS1_30default_config_static_selectorELNS0_4arch9wavefront6targetE1EEEvSR_,@function
_ZN7rocprim17ROCPRIM_400000_NS6detail17trampoline_kernelINS0_14default_configENS1_32segmented_reduce_config_selectorIN3c108BFloat16EEEZNS1_21segmented_reduce_implIS3_PKS6_PS6_PKiS6_N6hipcub16HIPCUB_304000_NS6detail27convert_result_type_wrapperISA_SB_N2at6native12_GLOBAL__N_110CustomProdEEEEE10hipError_tPvRmT0_T1_jT2_SS_T4_T3_P12ihipStream_tbEUlT_E_NS1_11comp_targetILNS1_3genE8ELNS1_11target_archE1030ELNS1_3gpuE2ELNS1_3repE0EEENS1_30default_config_static_selectorELNS0_4arch9wavefront6targetE1EEEvSR_: ; @_ZN7rocprim17ROCPRIM_400000_NS6detail17trampoline_kernelINS0_14default_configENS1_32segmented_reduce_config_selectorIN3c108BFloat16EEEZNS1_21segmented_reduce_implIS3_PKS6_PS6_PKiS6_N6hipcub16HIPCUB_304000_NS6detail27convert_result_type_wrapperISA_SB_N2at6native12_GLOBAL__N_110CustomProdEEEEE10hipError_tPvRmT0_T1_jT2_SS_T4_T3_P12ihipStream_tbEUlT_E_NS1_11comp_targetILNS1_3genE8ELNS1_11target_archE1030ELNS1_3gpuE2ELNS1_3repE0EEENS1_30default_config_static_selectorELNS0_4arch9wavefront6targetE1EEEvSR_
; %bb.0:
	.section	.rodata,"a",@progbits
	.p2align	6, 0x0
	.amdhsa_kernel _ZN7rocprim17ROCPRIM_400000_NS6detail17trampoline_kernelINS0_14default_configENS1_32segmented_reduce_config_selectorIN3c108BFloat16EEEZNS1_21segmented_reduce_implIS3_PKS6_PS6_PKiS6_N6hipcub16HIPCUB_304000_NS6detail27convert_result_type_wrapperISA_SB_N2at6native12_GLOBAL__N_110CustomProdEEEEE10hipError_tPvRmT0_T1_jT2_SS_T4_T3_P12ihipStream_tbEUlT_E_NS1_11comp_targetILNS1_3genE8ELNS1_11target_archE1030ELNS1_3gpuE2ELNS1_3repE0EEENS1_30default_config_static_selectorELNS0_4arch9wavefront6targetE1EEEvSR_
		.amdhsa_group_segment_fixed_size 0
		.amdhsa_private_segment_fixed_size 0
		.amdhsa_kernarg_size 48
		.amdhsa_user_sgpr_count 6
		.amdhsa_user_sgpr_private_segment_buffer 1
		.amdhsa_user_sgpr_dispatch_ptr 0
		.amdhsa_user_sgpr_queue_ptr 0
		.amdhsa_user_sgpr_kernarg_segment_ptr 1
		.amdhsa_user_sgpr_dispatch_id 0
		.amdhsa_user_sgpr_flat_scratch_init 0
		.amdhsa_user_sgpr_private_segment_size 0
		.amdhsa_uses_dynamic_stack 0
		.amdhsa_system_sgpr_private_segment_wavefront_offset 0
		.amdhsa_system_sgpr_workgroup_id_x 1
		.amdhsa_system_sgpr_workgroup_id_y 0
		.amdhsa_system_sgpr_workgroup_id_z 0
		.amdhsa_system_sgpr_workgroup_info 0
		.amdhsa_system_vgpr_workitem_id 0
		.amdhsa_next_free_vgpr 1
		.amdhsa_next_free_sgpr 0
		.amdhsa_reserve_vcc 0
		.amdhsa_reserve_flat_scratch 0
		.amdhsa_float_round_mode_32 0
		.amdhsa_float_round_mode_16_64 0
		.amdhsa_float_denorm_mode_32 3
		.amdhsa_float_denorm_mode_16_64 3
		.amdhsa_dx10_clamp 1
		.amdhsa_ieee_mode 1
		.amdhsa_fp16_overflow 0
		.amdhsa_exception_fp_ieee_invalid_op 0
		.amdhsa_exception_fp_denorm_src 0
		.amdhsa_exception_fp_ieee_div_zero 0
		.amdhsa_exception_fp_ieee_overflow 0
		.amdhsa_exception_fp_ieee_underflow 0
		.amdhsa_exception_fp_ieee_inexact 0
		.amdhsa_exception_int_div_zero 0
	.end_amdhsa_kernel
	.section	.text._ZN7rocprim17ROCPRIM_400000_NS6detail17trampoline_kernelINS0_14default_configENS1_32segmented_reduce_config_selectorIN3c108BFloat16EEEZNS1_21segmented_reduce_implIS3_PKS6_PS6_PKiS6_N6hipcub16HIPCUB_304000_NS6detail27convert_result_type_wrapperISA_SB_N2at6native12_GLOBAL__N_110CustomProdEEEEE10hipError_tPvRmT0_T1_jT2_SS_T4_T3_P12ihipStream_tbEUlT_E_NS1_11comp_targetILNS1_3genE8ELNS1_11target_archE1030ELNS1_3gpuE2ELNS1_3repE0EEENS1_30default_config_static_selectorELNS0_4arch9wavefront6targetE1EEEvSR_,"axG",@progbits,_ZN7rocprim17ROCPRIM_400000_NS6detail17trampoline_kernelINS0_14default_configENS1_32segmented_reduce_config_selectorIN3c108BFloat16EEEZNS1_21segmented_reduce_implIS3_PKS6_PS6_PKiS6_N6hipcub16HIPCUB_304000_NS6detail27convert_result_type_wrapperISA_SB_N2at6native12_GLOBAL__N_110CustomProdEEEEE10hipError_tPvRmT0_T1_jT2_SS_T4_T3_P12ihipStream_tbEUlT_E_NS1_11comp_targetILNS1_3genE8ELNS1_11target_archE1030ELNS1_3gpuE2ELNS1_3repE0EEENS1_30default_config_static_selectorELNS0_4arch9wavefront6targetE1EEEvSR_,comdat
.Lfunc_end143:
	.size	_ZN7rocprim17ROCPRIM_400000_NS6detail17trampoline_kernelINS0_14default_configENS1_32segmented_reduce_config_selectorIN3c108BFloat16EEEZNS1_21segmented_reduce_implIS3_PKS6_PS6_PKiS6_N6hipcub16HIPCUB_304000_NS6detail27convert_result_type_wrapperISA_SB_N2at6native12_GLOBAL__N_110CustomProdEEEEE10hipError_tPvRmT0_T1_jT2_SS_T4_T3_P12ihipStream_tbEUlT_E_NS1_11comp_targetILNS1_3genE8ELNS1_11target_archE1030ELNS1_3gpuE2ELNS1_3repE0EEENS1_30default_config_static_selectorELNS0_4arch9wavefront6targetE1EEEvSR_, .Lfunc_end143-_ZN7rocprim17ROCPRIM_400000_NS6detail17trampoline_kernelINS0_14default_configENS1_32segmented_reduce_config_selectorIN3c108BFloat16EEEZNS1_21segmented_reduce_implIS3_PKS6_PS6_PKiS6_N6hipcub16HIPCUB_304000_NS6detail27convert_result_type_wrapperISA_SB_N2at6native12_GLOBAL__N_110CustomProdEEEEE10hipError_tPvRmT0_T1_jT2_SS_T4_T3_P12ihipStream_tbEUlT_E_NS1_11comp_targetILNS1_3genE8ELNS1_11target_archE1030ELNS1_3gpuE2ELNS1_3repE0EEENS1_30default_config_static_selectorELNS0_4arch9wavefront6targetE1EEEvSR_
                                        ; -- End function
	.set _ZN7rocprim17ROCPRIM_400000_NS6detail17trampoline_kernelINS0_14default_configENS1_32segmented_reduce_config_selectorIN3c108BFloat16EEEZNS1_21segmented_reduce_implIS3_PKS6_PS6_PKiS6_N6hipcub16HIPCUB_304000_NS6detail27convert_result_type_wrapperISA_SB_N2at6native12_GLOBAL__N_110CustomProdEEEEE10hipError_tPvRmT0_T1_jT2_SS_T4_T3_P12ihipStream_tbEUlT_E_NS1_11comp_targetILNS1_3genE8ELNS1_11target_archE1030ELNS1_3gpuE2ELNS1_3repE0EEENS1_30default_config_static_selectorELNS0_4arch9wavefront6targetE1EEEvSR_.num_vgpr, 0
	.set _ZN7rocprim17ROCPRIM_400000_NS6detail17trampoline_kernelINS0_14default_configENS1_32segmented_reduce_config_selectorIN3c108BFloat16EEEZNS1_21segmented_reduce_implIS3_PKS6_PS6_PKiS6_N6hipcub16HIPCUB_304000_NS6detail27convert_result_type_wrapperISA_SB_N2at6native12_GLOBAL__N_110CustomProdEEEEE10hipError_tPvRmT0_T1_jT2_SS_T4_T3_P12ihipStream_tbEUlT_E_NS1_11comp_targetILNS1_3genE8ELNS1_11target_archE1030ELNS1_3gpuE2ELNS1_3repE0EEENS1_30default_config_static_selectorELNS0_4arch9wavefront6targetE1EEEvSR_.num_agpr, 0
	.set _ZN7rocprim17ROCPRIM_400000_NS6detail17trampoline_kernelINS0_14default_configENS1_32segmented_reduce_config_selectorIN3c108BFloat16EEEZNS1_21segmented_reduce_implIS3_PKS6_PS6_PKiS6_N6hipcub16HIPCUB_304000_NS6detail27convert_result_type_wrapperISA_SB_N2at6native12_GLOBAL__N_110CustomProdEEEEE10hipError_tPvRmT0_T1_jT2_SS_T4_T3_P12ihipStream_tbEUlT_E_NS1_11comp_targetILNS1_3genE8ELNS1_11target_archE1030ELNS1_3gpuE2ELNS1_3repE0EEENS1_30default_config_static_selectorELNS0_4arch9wavefront6targetE1EEEvSR_.numbered_sgpr, 0
	.set _ZN7rocprim17ROCPRIM_400000_NS6detail17trampoline_kernelINS0_14default_configENS1_32segmented_reduce_config_selectorIN3c108BFloat16EEEZNS1_21segmented_reduce_implIS3_PKS6_PS6_PKiS6_N6hipcub16HIPCUB_304000_NS6detail27convert_result_type_wrapperISA_SB_N2at6native12_GLOBAL__N_110CustomProdEEEEE10hipError_tPvRmT0_T1_jT2_SS_T4_T3_P12ihipStream_tbEUlT_E_NS1_11comp_targetILNS1_3genE8ELNS1_11target_archE1030ELNS1_3gpuE2ELNS1_3repE0EEENS1_30default_config_static_selectorELNS0_4arch9wavefront6targetE1EEEvSR_.num_named_barrier, 0
	.set _ZN7rocprim17ROCPRIM_400000_NS6detail17trampoline_kernelINS0_14default_configENS1_32segmented_reduce_config_selectorIN3c108BFloat16EEEZNS1_21segmented_reduce_implIS3_PKS6_PS6_PKiS6_N6hipcub16HIPCUB_304000_NS6detail27convert_result_type_wrapperISA_SB_N2at6native12_GLOBAL__N_110CustomProdEEEEE10hipError_tPvRmT0_T1_jT2_SS_T4_T3_P12ihipStream_tbEUlT_E_NS1_11comp_targetILNS1_3genE8ELNS1_11target_archE1030ELNS1_3gpuE2ELNS1_3repE0EEENS1_30default_config_static_selectorELNS0_4arch9wavefront6targetE1EEEvSR_.private_seg_size, 0
	.set _ZN7rocprim17ROCPRIM_400000_NS6detail17trampoline_kernelINS0_14default_configENS1_32segmented_reduce_config_selectorIN3c108BFloat16EEEZNS1_21segmented_reduce_implIS3_PKS6_PS6_PKiS6_N6hipcub16HIPCUB_304000_NS6detail27convert_result_type_wrapperISA_SB_N2at6native12_GLOBAL__N_110CustomProdEEEEE10hipError_tPvRmT0_T1_jT2_SS_T4_T3_P12ihipStream_tbEUlT_E_NS1_11comp_targetILNS1_3genE8ELNS1_11target_archE1030ELNS1_3gpuE2ELNS1_3repE0EEENS1_30default_config_static_selectorELNS0_4arch9wavefront6targetE1EEEvSR_.uses_vcc, 0
	.set _ZN7rocprim17ROCPRIM_400000_NS6detail17trampoline_kernelINS0_14default_configENS1_32segmented_reduce_config_selectorIN3c108BFloat16EEEZNS1_21segmented_reduce_implIS3_PKS6_PS6_PKiS6_N6hipcub16HIPCUB_304000_NS6detail27convert_result_type_wrapperISA_SB_N2at6native12_GLOBAL__N_110CustomProdEEEEE10hipError_tPvRmT0_T1_jT2_SS_T4_T3_P12ihipStream_tbEUlT_E_NS1_11comp_targetILNS1_3genE8ELNS1_11target_archE1030ELNS1_3gpuE2ELNS1_3repE0EEENS1_30default_config_static_selectorELNS0_4arch9wavefront6targetE1EEEvSR_.uses_flat_scratch, 0
	.set _ZN7rocprim17ROCPRIM_400000_NS6detail17trampoline_kernelINS0_14default_configENS1_32segmented_reduce_config_selectorIN3c108BFloat16EEEZNS1_21segmented_reduce_implIS3_PKS6_PS6_PKiS6_N6hipcub16HIPCUB_304000_NS6detail27convert_result_type_wrapperISA_SB_N2at6native12_GLOBAL__N_110CustomProdEEEEE10hipError_tPvRmT0_T1_jT2_SS_T4_T3_P12ihipStream_tbEUlT_E_NS1_11comp_targetILNS1_3genE8ELNS1_11target_archE1030ELNS1_3gpuE2ELNS1_3repE0EEENS1_30default_config_static_selectorELNS0_4arch9wavefront6targetE1EEEvSR_.has_dyn_sized_stack, 0
	.set _ZN7rocprim17ROCPRIM_400000_NS6detail17trampoline_kernelINS0_14default_configENS1_32segmented_reduce_config_selectorIN3c108BFloat16EEEZNS1_21segmented_reduce_implIS3_PKS6_PS6_PKiS6_N6hipcub16HIPCUB_304000_NS6detail27convert_result_type_wrapperISA_SB_N2at6native12_GLOBAL__N_110CustomProdEEEEE10hipError_tPvRmT0_T1_jT2_SS_T4_T3_P12ihipStream_tbEUlT_E_NS1_11comp_targetILNS1_3genE8ELNS1_11target_archE1030ELNS1_3gpuE2ELNS1_3repE0EEENS1_30default_config_static_selectorELNS0_4arch9wavefront6targetE1EEEvSR_.has_recursion, 0
	.set _ZN7rocprim17ROCPRIM_400000_NS6detail17trampoline_kernelINS0_14default_configENS1_32segmented_reduce_config_selectorIN3c108BFloat16EEEZNS1_21segmented_reduce_implIS3_PKS6_PS6_PKiS6_N6hipcub16HIPCUB_304000_NS6detail27convert_result_type_wrapperISA_SB_N2at6native12_GLOBAL__N_110CustomProdEEEEE10hipError_tPvRmT0_T1_jT2_SS_T4_T3_P12ihipStream_tbEUlT_E_NS1_11comp_targetILNS1_3genE8ELNS1_11target_archE1030ELNS1_3gpuE2ELNS1_3repE0EEENS1_30default_config_static_selectorELNS0_4arch9wavefront6targetE1EEEvSR_.has_indirect_call, 0
	.section	.AMDGPU.csdata,"",@progbits
; Kernel info:
; codeLenInByte = 0
; TotalNumSgprs: 4
; NumVgprs: 0
; ScratchSize: 0
; MemoryBound: 0
; FloatMode: 240
; IeeeMode: 1
; LDSByteSize: 0 bytes/workgroup (compile time only)
; SGPRBlocks: 0
; VGPRBlocks: 0
; NumSGPRsForWavesPerEU: 4
; NumVGPRsForWavesPerEU: 1
; Occupancy: 10
; WaveLimiterHint : 0
; COMPUTE_PGM_RSRC2:SCRATCH_EN: 0
; COMPUTE_PGM_RSRC2:USER_SGPR: 6
; COMPUTE_PGM_RSRC2:TRAP_HANDLER: 0
; COMPUTE_PGM_RSRC2:TGID_X_EN: 1
; COMPUTE_PGM_RSRC2:TGID_Y_EN: 0
; COMPUTE_PGM_RSRC2:TGID_Z_EN: 0
; COMPUTE_PGM_RSRC2:TIDIG_COMP_CNT: 0
	.section	.text._ZN2at6native12_GLOBAL__N_129segment_reduce_forward_kernelIdlEEvNS0_13ReductionTypeEPT_PKS4_PKT0_SA_llbS4_lllllll,"axG",@progbits,_ZN2at6native12_GLOBAL__N_129segment_reduce_forward_kernelIdlEEvNS0_13ReductionTypeEPT_PKS4_PKT0_SA_llbS4_lllllll,comdat
	.globl	_ZN2at6native12_GLOBAL__N_129segment_reduce_forward_kernelIdlEEvNS0_13ReductionTypeEPT_PKS4_PKT0_SA_llbS4_lllllll ; -- Begin function _ZN2at6native12_GLOBAL__N_129segment_reduce_forward_kernelIdlEEvNS0_13ReductionTypeEPT_PKS4_PKT0_SA_llbS4_lllllll
	.p2align	8
	.type	_ZN2at6native12_GLOBAL__N_129segment_reduce_forward_kernelIdlEEvNS0_13ReductionTypeEPT_PKS4_PKT0_SA_llbS4_lllllll,@function
_ZN2at6native12_GLOBAL__N_129segment_reduce_forward_kernelIdlEEvNS0_13ReductionTypeEPT_PKS4_PKT0_SA_llbS4_lllllll: ; @_ZN2at6native12_GLOBAL__N_129segment_reduce_forward_kernelIdlEEvNS0_13ReductionTypeEPT_PKS4_PKT0_SA_llbS4_lllllll
; %bb.0:
	s_load_dword s0, s[4:5], 0x8c
	s_load_dwordx4 s[36:39], s[4:5], 0x28
	s_load_dwordx16 s[8:23], s[4:5], 0x40
	v_mov_b32_e32 v2, 0
	v_mov_b32_e32 v1, v2
	s_waitcnt lgkmcnt(0)
	s_and_b32 s0, s0, 0xffff
	v_mov_b32_e32 v3, s6
	v_mad_u64_u32 v[4:5], s[0:1], s0, v3, v[0:1]
	s_mul_i32 s0, s10, s37
	s_mul_hi_u32 s1, s10, s36
	s_add_i32 s0, s1, s0
	s_mul_i32 s1, s11, s36
	s_mul_i32 s2, s10, s36
	s_add_i32 s0, s0, s1
	s_mul_i32 s1, s2, s13
	s_mul_hi_u32 s3, s2, s12
	s_add_i32 s1, s3, s1
	s_mul_i32 s0, s0, s12
	s_add_i32 s1, s1, s0
	s_mul_i32 s0, s2, s12
	v_cmp_gt_i64_e32 vcc, s[0:1], v[4:5]
	s_and_saveexec_b64 s[0:1], vcc
	s_cbranch_execz .LBB144_35
; %bb.1:
	v_or_b32_e32 v3, s13, v5
	v_cmp_ne_u64_e32 vcc, 0, v[2:3]
                                        ; implicit-def: $vgpr10_vgpr11
	s_and_saveexec_b64 s[0:1], vcc
	s_xor_b64 s[2:3], exec, s[0:1]
	s_cbranch_execz .LBB144_3
; %bb.2:
	s_ashr_i32 s6, s13, 31
	s_add_u32 s0, s12, s6
	s_mov_b32 s7, s6
	s_addc_u32 s1, s13, s6
	s_xor_b64 s[10:11], s[0:1], s[6:7]
	v_cvt_f32_u32_e32 v0, s10
	v_cvt_f32_u32_e32 v1, s11
	s_sub_u32 s7, 0, s10
	s_subb_u32 s24, 0, s11
	v_ashrrev_i32_e32 v6, 31, v5
	v_madmk_f32 v0, v1, 0x4f800000, v0
	v_rcp_f32_e32 v0, v0
	v_mul_f32_e32 v0, 0x5f7ffffc, v0
	v_mul_f32_e32 v1, 0x2f800000, v0
	v_trunc_f32_e32 v1, v1
	v_madmk_f32 v0, v1, 0xcf800000, v0
	v_cvt_u32_f32_e32 v1, v1
	v_cvt_u32_f32_e32 v0, v0
	v_readfirstlane_b32 s25, v1
	v_readfirstlane_b32 s0, v0
	s_mul_i32 s1, s7, s25
	s_mul_hi_u32 s27, s7, s0
	s_mul_i32 s26, s24, s0
	s_add_i32 s1, s27, s1
	s_add_i32 s1, s1, s26
	s_mul_i32 s28, s7, s0
	s_mul_i32 s27, s0, s1
	s_mul_hi_u32 s29, s0, s28
	s_mul_hi_u32 s26, s0, s1
	s_add_u32 s27, s29, s27
	s_addc_u32 s26, 0, s26
	s_mul_hi_u32 s30, s25, s28
	s_mul_i32 s28, s25, s28
	s_add_u32 s27, s27, s28
	s_mul_hi_u32 s29, s25, s1
	s_addc_u32 s26, s26, s30
	s_addc_u32 s27, s29, 0
	s_mul_i32 s1, s25, s1
	s_add_u32 s1, s26, s1
	s_addc_u32 s26, 0, s27
	s_add_u32 s27, s0, s1
	s_cselect_b64 s[0:1], -1, 0
	s_cmp_lg_u64 s[0:1], 0
	s_addc_u32 s25, s25, s26
	s_mul_i32 s0, s7, s25
	s_mul_hi_u32 s1, s7, s27
	s_add_i32 s0, s1, s0
	s_mul_i32 s24, s24, s27
	s_add_i32 s0, s0, s24
	s_mul_i32 s7, s7, s27
	s_mul_hi_u32 s24, s25, s7
	s_mul_i32 s26, s25, s7
	s_mul_i32 s29, s27, s0
	s_mul_hi_u32 s7, s27, s7
	s_mul_hi_u32 s28, s27, s0
	s_add_u32 s7, s7, s29
	s_addc_u32 s28, 0, s28
	s_add_u32 s7, s7, s26
	s_mul_hi_u32 s1, s25, s0
	s_addc_u32 s7, s28, s24
	s_addc_u32 s1, s1, 0
	s_mul_i32 s0, s25, s0
	s_add_u32 s0, s7, s0
	s_addc_u32 s7, 0, s1
	s_add_u32 s24, s27, s0
	s_cselect_b64 s[0:1], -1, 0
	s_cmp_lg_u64 s[0:1], 0
	v_add_co_u32_e32 v0, vcc, v4, v6
	s_addc_u32 s7, s25, s7
	v_xor_b32_e32 v7, v0, v6
	v_mad_u64_u32 v[0:1], s[0:1], v7, s7, 0
	v_mul_hi_u32 v3, v7, s24
	v_addc_co_u32_e32 v2, vcc, v5, v6, vcc
	v_xor_b32_e32 v8, v2, v6
	v_add_co_u32_e32 v9, vcc, v3, v0
	v_addc_co_u32_e32 v10, vcc, 0, v1, vcc
	v_mad_u64_u32 v[0:1], s[0:1], v8, s24, 0
	v_mad_u64_u32 v[2:3], s[0:1], v8, s7, 0
	v_add_co_u32_e32 v0, vcc, v9, v0
	v_addc_co_u32_e32 v0, vcc, v10, v1, vcc
	v_addc_co_u32_e32 v1, vcc, 0, v3, vcc
	v_add_co_u32_e32 v2, vcc, v0, v2
	v_addc_co_u32_e32 v3, vcc, 0, v1, vcc
	v_mul_lo_u32 v9, s11, v2
	v_mul_lo_u32 v10, s10, v3
	v_mad_u64_u32 v[0:1], s[0:1], s10, v2, 0
	v_add3_u32 v1, v1, v10, v9
	v_sub_u32_e32 v9, v8, v1
	v_mov_b32_e32 v10, s11
	v_sub_co_u32_e32 v0, vcc, v7, v0
	v_subb_co_u32_e64 v7, s[0:1], v9, v10, vcc
	v_subrev_co_u32_e64 v9, s[0:1], s10, v0
	v_subbrev_co_u32_e64 v7, s[0:1], 0, v7, s[0:1]
	v_cmp_le_u32_e64 s[0:1], s11, v7
	v_cndmask_b32_e64 v10, 0, -1, s[0:1]
	v_cmp_le_u32_e64 s[0:1], s10, v9
	v_cndmask_b32_e64 v9, 0, -1, s[0:1]
	v_cmp_eq_u32_e64 s[0:1], s11, v7
	v_cndmask_b32_e64 v7, v10, v9, s[0:1]
	v_add_co_u32_e64 v9, s[0:1], 2, v2
	v_subb_co_u32_e32 v1, vcc, v8, v1, vcc
	v_addc_co_u32_e64 v10, s[0:1], 0, v3, s[0:1]
	v_cmp_le_u32_e32 vcc, s11, v1
	v_add_co_u32_e64 v11, s[0:1], 1, v2
	v_cndmask_b32_e64 v8, 0, -1, vcc
	v_cmp_le_u32_e32 vcc, s10, v0
	v_addc_co_u32_e64 v12, s[0:1], 0, v3, s[0:1]
	v_cndmask_b32_e64 v0, 0, -1, vcc
	v_cmp_eq_u32_e32 vcc, s11, v1
	v_cmp_ne_u32_e64 s[0:1], 0, v7
	v_cndmask_b32_e32 v0, v8, v0, vcc
	v_cmp_ne_u32_e32 vcc, 0, v0
	v_cndmask_b32_e64 v1, v11, v9, s[0:1]
	v_cndmask_b32_e64 v7, v12, v10, s[0:1]
	v_cndmask_b32_e32 v1, v2, v1, vcc
	v_xor_b32_e32 v2, s6, v6
	v_cndmask_b32_e32 v0, v3, v7, vcc
	v_xor_b32_e32 v1, v1, v2
	v_xor_b32_e32 v0, v0, v2
	v_sub_co_u32_e32 v10, vcc, v1, v2
	v_subb_co_u32_e32 v11, vcc, v0, v2, vcc
.LBB144_3:
	s_or_saveexec_b64 s[0:1], s[2:3]
	s_load_dwordx8 s[24:31], s[4:5], 0x8
	s_xor_b64 exec, exec, s[0:1]
	s_cbranch_execz .LBB144_5
; %bb.4:
	v_cvt_f32_u32_e32 v0, s12
	s_sub_i32 s2, 0, s12
	v_mov_b32_e32 v11, 0
	v_rcp_iflag_f32_e32 v0, v0
	v_mul_f32_e32 v0, 0x4f7ffffe, v0
	v_cvt_u32_f32_e32 v0, v0
	v_mul_lo_u32 v1, s2, v0
	v_mul_hi_u32 v1, v0, v1
	v_add_u32_e32 v0, v0, v1
	v_mul_hi_u32 v0, v4, v0
	v_mul_lo_u32 v1, v0, s12
	v_add_u32_e32 v2, 1, v0
	v_sub_u32_e32 v1, v4, v1
	v_subrev_u32_e32 v3, s12, v1
	v_cmp_le_u32_e32 vcc, s12, v1
	v_cndmask_b32_e32 v1, v1, v3, vcc
	v_cndmask_b32_e32 v0, v0, v2, vcc
	v_add_u32_e32 v2, 1, v0
	v_cmp_le_u32_e32 vcc, s12, v1
	v_cndmask_b32_e32 v10, v0, v2, vcc
.LBB144_5:
	s_or_b64 exec, exec, s[0:1]
	v_or_b32_e32 v1, s37, v11
	v_mov_b32_e32 v0, 0
	v_cmp_ne_u64_e32 vcc, 0, v[0:1]
                                        ; implicit-def: $vgpr6_vgpr7
	s_and_saveexec_b64 s[0:1], vcc
	s_xor_b64 s[2:3], exec, s[0:1]
	s_cbranch_execz .LBB144_7
; %bb.6:
	s_ashr_i32 s6, s37, 31
	s_add_u32 s0, s36, s6
	s_mov_b32 s7, s6
	s_addc_u32 s1, s37, s6
	s_xor_b64 s[10:11], s[0:1], s[6:7]
	v_cvt_f32_u32_e32 v0, s10
	v_cvt_f32_u32_e32 v1, s11
	s_sub_u32 s7, 0, s10
	s_subb_u32 s33, 0, s11
	v_ashrrev_i32_e32 v6, 31, v11
	v_madmk_f32 v0, v1, 0x4f800000, v0
	v_rcp_f32_e32 v0, v0
	v_mul_f32_e32 v0, 0x5f7ffffc, v0
	v_mul_f32_e32 v1, 0x2f800000, v0
	v_trunc_f32_e32 v1, v1
	v_madmk_f32 v0, v1, 0xcf800000, v0
	v_cvt_u32_f32_e32 v1, v1
	v_cvt_u32_f32_e32 v0, v0
	v_readfirstlane_b32 s34, v1
	v_readfirstlane_b32 s0, v0
	s_mul_i32 s1, s7, s34
	s_mul_hi_u32 s40, s7, s0
	s_mul_i32 s35, s33, s0
	s_add_i32 s1, s40, s1
	s_add_i32 s1, s1, s35
	s_mul_i32 s41, s7, s0
	s_mul_i32 s40, s0, s1
	s_mul_hi_u32 s42, s0, s41
	s_mul_hi_u32 s35, s0, s1
	s_add_u32 s40, s42, s40
	s_addc_u32 s35, 0, s35
	s_mul_hi_u32 s43, s34, s41
	s_mul_i32 s41, s34, s41
	s_add_u32 s40, s40, s41
	s_mul_hi_u32 s42, s34, s1
	s_addc_u32 s35, s35, s43
	s_addc_u32 s40, s42, 0
	s_mul_i32 s1, s34, s1
	s_add_u32 s1, s35, s1
	s_addc_u32 s35, 0, s40
	s_add_u32 s40, s0, s1
	s_cselect_b64 s[0:1], -1, 0
	s_cmp_lg_u64 s[0:1], 0
	s_addc_u32 s34, s34, s35
	s_mul_i32 s0, s7, s34
	s_mul_hi_u32 s1, s7, s40
	s_add_i32 s0, s1, s0
	s_mul_i32 s33, s33, s40
	s_add_i32 s0, s0, s33
	s_mul_i32 s7, s7, s40
	s_mul_hi_u32 s33, s34, s7
	s_mul_i32 s35, s34, s7
	s_mul_i32 s42, s40, s0
	s_mul_hi_u32 s7, s40, s7
	s_mul_hi_u32 s41, s40, s0
	s_add_u32 s7, s7, s42
	s_addc_u32 s41, 0, s41
	s_add_u32 s7, s7, s35
	s_mul_hi_u32 s1, s34, s0
	s_addc_u32 s7, s41, s33
	s_addc_u32 s1, s1, 0
	s_mul_i32 s0, s34, s0
	s_add_u32 s0, s7, s0
	s_addc_u32 s7, 0, s1
	s_add_u32 s33, s40, s0
	s_cselect_b64 s[0:1], -1, 0
	s_cmp_lg_u64 s[0:1], 0
	v_add_co_u32_e32 v0, vcc, v10, v6
	s_addc_u32 s7, s34, s7
	v_xor_b32_e32 v7, v0, v6
	v_mad_u64_u32 v[0:1], s[0:1], v7, s7, 0
	v_mul_hi_u32 v3, v7, s33
	v_addc_co_u32_e32 v2, vcc, v11, v6, vcc
	v_xor_b32_e32 v8, v2, v6
	v_add_co_u32_e32 v9, vcc, v3, v0
	v_addc_co_u32_e32 v12, vcc, 0, v1, vcc
	v_mad_u64_u32 v[0:1], s[0:1], v8, s33, 0
	v_mad_u64_u32 v[2:3], s[0:1], v8, s7, 0
	v_add_co_u32_e32 v0, vcc, v9, v0
	v_addc_co_u32_e32 v0, vcc, v12, v1, vcc
	v_addc_co_u32_e32 v1, vcc, 0, v3, vcc
	v_add_co_u32_e32 v2, vcc, v0, v2
	v_addc_co_u32_e32 v3, vcc, 0, v1, vcc
	v_mul_lo_u32 v9, s11, v2
	v_mul_lo_u32 v12, s10, v3
	v_mad_u64_u32 v[0:1], s[0:1], s10, v2, 0
	v_add3_u32 v1, v1, v12, v9
	v_sub_u32_e32 v9, v8, v1
	v_mov_b32_e32 v12, s11
	v_sub_co_u32_e32 v0, vcc, v7, v0
	v_subb_co_u32_e64 v7, s[0:1], v9, v12, vcc
	v_subrev_co_u32_e64 v9, s[0:1], s10, v0
	v_subbrev_co_u32_e64 v7, s[0:1], 0, v7, s[0:1]
	v_cmp_le_u32_e64 s[0:1], s11, v7
	v_cndmask_b32_e64 v12, 0, -1, s[0:1]
	v_cmp_le_u32_e64 s[0:1], s10, v9
	v_cndmask_b32_e64 v9, 0, -1, s[0:1]
	v_cmp_eq_u32_e64 s[0:1], s11, v7
	v_cndmask_b32_e64 v7, v12, v9, s[0:1]
	v_add_co_u32_e64 v9, s[0:1], 2, v2
	v_subb_co_u32_e32 v1, vcc, v8, v1, vcc
	v_addc_co_u32_e64 v12, s[0:1], 0, v3, s[0:1]
	v_cmp_le_u32_e32 vcc, s11, v1
	v_add_co_u32_e64 v13, s[0:1], 1, v2
	v_cndmask_b32_e64 v8, 0, -1, vcc
	v_cmp_le_u32_e32 vcc, s10, v0
	v_addc_co_u32_e64 v14, s[0:1], 0, v3, s[0:1]
	v_cndmask_b32_e64 v0, 0, -1, vcc
	v_cmp_eq_u32_e32 vcc, s11, v1
	v_cmp_ne_u32_e64 s[0:1], 0, v7
	v_cndmask_b32_e32 v0, v8, v0, vcc
	v_cmp_ne_u32_e32 vcc, 0, v0
	v_cndmask_b32_e64 v1, v13, v9, s[0:1]
	v_cndmask_b32_e64 v7, v14, v12, s[0:1]
	v_cndmask_b32_e32 v1, v2, v1, vcc
	v_xor_b32_e32 v2, s6, v6
	v_cndmask_b32_e32 v0, v3, v7, vcc
	v_xor_b32_e32 v1, v1, v2
	v_xor_b32_e32 v0, v0, v2
	v_sub_co_u32_e32 v6, vcc, v1, v2
	v_subb_co_u32_e32 v7, vcc, v0, v2, vcc
.LBB144_7:
	s_andn2_saveexec_b64 s[0:1], s[2:3]
	s_cbranch_execz .LBB144_9
; %bb.8:
	v_cvt_f32_u32_e32 v0, s36
	s_sub_i32 s2, 0, s36
	v_mov_b32_e32 v7, 0
	v_rcp_iflag_f32_e32 v0, v0
	v_mul_f32_e32 v0, 0x4f7ffffe, v0
	v_cvt_u32_f32_e32 v0, v0
	v_mul_lo_u32 v1, s2, v0
	v_mul_hi_u32 v1, v0, v1
	v_add_u32_e32 v0, v0, v1
	v_mul_hi_u32 v0, v10, v0
	v_mul_lo_u32 v1, v0, s36
	v_add_u32_e32 v2, 1, v0
	v_sub_u32_e32 v1, v10, v1
	v_subrev_u32_e32 v3, s36, v1
	v_cmp_le_u32_e32 vcc, s36, v1
	v_cndmask_b32_e32 v1, v1, v3, vcc
	v_cndmask_b32_e32 v0, v0, v2, vcc
	v_add_u32_e32 v2, 1, v0
	v_cmp_le_u32_e32 vcc, s36, v1
	v_cndmask_b32_e32 v6, v0, v2, vcc
.LBB144_9:
	s_or_b64 exec, exec, s[0:1]
	v_mad_u64_u32 v[12:13], s[0:1], v6, s36, 0
	s_add_u32 s0, s36, 1
	v_mul_lo_u32 v0, v7, s36
	v_mul_lo_u32 v1, v6, s37
	s_addc_u32 s1, s37, 0
	s_mul_i32 s1, s22, s1
	s_mul_hi_u32 s2, s22, s0
	s_add_i32 s1, s2, s1
	s_mul_i32 s2, s23, s0
	s_add_i32 s1, s1, s2
	s_mul_i32 s0, s22, s0
	v_add3_u32 v13, v13, v1, v0
	v_mul_lo_u32 v2, s1, v6
	v_mul_lo_u32 v3, s0, v7
	v_mad_u64_u32 v[0:1], s[0:1], s0, v6, 0
	v_sub_co_u32_e32 v8, vcc, v10, v12
	v_add3_u32 v1, v1, v3, v2
	v_lshlrev_b64 v[0:1], 3, v[0:1]
	v_subb_co_u32_e32 v9, vcc, v11, v13, vcc
	s_waitcnt lgkmcnt(0)
	v_mov_b32_e32 v2, s31
	v_add_co_u32_e32 v0, vcc, s30, v0
	v_lshlrev_b64 v[14:15], 3, v[8:9]
	v_addc_co_u32_e32 v1, vcc, v2, v1, vcc
	v_add_co_u32_e32 v0, vcc, v0, v14
	v_addc_co_u32_e32 v1, vcc, v1, v15, vcc
	global_load_dwordx4 v[0:3], v[0:1], off
	v_mul_lo_u32 v16, v11, s12
	v_mul_lo_u32 v17, v10, s13
	v_mad_u64_u32 v[10:11], s[0:1], v10, s12, 0
	s_load_dword s22, s[4:5], 0x0
	v_add3_u32 v11, v11, v17, v16
	v_mov_b32_e32 v17, s9
	v_mov_b32_e32 v16, s8
	s_waitcnt vmcnt(0)
	v_cmp_lt_i64_e32 vcc, v[0:1], v[2:3]
	s_and_saveexec_b64 s[2:3], vcc
	s_cbranch_execz .LBB144_28
; %bb.10:
	v_mul_lo_u32 v18, v7, s16
	v_mul_lo_u32 v19, v6, s17
	v_mad_u64_u32 v[16:17], s[0:1], v6, s16, 0
	s_waitcnt lgkmcnt(0)
	s_cmp_lg_u32 s22, 0
	s_cselect_b64 s[6:7], -1, 0
	v_add3_u32 v17, v17, v19, v18
	v_lshlrev_b64 v[16:17], 3, v[16:17]
	v_lshlrev_b64 v[18:19], 3, v[0:1]
	s_mov_b64 s[12:13], 0
	v_add_co_u32_e32 v18, vcc, v16, v18
	v_addc_co_u32_e32 v19, vcc, v17, v19, vcc
	v_lshlrev_b64 v[16:17], 3, v[4:5]
	v_mul_lo_u32 v19, s14, v19
	v_mul_lo_u32 v20, s15, v18
	v_mad_u64_u32 v[16:17], s[0:1], s14, v18, v[16:17]
	s_and_b32 s0, s22, -3
	s_cmp_lg_u32 s0, 1
	v_add3_u32 v19, v20, v17, v19
	v_lshlrev_b64 v[17:18], 3, v[10:11]
	v_mov_b32_e32 v21, s9
	v_sub_co_u32_e32 v16, vcc, v16, v17
	v_subb_co_u32_e32 v17, vcc, v19, v18, vcc
	v_mov_b32_e32 v19, s27
	v_add_co_u32_e32 v18, vcc, s26, v16
	s_cselect_b64 s[10:11], -1, 0
	v_addc_co_u32_e32 v19, vcc, v19, v17, vcc
	s_lshl_b64 s[14:15], s[14:15], 3
	v_mov_b32_e32 v20, s8
	s_branch .LBB144_12
.LBB144_11:                             ;   in Loop: Header=BB144_12 Depth=1
	v_add_co_u32_e32 v0, vcc, 1, v0
	v_addc_co_u32_e32 v1, vcc, 0, v1, vcc
	v_mov_b32_e32 v20, s15
	v_cmp_ge_i64_e32 vcc, v[0:1], v[2:3]
	v_add_co_u32_e64 v18, s[0:1], s14, v18
	v_addc_co_u32_e64 v19, s[0:1], v19, v20, s[0:1]
	v_mov_b32_e32 v21, v17
	s_or_b64 s[12:13], vcc, s[12:13]
	v_mov_b32_e32 v20, v16
	s_andn2_b64 exec, exec, s[12:13]
	s_cbranch_execz .LBB144_27
.LBB144_12:                             ; =>This Inner Loop Header: Depth=1
	global_load_dwordx2 v[22:23], v[18:19], off
	s_mov_b64 s[0:1], -1
	s_and_b64 vcc, exec, s[6:7]
	s_cbranch_vccz .LBB144_25
; %bb.13:                               ;   in Loop: Header=BB144_12 Depth=1
	s_and_b64 vcc, exec, s[10:11]
                                        ; implicit-def: $vgpr16_vgpr17
	s_cbranch_vccz .LBB144_22
; %bb.14:                               ;   in Loop: Header=BB144_12 Depth=1
	s_cmp_lt_i32 s22, 4
                                        ; implicit-def: $vgpr16_vgpr17
	s_cbranch_scc1 .LBB144_18
; %bb.15:                               ;   in Loop: Header=BB144_12 Depth=1
	v_mov_b32_e32 v16, v20
	s_cmp_eq_u32 s22, 4
	v_mov_b32_e32 v17, v21
	s_cbranch_scc0 .LBB144_17
; %bb.16:                               ;   in Loop: Header=BB144_12 Depth=1
	s_waitcnt vmcnt(0)
	v_mul_f64 v[16:17], v[22:23], v[20:21]
.LBB144_17:                             ;   in Loop: Header=BB144_12 Depth=1
	s_mov_b64 s[0:1], 0
.LBB144_18:                             ;   in Loop: Header=BB144_12 Depth=1
	s_andn2_b64 vcc, exec, s[0:1]
	s_cbranch_vccnz .LBB144_21
; %bb.19:                               ;   in Loop: Header=BB144_12 Depth=1
	v_mov_b32_e32 v16, v20
	s_cmp_lg_u32 s22, 2
	v_mov_b32_e32 v17, v21
	s_cbranch_scc1 .LBB144_21
; %bb.20:                               ;   in Loop: Header=BB144_12 Depth=1
	s_waitcnt vmcnt(0)
	v_cmp_u_f64_e32 vcc, v[22:23], v[22:23]
	v_cmp_lt_f64_e64 s[0:1], v[22:23], v[20:21]
	s_or_b64 vcc, vcc, s[0:1]
	v_cndmask_b32_e32 v17, v21, v23, vcc
	v_cndmask_b32_e32 v16, v20, v22, vcc
.LBB144_21:                             ;   in Loop: Header=BB144_12 Depth=1
	s_mov_b64 s[0:1], 0
.LBB144_22:                             ;   in Loop: Header=BB144_12 Depth=1
	s_and_b64 vcc, exec, s[0:1]
	s_cbranch_vccz .LBB144_24
; %bb.23:                               ;   in Loop: Header=BB144_12 Depth=1
	s_waitcnt vmcnt(0)
	v_add_f64 v[16:17], v[22:23], v[20:21]
.LBB144_24:                             ;   in Loop: Header=BB144_12 Depth=1
	s_cbranch_execnz .LBB144_11
	s_branch .LBB144_26
.LBB144_25:                             ;   in Loop: Header=BB144_12 Depth=1
                                        ; implicit-def: $vgpr16_vgpr17
	s_andn2_b64 vcc, exec, s[0:1]
	s_cbranch_vccnz .LBB144_11
.LBB144_26:                             ;   in Loop: Header=BB144_12 Depth=1
	s_waitcnt vmcnt(0)
	v_cmp_u_f64_e32 vcc, v[22:23], v[22:23]
	v_cmp_lt_f64_e64 s[0:1], v[20:21], v[22:23]
	s_or_b64 vcc, vcc, s[0:1]
	v_cndmask_b32_e32 v17, v21, v23, vcc
	v_cndmask_b32_e32 v16, v20, v22, vcc
	s_branch .LBB144_11
.LBB144_27:
	s_or_b64 exec, exec, s[12:13]
.LBB144_28:
	s_or_b64 exec, exec, s[2:3]
	v_mul_lo_u32 v2, v13, s38
	v_mul_lo_u32 v3, v12, s39
	v_mad_u64_u32 v[0:1], s[0:1], v12, s38, 0
	v_add3_u32 v1, v1, v3, v2
	v_lshlrev_b64 v[0:1], 3, v[0:1]
	v_mov_b32_e32 v2, s29
	v_add_co_u32_e32 v0, vcc, s28, v0
	v_addc_co_u32_e32 v1, vcc, v2, v1, vcc
	v_add_co_u32_e32 v0, vcc, v0, v14
	v_addc_co_u32_e32 v1, vcc, v1, v15, vcc
	global_load_dwordx2 v[2:3], v[0:1], off
	s_waitcnt vmcnt(0)
	v_cmp_lt_i64_e32 vcc, -1, v[2:3]
	s_and_saveexec_b64 s[0:1], vcc
	s_xor_b64 s[2:3], exec, s[0:1]
	s_cbranch_execz .LBB144_34
; %bb.29:
	s_load_dword s0, s[4:5], 0x38
	v_cmp_ne_u64_e32 vcc, 0, v[2:3]
	v_mov_b32_e32 v0, 0
	v_mov_b32_e32 v1, 0x7ff80000
	s_waitcnt lgkmcnt(0)
	s_bitcmp1_b32 s0, 0
	s_cselect_b64 s[0:1], -1, 0
	s_or_b64 s[0:1], s[0:1], vcc
	s_cmp_lg_u32 s22, 1
	s_cselect_b64 s[6:7], -1, 0
	s_or_b64 s[0:1], s[6:7], s[0:1]
	s_and_saveexec_b64 s[4:5], s[0:1]
	s_cbranch_execz .LBB144_33
; %bb.30:
	v_cmp_o_f64_e32 vcc, v[16:17], v[16:17]
	v_cmp_ne_u64_e64 s[0:1], 0, v[2:3]
	s_xor_b64 s[6:7], s[6:7], -1
	s_and_b64 s[0:1], s[6:7], s[0:1]
	s_and_b64 s[6:7], s[0:1], vcc
	s_and_saveexec_b64 s[0:1], s[6:7]
	s_cbranch_execz .LBB144_32
; %bb.31:
	v_cvt_f64_u32_e32 v[0:1], v3
	v_cvt_f64_u32_e32 v[2:3], v2
	v_ldexp_f64 v[0:1], v[0:1], 32
	v_add_f64 v[0:1], v[0:1], v[2:3]
	v_div_scale_f64 v[2:3], s[6:7], v[0:1], v[0:1], v[16:17]
	v_div_scale_f64 v[18:19], vcc, v[16:17], v[0:1], v[16:17]
	v_rcp_f64_e32 v[12:13], v[2:3]
	v_fma_f64 v[14:15], -v[2:3], v[12:13], 1.0
	v_fma_f64 v[12:13], v[12:13], v[14:15], v[12:13]
	v_fma_f64 v[14:15], -v[2:3], v[12:13], 1.0
	v_fma_f64 v[12:13], v[12:13], v[14:15], v[12:13]
	v_mul_f64 v[14:15], v[18:19], v[12:13]
	v_fma_f64 v[2:3], -v[2:3], v[14:15], v[18:19]
	v_div_fmas_f64 v[2:3], v[2:3], v[12:13], v[14:15]
	v_div_fixup_f64 v[16:17], v[2:3], v[0:1], v[16:17]
.LBB144_32:
	s_or_b64 exec, exec, s[0:1]
	v_mov_b32_e32 v0, v16
	v_mov_b32_e32 v1, v17
.LBB144_33:
	s_or_b64 exec, exec, s[4:5]
	s_mul_i32 s0, s20, s19
	s_mul_hi_u32 s1, s20, s18
	s_add_i32 s0, s1, s0
	s_mul_i32 s1, s21, s18
	s_add_i32 s0, s0, s1
	s_mul_i32 s1, s20, s18
	v_mul_lo_u32 v12, s0, v6
	v_mul_lo_u32 v13, s1, v7
	v_mad_u64_u32 v[2:3], s[0:1], s1, v6, 0
	v_mul_lo_u32 v9, v9, s18
	v_mul_lo_u32 v14, v8, s19
	v_mad_u64_u32 v[6:7], s[0:1], v8, s18, 0
	v_add3_u32 v3, v3, v13, v12
	v_sub_co_u32_e32 v4, vcc, v4, v10
	v_lshlrev_b64 v[2:3], 3, v[2:3]
	v_subb_co_u32_e32 v5, vcc, v5, v11, vcc
	v_add3_u32 v7, v7, v14, v9
	v_mov_b32_e32 v8, s25
	v_add_co_u32_e32 v9, vcc, s24, v2
	v_addc_co_u32_e32 v8, vcc, v8, v3, vcc
	v_lshlrev_b64 v[2:3], 3, v[6:7]
	v_add_co_u32_e32 v6, vcc, v9, v2
	v_addc_co_u32_e32 v7, vcc, v8, v3, vcc
	v_lshlrev_b64 v[2:3], 3, v[4:5]
	v_add_co_u32_e32 v2, vcc, v6, v2
	v_addc_co_u32_e32 v3, vcc, v7, v3, vcc
	global_store_dwordx2 v[2:3], v[0:1], off
.LBB144_34:
	s_andn2_saveexec_b64 s[0:1], s[2:3]
	s_cbranch_execnz .LBB144_36
.LBB144_35:
	s_endpgm
.LBB144_36:
	s_trap 2
	; divergent unreachable
	s_endpgm
	.section	.rodata,"a",@progbits
	.p2align	6, 0x0
	.amdhsa_kernel _ZN2at6native12_GLOBAL__N_129segment_reduce_forward_kernelIdlEEvNS0_13ReductionTypeEPT_PKS4_PKT0_SA_llbS4_lllllll
		.amdhsa_group_segment_fixed_size 0
		.amdhsa_private_segment_fixed_size 0
		.amdhsa_kernarg_size 384
		.amdhsa_user_sgpr_count 6
		.amdhsa_user_sgpr_private_segment_buffer 1
		.amdhsa_user_sgpr_dispatch_ptr 0
		.amdhsa_user_sgpr_queue_ptr 0
		.amdhsa_user_sgpr_kernarg_segment_ptr 1
		.amdhsa_user_sgpr_dispatch_id 0
		.amdhsa_user_sgpr_flat_scratch_init 0
		.amdhsa_user_sgpr_private_segment_size 0
		.amdhsa_uses_dynamic_stack 0
		.amdhsa_system_sgpr_private_segment_wavefront_offset 0
		.amdhsa_system_sgpr_workgroup_id_x 1
		.amdhsa_system_sgpr_workgroup_id_y 0
		.amdhsa_system_sgpr_workgroup_id_z 0
		.amdhsa_system_sgpr_workgroup_info 0
		.amdhsa_system_vgpr_workitem_id 0
		.amdhsa_next_free_vgpr 24
		.amdhsa_next_free_sgpr 44
		.amdhsa_reserve_vcc 1
		.amdhsa_reserve_flat_scratch 0
		.amdhsa_float_round_mode_32 0
		.amdhsa_float_round_mode_16_64 0
		.amdhsa_float_denorm_mode_32 3
		.amdhsa_float_denorm_mode_16_64 3
		.amdhsa_dx10_clamp 1
		.amdhsa_ieee_mode 1
		.amdhsa_fp16_overflow 0
		.amdhsa_exception_fp_ieee_invalid_op 0
		.amdhsa_exception_fp_denorm_src 0
		.amdhsa_exception_fp_ieee_div_zero 0
		.amdhsa_exception_fp_ieee_overflow 0
		.amdhsa_exception_fp_ieee_underflow 0
		.amdhsa_exception_fp_ieee_inexact 0
		.amdhsa_exception_int_div_zero 0
	.end_amdhsa_kernel
	.section	.text._ZN2at6native12_GLOBAL__N_129segment_reduce_forward_kernelIdlEEvNS0_13ReductionTypeEPT_PKS4_PKT0_SA_llbS4_lllllll,"axG",@progbits,_ZN2at6native12_GLOBAL__N_129segment_reduce_forward_kernelIdlEEvNS0_13ReductionTypeEPT_PKS4_PKT0_SA_llbS4_lllllll,comdat
.Lfunc_end144:
	.size	_ZN2at6native12_GLOBAL__N_129segment_reduce_forward_kernelIdlEEvNS0_13ReductionTypeEPT_PKS4_PKT0_SA_llbS4_lllllll, .Lfunc_end144-_ZN2at6native12_GLOBAL__N_129segment_reduce_forward_kernelIdlEEvNS0_13ReductionTypeEPT_PKS4_PKT0_SA_llbS4_lllllll
                                        ; -- End function
	.set _ZN2at6native12_GLOBAL__N_129segment_reduce_forward_kernelIdlEEvNS0_13ReductionTypeEPT_PKS4_PKT0_SA_llbS4_lllllll.num_vgpr, 24
	.set _ZN2at6native12_GLOBAL__N_129segment_reduce_forward_kernelIdlEEvNS0_13ReductionTypeEPT_PKS4_PKT0_SA_llbS4_lllllll.num_agpr, 0
	.set _ZN2at6native12_GLOBAL__N_129segment_reduce_forward_kernelIdlEEvNS0_13ReductionTypeEPT_PKS4_PKT0_SA_llbS4_lllllll.numbered_sgpr, 44
	.set _ZN2at6native12_GLOBAL__N_129segment_reduce_forward_kernelIdlEEvNS0_13ReductionTypeEPT_PKS4_PKT0_SA_llbS4_lllllll.num_named_barrier, 0
	.set _ZN2at6native12_GLOBAL__N_129segment_reduce_forward_kernelIdlEEvNS0_13ReductionTypeEPT_PKS4_PKT0_SA_llbS4_lllllll.private_seg_size, 0
	.set _ZN2at6native12_GLOBAL__N_129segment_reduce_forward_kernelIdlEEvNS0_13ReductionTypeEPT_PKS4_PKT0_SA_llbS4_lllllll.uses_vcc, 1
	.set _ZN2at6native12_GLOBAL__N_129segment_reduce_forward_kernelIdlEEvNS0_13ReductionTypeEPT_PKS4_PKT0_SA_llbS4_lllllll.uses_flat_scratch, 0
	.set _ZN2at6native12_GLOBAL__N_129segment_reduce_forward_kernelIdlEEvNS0_13ReductionTypeEPT_PKS4_PKT0_SA_llbS4_lllllll.has_dyn_sized_stack, 0
	.set _ZN2at6native12_GLOBAL__N_129segment_reduce_forward_kernelIdlEEvNS0_13ReductionTypeEPT_PKS4_PKT0_SA_llbS4_lllllll.has_recursion, 0
	.set _ZN2at6native12_GLOBAL__N_129segment_reduce_forward_kernelIdlEEvNS0_13ReductionTypeEPT_PKS4_PKT0_SA_llbS4_lllllll.has_indirect_call, 0
	.section	.AMDGPU.csdata,"",@progbits
; Kernel info:
; codeLenInByte = 2736
; TotalNumSgprs: 48
; NumVgprs: 24
; ScratchSize: 0
; MemoryBound: 0
; FloatMode: 240
; IeeeMode: 1
; LDSByteSize: 0 bytes/workgroup (compile time only)
; SGPRBlocks: 5
; VGPRBlocks: 5
; NumSGPRsForWavesPerEU: 48
; NumVGPRsForWavesPerEU: 24
; Occupancy: 10
; WaveLimiterHint : 0
; COMPUTE_PGM_RSRC2:SCRATCH_EN: 0
; COMPUTE_PGM_RSRC2:USER_SGPR: 6
; COMPUTE_PGM_RSRC2:TRAP_HANDLER: 0
; COMPUTE_PGM_RSRC2:TGID_X_EN: 1
; COMPUTE_PGM_RSRC2:TGID_Y_EN: 0
; COMPUTE_PGM_RSRC2:TGID_Z_EN: 0
; COMPUTE_PGM_RSRC2:TIDIG_COMP_CNT: 0
	.section	.text._ZN7rocprim17ROCPRIM_400000_NS6detail17trampoline_kernelINS0_14default_configENS1_32segmented_reduce_config_selectorIdEEZNS1_21segmented_reduce_implIS3_PKdPdPKldN6hipcub16HIPCUB_304000_NS6detail27convert_result_type_wrapperIS8_S9_N2at6native12_GLOBAL__N_19CustomMaxEEEEE10hipError_tPvRmT0_T1_jT2_SQ_T4_T3_P12ihipStream_tbEUlT_E_NS1_11comp_targetILNS1_3genE0ELNS1_11target_archE4294967295ELNS1_3gpuE0ELNS1_3repE0EEENS1_30default_config_static_selectorELNS0_4arch9wavefront6targetE1EEEvSP_,"axG",@progbits,_ZN7rocprim17ROCPRIM_400000_NS6detail17trampoline_kernelINS0_14default_configENS1_32segmented_reduce_config_selectorIdEEZNS1_21segmented_reduce_implIS3_PKdPdPKldN6hipcub16HIPCUB_304000_NS6detail27convert_result_type_wrapperIS8_S9_N2at6native12_GLOBAL__N_19CustomMaxEEEEE10hipError_tPvRmT0_T1_jT2_SQ_T4_T3_P12ihipStream_tbEUlT_E_NS1_11comp_targetILNS1_3genE0ELNS1_11target_archE4294967295ELNS1_3gpuE0ELNS1_3repE0EEENS1_30default_config_static_selectorELNS0_4arch9wavefront6targetE1EEEvSP_,comdat
	.globl	_ZN7rocprim17ROCPRIM_400000_NS6detail17trampoline_kernelINS0_14default_configENS1_32segmented_reduce_config_selectorIdEEZNS1_21segmented_reduce_implIS3_PKdPdPKldN6hipcub16HIPCUB_304000_NS6detail27convert_result_type_wrapperIS8_S9_N2at6native12_GLOBAL__N_19CustomMaxEEEEE10hipError_tPvRmT0_T1_jT2_SQ_T4_T3_P12ihipStream_tbEUlT_E_NS1_11comp_targetILNS1_3genE0ELNS1_11target_archE4294967295ELNS1_3gpuE0ELNS1_3repE0EEENS1_30default_config_static_selectorELNS0_4arch9wavefront6targetE1EEEvSP_ ; -- Begin function _ZN7rocprim17ROCPRIM_400000_NS6detail17trampoline_kernelINS0_14default_configENS1_32segmented_reduce_config_selectorIdEEZNS1_21segmented_reduce_implIS3_PKdPdPKldN6hipcub16HIPCUB_304000_NS6detail27convert_result_type_wrapperIS8_S9_N2at6native12_GLOBAL__N_19CustomMaxEEEEE10hipError_tPvRmT0_T1_jT2_SQ_T4_T3_P12ihipStream_tbEUlT_E_NS1_11comp_targetILNS1_3genE0ELNS1_11target_archE4294967295ELNS1_3gpuE0ELNS1_3repE0EEENS1_30default_config_static_selectorELNS0_4arch9wavefront6targetE1EEEvSP_
	.p2align	8
	.type	_ZN7rocprim17ROCPRIM_400000_NS6detail17trampoline_kernelINS0_14default_configENS1_32segmented_reduce_config_selectorIdEEZNS1_21segmented_reduce_implIS3_PKdPdPKldN6hipcub16HIPCUB_304000_NS6detail27convert_result_type_wrapperIS8_S9_N2at6native12_GLOBAL__N_19CustomMaxEEEEE10hipError_tPvRmT0_T1_jT2_SQ_T4_T3_P12ihipStream_tbEUlT_E_NS1_11comp_targetILNS1_3genE0ELNS1_11target_archE4294967295ELNS1_3gpuE0ELNS1_3repE0EEENS1_30default_config_static_selectorELNS0_4arch9wavefront6targetE1EEEvSP_,@function
_ZN7rocprim17ROCPRIM_400000_NS6detail17trampoline_kernelINS0_14default_configENS1_32segmented_reduce_config_selectorIdEEZNS1_21segmented_reduce_implIS3_PKdPdPKldN6hipcub16HIPCUB_304000_NS6detail27convert_result_type_wrapperIS8_S9_N2at6native12_GLOBAL__N_19CustomMaxEEEEE10hipError_tPvRmT0_T1_jT2_SQ_T4_T3_P12ihipStream_tbEUlT_E_NS1_11comp_targetILNS1_3genE0ELNS1_11target_archE4294967295ELNS1_3gpuE0ELNS1_3repE0EEENS1_30default_config_static_selectorELNS0_4arch9wavefront6targetE1EEEvSP_: ; @_ZN7rocprim17ROCPRIM_400000_NS6detail17trampoline_kernelINS0_14default_configENS1_32segmented_reduce_config_selectorIdEEZNS1_21segmented_reduce_implIS3_PKdPdPKldN6hipcub16HIPCUB_304000_NS6detail27convert_result_type_wrapperIS8_S9_N2at6native12_GLOBAL__N_19CustomMaxEEEEE10hipError_tPvRmT0_T1_jT2_SQ_T4_T3_P12ihipStream_tbEUlT_E_NS1_11comp_targetILNS1_3genE0ELNS1_11target_archE4294967295ELNS1_3gpuE0ELNS1_3repE0EEENS1_30default_config_static_selectorELNS0_4arch9wavefront6targetE1EEEvSP_
; %bb.0:
	.section	.rodata,"a",@progbits
	.p2align	6, 0x0
	.amdhsa_kernel _ZN7rocprim17ROCPRIM_400000_NS6detail17trampoline_kernelINS0_14default_configENS1_32segmented_reduce_config_selectorIdEEZNS1_21segmented_reduce_implIS3_PKdPdPKldN6hipcub16HIPCUB_304000_NS6detail27convert_result_type_wrapperIS8_S9_N2at6native12_GLOBAL__N_19CustomMaxEEEEE10hipError_tPvRmT0_T1_jT2_SQ_T4_T3_P12ihipStream_tbEUlT_E_NS1_11comp_targetILNS1_3genE0ELNS1_11target_archE4294967295ELNS1_3gpuE0ELNS1_3repE0EEENS1_30default_config_static_selectorELNS0_4arch9wavefront6targetE1EEEvSP_
		.amdhsa_group_segment_fixed_size 0
		.amdhsa_private_segment_fixed_size 0
		.amdhsa_kernarg_size 56
		.amdhsa_user_sgpr_count 6
		.amdhsa_user_sgpr_private_segment_buffer 1
		.amdhsa_user_sgpr_dispatch_ptr 0
		.amdhsa_user_sgpr_queue_ptr 0
		.amdhsa_user_sgpr_kernarg_segment_ptr 1
		.amdhsa_user_sgpr_dispatch_id 0
		.amdhsa_user_sgpr_flat_scratch_init 0
		.amdhsa_user_sgpr_private_segment_size 0
		.amdhsa_uses_dynamic_stack 0
		.amdhsa_system_sgpr_private_segment_wavefront_offset 0
		.amdhsa_system_sgpr_workgroup_id_x 1
		.amdhsa_system_sgpr_workgroup_id_y 0
		.amdhsa_system_sgpr_workgroup_id_z 0
		.amdhsa_system_sgpr_workgroup_info 0
		.amdhsa_system_vgpr_workitem_id 0
		.amdhsa_next_free_vgpr 1
		.amdhsa_next_free_sgpr 0
		.amdhsa_reserve_vcc 0
		.amdhsa_reserve_flat_scratch 0
		.amdhsa_float_round_mode_32 0
		.amdhsa_float_round_mode_16_64 0
		.amdhsa_float_denorm_mode_32 3
		.amdhsa_float_denorm_mode_16_64 3
		.amdhsa_dx10_clamp 1
		.amdhsa_ieee_mode 1
		.amdhsa_fp16_overflow 0
		.amdhsa_exception_fp_ieee_invalid_op 0
		.amdhsa_exception_fp_denorm_src 0
		.amdhsa_exception_fp_ieee_div_zero 0
		.amdhsa_exception_fp_ieee_overflow 0
		.amdhsa_exception_fp_ieee_underflow 0
		.amdhsa_exception_fp_ieee_inexact 0
		.amdhsa_exception_int_div_zero 0
	.end_amdhsa_kernel
	.section	.text._ZN7rocprim17ROCPRIM_400000_NS6detail17trampoline_kernelINS0_14default_configENS1_32segmented_reduce_config_selectorIdEEZNS1_21segmented_reduce_implIS3_PKdPdPKldN6hipcub16HIPCUB_304000_NS6detail27convert_result_type_wrapperIS8_S9_N2at6native12_GLOBAL__N_19CustomMaxEEEEE10hipError_tPvRmT0_T1_jT2_SQ_T4_T3_P12ihipStream_tbEUlT_E_NS1_11comp_targetILNS1_3genE0ELNS1_11target_archE4294967295ELNS1_3gpuE0ELNS1_3repE0EEENS1_30default_config_static_selectorELNS0_4arch9wavefront6targetE1EEEvSP_,"axG",@progbits,_ZN7rocprim17ROCPRIM_400000_NS6detail17trampoline_kernelINS0_14default_configENS1_32segmented_reduce_config_selectorIdEEZNS1_21segmented_reduce_implIS3_PKdPdPKldN6hipcub16HIPCUB_304000_NS6detail27convert_result_type_wrapperIS8_S9_N2at6native12_GLOBAL__N_19CustomMaxEEEEE10hipError_tPvRmT0_T1_jT2_SQ_T4_T3_P12ihipStream_tbEUlT_E_NS1_11comp_targetILNS1_3genE0ELNS1_11target_archE4294967295ELNS1_3gpuE0ELNS1_3repE0EEENS1_30default_config_static_selectorELNS0_4arch9wavefront6targetE1EEEvSP_,comdat
.Lfunc_end145:
	.size	_ZN7rocprim17ROCPRIM_400000_NS6detail17trampoline_kernelINS0_14default_configENS1_32segmented_reduce_config_selectorIdEEZNS1_21segmented_reduce_implIS3_PKdPdPKldN6hipcub16HIPCUB_304000_NS6detail27convert_result_type_wrapperIS8_S9_N2at6native12_GLOBAL__N_19CustomMaxEEEEE10hipError_tPvRmT0_T1_jT2_SQ_T4_T3_P12ihipStream_tbEUlT_E_NS1_11comp_targetILNS1_3genE0ELNS1_11target_archE4294967295ELNS1_3gpuE0ELNS1_3repE0EEENS1_30default_config_static_selectorELNS0_4arch9wavefront6targetE1EEEvSP_, .Lfunc_end145-_ZN7rocprim17ROCPRIM_400000_NS6detail17trampoline_kernelINS0_14default_configENS1_32segmented_reduce_config_selectorIdEEZNS1_21segmented_reduce_implIS3_PKdPdPKldN6hipcub16HIPCUB_304000_NS6detail27convert_result_type_wrapperIS8_S9_N2at6native12_GLOBAL__N_19CustomMaxEEEEE10hipError_tPvRmT0_T1_jT2_SQ_T4_T3_P12ihipStream_tbEUlT_E_NS1_11comp_targetILNS1_3genE0ELNS1_11target_archE4294967295ELNS1_3gpuE0ELNS1_3repE0EEENS1_30default_config_static_selectorELNS0_4arch9wavefront6targetE1EEEvSP_
                                        ; -- End function
	.set _ZN7rocprim17ROCPRIM_400000_NS6detail17trampoline_kernelINS0_14default_configENS1_32segmented_reduce_config_selectorIdEEZNS1_21segmented_reduce_implIS3_PKdPdPKldN6hipcub16HIPCUB_304000_NS6detail27convert_result_type_wrapperIS8_S9_N2at6native12_GLOBAL__N_19CustomMaxEEEEE10hipError_tPvRmT0_T1_jT2_SQ_T4_T3_P12ihipStream_tbEUlT_E_NS1_11comp_targetILNS1_3genE0ELNS1_11target_archE4294967295ELNS1_3gpuE0ELNS1_3repE0EEENS1_30default_config_static_selectorELNS0_4arch9wavefront6targetE1EEEvSP_.num_vgpr, 0
	.set _ZN7rocprim17ROCPRIM_400000_NS6detail17trampoline_kernelINS0_14default_configENS1_32segmented_reduce_config_selectorIdEEZNS1_21segmented_reduce_implIS3_PKdPdPKldN6hipcub16HIPCUB_304000_NS6detail27convert_result_type_wrapperIS8_S9_N2at6native12_GLOBAL__N_19CustomMaxEEEEE10hipError_tPvRmT0_T1_jT2_SQ_T4_T3_P12ihipStream_tbEUlT_E_NS1_11comp_targetILNS1_3genE0ELNS1_11target_archE4294967295ELNS1_3gpuE0ELNS1_3repE0EEENS1_30default_config_static_selectorELNS0_4arch9wavefront6targetE1EEEvSP_.num_agpr, 0
	.set _ZN7rocprim17ROCPRIM_400000_NS6detail17trampoline_kernelINS0_14default_configENS1_32segmented_reduce_config_selectorIdEEZNS1_21segmented_reduce_implIS3_PKdPdPKldN6hipcub16HIPCUB_304000_NS6detail27convert_result_type_wrapperIS8_S9_N2at6native12_GLOBAL__N_19CustomMaxEEEEE10hipError_tPvRmT0_T1_jT2_SQ_T4_T3_P12ihipStream_tbEUlT_E_NS1_11comp_targetILNS1_3genE0ELNS1_11target_archE4294967295ELNS1_3gpuE0ELNS1_3repE0EEENS1_30default_config_static_selectorELNS0_4arch9wavefront6targetE1EEEvSP_.numbered_sgpr, 0
	.set _ZN7rocprim17ROCPRIM_400000_NS6detail17trampoline_kernelINS0_14default_configENS1_32segmented_reduce_config_selectorIdEEZNS1_21segmented_reduce_implIS3_PKdPdPKldN6hipcub16HIPCUB_304000_NS6detail27convert_result_type_wrapperIS8_S9_N2at6native12_GLOBAL__N_19CustomMaxEEEEE10hipError_tPvRmT0_T1_jT2_SQ_T4_T3_P12ihipStream_tbEUlT_E_NS1_11comp_targetILNS1_3genE0ELNS1_11target_archE4294967295ELNS1_3gpuE0ELNS1_3repE0EEENS1_30default_config_static_selectorELNS0_4arch9wavefront6targetE1EEEvSP_.num_named_barrier, 0
	.set _ZN7rocprim17ROCPRIM_400000_NS6detail17trampoline_kernelINS0_14default_configENS1_32segmented_reduce_config_selectorIdEEZNS1_21segmented_reduce_implIS3_PKdPdPKldN6hipcub16HIPCUB_304000_NS6detail27convert_result_type_wrapperIS8_S9_N2at6native12_GLOBAL__N_19CustomMaxEEEEE10hipError_tPvRmT0_T1_jT2_SQ_T4_T3_P12ihipStream_tbEUlT_E_NS1_11comp_targetILNS1_3genE0ELNS1_11target_archE4294967295ELNS1_3gpuE0ELNS1_3repE0EEENS1_30default_config_static_selectorELNS0_4arch9wavefront6targetE1EEEvSP_.private_seg_size, 0
	.set _ZN7rocprim17ROCPRIM_400000_NS6detail17trampoline_kernelINS0_14default_configENS1_32segmented_reduce_config_selectorIdEEZNS1_21segmented_reduce_implIS3_PKdPdPKldN6hipcub16HIPCUB_304000_NS6detail27convert_result_type_wrapperIS8_S9_N2at6native12_GLOBAL__N_19CustomMaxEEEEE10hipError_tPvRmT0_T1_jT2_SQ_T4_T3_P12ihipStream_tbEUlT_E_NS1_11comp_targetILNS1_3genE0ELNS1_11target_archE4294967295ELNS1_3gpuE0ELNS1_3repE0EEENS1_30default_config_static_selectorELNS0_4arch9wavefront6targetE1EEEvSP_.uses_vcc, 0
	.set _ZN7rocprim17ROCPRIM_400000_NS6detail17trampoline_kernelINS0_14default_configENS1_32segmented_reduce_config_selectorIdEEZNS1_21segmented_reduce_implIS3_PKdPdPKldN6hipcub16HIPCUB_304000_NS6detail27convert_result_type_wrapperIS8_S9_N2at6native12_GLOBAL__N_19CustomMaxEEEEE10hipError_tPvRmT0_T1_jT2_SQ_T4_T3_P12ihipStream_tbEUlT_E_NS1_11comp_targetILNS1_3genE0ELNS1_11target_archE4294967295ELNS1_3gpuE0ELNS1_3repE0EEENS1_30default_config_static_selectorELNS0_4arch9wavefront6targetE1EEEvSP_.uses_flat_scratch, 0
	.set _ZN7rocprim17ROCPRIM_400000_NS6detail17trampoline_kernelINS0_14default_configENS1_32segmented_reduce_config_selectorIdEEZNS1_21segmented_reduce_implIS3_PKdPdPKldN6hipcub16HIPCUB_304000_NS6detail27convert_result_type_wrapperIS8_S9_N2at6native12_GLOBAL__N_19CustomMaxEEEEE10hipError_tPvRmT0_T1_jT2_SQ_T4_T3_P12ihipStream_tbEUlT_E_NS1_11comp_targetILNS1_3genE0ELNS1_11target_archE4294967295ELNS1_3gpuE0ELNS1_3repE0EEENS1_30default_config_static_selectorELNS0_4arch9wavefront6targetE1EEEvSP_.has_dyn_sized_stack, 0
	.set _ZN7rocprim17ROCPRIM_400000_NS6detail17trampoline_kernelINS0_14default_configENS1_32segmented_reduce_config_selectorIdEEZNS1_21segmented_reduce_implIS3_PKdPdPKldN6hipcub16HIPCUB_304000_NS6detail27convert_result_type_wrapperIS8_S9_N2at6native12_GLOBAL__N_19CustomMaxEEEEE10hipError_tPvRmT0_T1_jT2_SQ_T4_T3_P12ihipStream_tbEUlT_E_NS1_11comp_targetILNS1_3genE0ELNS1_11target_archE4294967295ELNS1_3gpuE0ELNS1_3repE0EEENS1_30default_config_static_selectorELNS0_4arch9wavefront6targetE1EEEvSP_.has_recursion, 0
	.set _ZN7rocprim17ROCPRIM_400000_NS6detail17trampoline_kernelINS0_14default_configENS1_32segmented_reduce_config_selectorIdEEZNS1_21segmented_reduce_implIS3_PKdPdPKldN6hipcub16HIPCUB_304000_NS6detail27convert_result_type_wrapperIS8_S9_N2at6native12_GLOBAL__N_19CustomMaxEEEEE10hipError_tPvRmT0_T1_jT2_SQ_T4_T3_P12ihipStream_tbEUlT_E_NS1_11comp_targetILNS1_3genE0ELNS1_11target_archE4294967295ELNS1_3gpuE0ELNS1_3repE0EEENS1_30default_config_static_selectorELNS0_4arch9wavefront6targetE1EEEvSP_.has_indirect_call, 0
	.section	.AMDGPU.csdata,"",@progbits
; Kernel info:
; codeLenInByte = 0
; TotalNumSgprs: 4
; NumVgprs: 0
; ScratchSize: 0
; MemoryBound: 0
; FloatMode: 240
; IeeeMode: 1
; LDSByteSize: 0 bytes/workgroup (compile time only)
; SGPRBlocks: 0
; VGPRBlocks: 0
; NumSGPRsForWavesPerEU: 4
; NumVGPRsForWavesPerEU: 1
; Occupancy: 10
; WaveLimiterHint : 0
; COMPUTE_PGM_RSRC2:SCRATCH_EN: 0
; COMPUTE_PGM_RSRC2:USER_SGPR: 6
; COMPUTE_PGM_RSRC2:TRAP_HANDLER: 0
; COMPUTE_PGM_RSRC2:TGID_X_EN: 1
; COMPUTE_PGM_RSRC2:TGID_Y_EN: 0
; COMPUTE_PGM_RSRC2:TGID_Z_EN: 0
; COMPUTE_PGM_RSRC2:TIDIG_COMP_CNT: 0
	.section	.text._ZN7rocprim17ROCPRIM_400000_NS6detail17trampoline_kernelINS0_14default_configENS1_32segmented_reduce_config_selectorIdEEZNS1_21segmented_reduce_implIS3_PKdPdPKldN6hipcub16HIPCUB_304000_NS6detail27convert_result_type_wrapperIS8_S9_N2at6native12_GLOBAL__N_19CustomMaxEEEEE10hipError_tPvRmT0_T1_jT2_SQ_T4_T3_P12ihipStream_tbEUlT_E_NS1_11comp_targetILNS1_3genE5ELNS1_11target_archE942ELNS1_3gpuE9ELNS1_3repE0EEENS1_30default_config_static_selectorELNS0_4arch9wavefront6targetE1EEEvSP_,"axG",@progbits,_ZN7rocprim17ROCPRIM_400000_NS6detail17trampoline_kernelINS0_14default_configENS1_32segmented_reduce_config_selectorIdEEZNS1_21segmented_reduce_implIS3_PKdPdPKldN6hipcub16HIPCUB_304000_NS6detail27convert_result_type_wrapperIS8_S9_N2at6native12_GLOBAL__N_19CustomMaxEEEEE10hipError_tPvRmT0_T1_jT2_SQ_T4_T3_P12ihipStream_tbEUlT_E_NS1_11comp_targetILNS1_3genE5ELNS1_11target_archE942ELNS1_3gpuE9ELNS1_3repE0EEENS1_30default_config_static_selectorELNS0_4arch9wavefront6targetE1EEEvSP_,comdat
	.globl	_ZN7rocprim17ROCPRIM_400000_NS6detail17trampoline_kernelINS0_14default_configENS1_32segmented_reduce_config_selectorIdEEZNS1_21segmented_reduce_implIS3_PKdPdPKldN6hipcub16HIPCUB_304000_NS6detail27convert_result_type_wrapperIS8_S9_N2at6native12_GLOBAL__N_19CustomMaxEEEEE10hipError_tPvRmT0_T1_jT2_SQ_T4_T3_P12ihipStream_tbEUlT_E_NS1_11comp_targetILNS1_3genE5ELNS1_11target_archE942ELNS1_3gpuE9ELNS1_3repE0EEENS1_30default_config_static_selectorELNS0_4arch9wavefront6targetE1EEEvSP_ ; -- Begin function _ZN7rocprim17ROCPRIM_400000_NS6detail17trampoline_kernelINS0_14default_configENS1_32segmented_reduce_config_selectorIdEEZNS1_21segmented_reduce_implIS3_PKdPdPKldN6hipcub16HIPCUB_304000_NS6detail27convert_result_type_wrapperIS8_S9_N2at6native12_GLOBAL__N_19CustomMaxEEEEE10hipError_tPvRmT0_T1_jT2_SQ_T4_T3_P12ihipStream_tbEUlT_E_NS1_11comp_targetILNS1_3genE5ELNS1_11target_archE942ELNS1_3gpuE9ELNS1_3repE0EEENS1_30default_config_static_selectorELNS0_4arch9wavefront6targetE1EEEvSP_
	.p2align	8
	.type	_ZN7rocprim17ROCPRIM_400000_NS6detail17trampoline_kernelINS0_14default_configENS1_32segmented_reduce_config_selectorIdEEZNS1_21segmented_reduce_implIS3_PKdPdPKldN6hipcub16HIPCUB_304000_NS6detail27convert_result_type_wrapperIS8_S9_N2at6native12_GLOBAL__N_19CustomMaxEEEEE10hipError_tPvRmT0_T1_jT2_SQ_T4_T3_P12ihipStream_tbEUlT_E_NS1_11comp_targetILNS1_3genE5ELNS1_11target_archE942ELNS1_3gpuE9ELNS1_3repE0EEENS1_30default_config_static_selectorELNS0_4arch9wavefront6targetE1EEEvSP_,@function
_ZN7rocprim17ROCPRIM_400000_NS6detail17trampoline_kernelINS0_14default_configENS1_32segmented_reduce_config_selectorIdEEZNS1_21segmented_reduce_implIS3_PKdPdPKldN6hipcub16HIPCUB_304000_NS6detail27convert_result_type_wrapperIS8_S9_N2at6native12_GLOBAL__N_19CustomMaxEEEEE10hipError_tPvRmT0_T1_jT2_SQ_T4_T3_P12ihipStream_tbEUlT_E_NS1_11comp_targetILNS1_3genE5ELNS1_11target_archE942ELNS1_3gpuE9ELNS1_3repE0EEENS1_30default_config_static_selectorELNS0_4arch9wavefront6targetE1EEEvSP_: ; @_ZN7rocprim17ROCPRIM_400000_NS6detail17trampoline_kernelINS0_14default_configENS1_32segmented_reduce_config_selectorIdEEZNS1_21segmented_reduce_implIS3_PKdPdPKldN6hipcub16HIPCUB_304000_NS6detail27convert_result_type_wrapperIS8_S9_N2at6native12_GLOBAL__N_19CustomMaxEEEEE10hipError_tPvRmT0_T1_jT2_SQ_T4_T3_P12ihipStream_tbEUlT_E_NS1_11comp_targetILNS1_3genE5ELNS1_11target_archE942ELNS1_3gpuE9ELNS1_3repE0EEENS1_30default_config_static_selectorELNS0_4arch9wavefront6targetE1EEEvSP_
; %bb.0:
	.section	.rodata,"a",@progbits
	.p2align	6, 0x0
	.amdhsa_kernel _ZN7rocprim17ROCPRIM_400000_NS6detail17trampoline_kernelINS0_14default_configENS1_32segmented_reduce_config_selectorIdEEZNS1_21segmented_reduce_implIS3_PKdPdPKldN6hipcub16HIPCUB_304000_NS6detail27convert_result_type_wrapperIS8_S9_N2at6native12_GLOBAL__N_19CustomMaxEEEEE10hipError_tPvRmT0_T1_jT2_SQ_T4_T3_P12ihipStream_tbEUlT_E_NS1_11comp_targetILNS1_3genE5ELNS1_11target_archE942ELNS1_3gpuE9ELNS1_3repE0EEENS1_30default_config_static_selectorELNS0_4arch9wavefront6targetE1EEEvSP_
		.amdhsa_group_segment_fixed_size 0
		.amdhsa_private_segment_fixed_size 0
		.amdhsa_kernarg_size 56
		.amdhsa_user_sgpr_count 6
		.amdhsa_user_sgpr_private_segment_buffer 1
		.amdhsa_user_sgpr_dispatch_ptr 0
		.amdhsa_user_sgpr_queue_ptr 0
		.amdhsa_user_sgpr_kernarg_segment_ptr 1
		.amdhsa_user_sgpr_dispatch_id 0
		.amdhsa_user_sgpr_flat_scratch_init 0
		.amdhsa_user_sgpr_private_segment_size 0
		.amdhsa_uses_dynamic_stack 0
		.amdhsa_system_sgpr_private_segment_wavefront_offset 0
		.amdhsa_system_sgpr_workgroup_id_x 1
		.amdhsa_system_sgpr_workgroup_id_y 0
		.amdhsa_system_sgpr_workgroup_id_z 0
		.amdhsa_system_sgpr_workgroup_info 0
		.amdhsa_system_vgpr_workitem_id 0
		.amdhsa_next_free_vgpr 1
		.amdhsa_next_free_sgpr 0
		.amdhsa_reserve_vcc 0
		.amdhsa_reserve_flat_scratch 0
		.amdhsa_float_round_mode_32 0
		.amdhsa_float_round_mode_16_64 0
		.amdhsa_float_denorm_mode_32 3
		.amdhsa_float_denorm_mode_16_64 3
		.amdhsa_dx10_clamp 1
		.amdhsa_ieee_mode 1
		.amdhsa_fp16_overflow 0
		.amdhsa_exception_fp_ieee_invalid_op 0
		.amdhsa_exception_fp_denorm_src 0
		.amdhsa_exception_fp_ieee_div_zero 0
		.amdhsa_exception_fp_ieee_overflow 0
		.amdhsa_exception_fp_ieee_underflow 0
		.amdhsa_exception_fp_ieee_inexact 0
		.amdhsa_exception_int_div_zero 0
	.end_amdhsa_kernel
	.section	.text._ZN7rocprim17ROCPRIM_400000_NS6detail17trampoline_kernelINS0_14default_configENS1_32segmented_reduce_config_selectorIdEEZNS1_21segmented_reduce_implIS3_PKdPdPKldN6hipcub16HIPCUB_304000_NS6detail27convert_result_type_wrapperIS8_S9_N2at6native12_GLOBAL__N_19CustomMaxEEEEE10hipError_tPvRmT0_T1_jT2_SQ_T4_T3_P12ihipStream_tbEUlT_E_NS1_11comp_targetILNS1_3genE5ELNS1_11target_archE942ELNS1_3gpuE9ELNS1_3repE0EEENS1_30default_config_static_selectorELNS0_4arch9wavefront6targetE1EEEvSP_,"axG",@progbits,_ZN7rocprim17ROCPRIM_400000_NS6detail17trampoline_kernelINS0_14default_configENS1_32segmented_reduce_config_selectorIdEEZNS1_21segmented_reduce_implIS3_PKdPdPKldN6hipcub16HIPCUB_304000_NS6detail27convert_result_type_wrapperIS8_S9_N2at6native12_GLOBAL__N_19CustomMaxEEEEE10hipError_tPvRmT0_T1_jT2_SQ_T4_T3_P12ihipStream_tbEUlT_E_NS1_11comp_targetILNS1_3genE5ELNS1_11target_archE942ELNS1_3gpuE9ELNS1_3repE0EEENS1_30default_config_static_selectorELNS0_4arch9wavefront6targetE1EEEvSP_,comdat
.Lfunc_end146:
	.size	_ZN7rocprim17ROCPRIM_400000_NS6detail17trampoline_kernelINS0_14default_configENS1_32segmented_reduce_config_selectorIdEEZNS1_21segmented_reduce_implIS3_PKdPdPKldN6hipcub16HIPCUB_304000_NS6detail27convert_result_type_wrapperIS8_S9_N2at6native12_GLOBAL__N_19CustomMaxEEEEE10hipError_tPvRmT0_T1_jT2_SQ_T4_T3_P12ihipStream_tbEUlT_E_NS1_11comp_targetILNS1_3genE5ELNS1_11target_archE942ELNS1_3gpuE9ELNS1_3repE0EEENS1_30default_config_static_selectorELNS0_4arch9wavefront6targetE1EEEvSP_, .Lfunc_end146-_ZN7rocprim17ROCPRIM_400000_NS6detail17trampoline_kernelINS0_14default_configENS1_32segmented_reduce_config_selectorIdEEZNS1_21segmented_reduce_implIS3_PKdPdPKldN6hipcub16HIPCUB_304000_NS6detail27convert_result_type_wrapperIS8_S9_N2at6native12_GLOBAL__N_19CustomMaxEEEEE10hipError_tPvRmT0_T1_jT2_SQ_T4_T3_P12ihipStream_tbEUlT_E_NS1_11comp_targetILNS1_3genE5ELNS1_11target_archE942ELNS1_3gpuE9ELNS1_3repE0EEENS1_30default_config_static_selectorELNS0_4arch9wavefront6targetE1EEEvSP_
                                        ; -- End function
	.set _ZN7rocprim17ROCPRIM_400000_NS6detail17trampoline_kernelINS0_14default_configENS1_32segmented_reduce_config_selectorIdEEZNS1_21segmented_reduce_implIS3_PKdPdPKldN6hipcub16HIPCUB_304000_NS6detail27convert_result_type_wrapperIS8_S9_N2at6native12_GLOBAL__N_19CustomMaxEEEEE10hipError_tPvRmT0_T1_jT2_SQ_T4_T3_P12ihipStream_tbEUlT_E_NS1_11comp_targetILNS1_3genE5ELNS1_11target_archE942ELNS1_3gpuE9ELNS1_3repE0EEENS1_30default_config_static_selectorELNS0_4arch9wavefront6targetE1EEEvSP_.num_vgpr, 0
	.set _ZN7rocprim17ROCPRIM_400000_NS6detail17trampoline_kernelINS0_14default_configENS1_32segmented_reduce_config_selectorIdEEZNS1_21segmented_reduce_implIS3_PKdPdPKldN6hipcub16HIPCUB_304000_NS6detail27convert_result_type_wrapperIS8_S9_N2at6native12_GLOBAL__N_19CustomMaxEEEEE10hipError_tPvRmT0_T1_jT2_SQ_T4_T3_P12ihipStream_tbEUlT_E_NS1_11comp_targetILNS1_3genE5ELNS1_11target_archE942ELNS1_3gpuE9ELNS1_3repE0EEENS1_30default_config_static_selectorELNS0_4arch9wavefront6targetE1EEEvSP_.num_agpr, 0
	.set _ZN7rocprim17ROCPRIM_400000_NS6detail17trampoline_kernelINS0_14default_configENS1_32segmented_reduce_config_selectorIdEEZNS1_21segmented_reduce_implIS3_PKdPdPKldN6hipcub16HIPCUB_304000_NS6detail27convert_result_type_wrapperIS8_S9_N2at6native12_GLOBAL__N_19CustomMaxEEEEE10hipError_tPvRmT0_T1_jT2_SQ_T4_T3_P12ihipStream_tbEUlT_E_NS1_11comp_targetILNS1_3genE5ELNS1_11target_archE942ELNS1_3gpuE9ELNS1_3repE0EEENS1_30default_config_static_selectorELNS0_4arch9wavefront6targetE1EEEvSP_.numbered_sgpr, 0
	.set _ZN7rocprim17ROCPRIM_400000_NS6detail17trampoline_kernelINS0_14default_configENS1_32segmented_reduce_config_selectorIdEEZNS1_21segmented_reduce_implIS3_PKdPdPKldN6hipcub16HIPCUB_304000_NS6detail27convert_result_type_wrapperIS8_S9_N2at6native12_GLOBAL__N_19CustomMaxEEEEE10hipError_tPvRmT0_T1_jT2_SQ_T4_T3_P12ihipStream_tbEUlT_E_NS1_11comp_targetILNS1_3genE5ELNS1_11target_archE942ELNS1_3gpuE9ELNS1_3repE0EEENS1_30default_config_static_selectorELNS0_4arch9wavefront6targetE1EEEvSP_.num_named_barrier, 0
	.set _ZN7rocprim17ROCPRIM_400000_NS6detail17trampoline_kernelINS0_14default_configENS1_32segmented_reduce_config_selectorIdEEZNS1_21segmented_reduce_implIS3_PKdPdPKldN6hipcub16HIPCUB_304000_NS6detail27convert_result_type_wrapperIS8_S9_N2at6native12_GLOBAL__N_19CustomMaxEEEEE10hipError_tPvRmT0_T1_jT2_SQ_T4_T3_P12ihipStream_tbEUlT_E_NS1_11comp_targetILNS1_3genE5ELNS1_11target_archE942ELNS1_3gpuE9ELNS1_3repE0EEENS1_30default_config_static_selectorELNS0_4arch9wavefront6targetE1EEEvSP_.private_seg_size, 0
	.set _ZN7rocprim17ROCPRIM_400000_NS6detail17trampoline_kernelINS0_14default_configENS1_32segmented_reduce_config_selectorIdEEZNS1_21segmented_reduce_implIS3_PKdPdPKldN6hipcub16HIPCUB_304000_NS6detail27convert_result_type_wrapperIS8_S9_N2at6native12_GLOBAL__N_19CustomMaxEEEEE10hipError_tPvRmT0_T1_jT2_SQ_T4_T3_P12ihipStream_tbEUlT_E_NS1_11comp_targetILNS1_3genE5ELNS1_11target_archE942ELNS1_3gpuE9ELNS1_3repE0EEENS1_30default_config_static_selectorELNS0_4arch9wavefront6targetE1EEEvSP_.uses_vcc, 0
	.set _ZN7rocprim17ROCPRIM_400000_NS6detail17trampoline_kernelINS0_14default_configENS1_32segmented_reduce_config_selectorIdEEZNS1_21segmented_reduce_implIS3_PKdPdPKldN6hipcub16HIPCUB_304000_NS6detail27convert_result_type_wrapperIS8_S9_N2at6native12_GLOBAL__N_19CustomMaxEEEEE10hipError_tPvRmT0_T1_jT2_SQ_T4_T3_P12ihipStream_tbEUlT_E_NS1_11comp_targetILNS1_3genE5ELNS1_11target_archE942ELNS1_3gpuE9ELNS1_3repE0EEENS1_30default_config_static_selectorELNS0_4arch9wavefront6targetE1EEEvSP_.uses_flat_scratch, 0
	.set _ZN7rocprim17ROCPRIM_400000_NS6detail17trampoline_kernelINS0_14default_configENS1_32segmented_reduce_config_selectorIdEEZNS1_21segmented_reduce_implIS3_PKdPdPKldN6hipcub16HIPCUB_304000_NS6detail27convert_result_type_wrapperIS8_S9_N2at6native12_GLOBAL__N_19CustomMaxEEEEE10hipError_tPvRmT0_T1_jT2_SQ_T4_T3_P12ihipStream_tbEUlT_E_NS1_11comp_targetILNS1_3genE5ELNS1_11target_archE942ELNS1_3gpuE9ELNS1_3repE0EEENS1_30default_config_static_selectorELNS0_4arch9wavefront6targetE1EEEvSP_.has_dyn_sized_stack, 0
	.set _ZN7rocprim17ROCPRIM_400000_NS6detail17trampoline_kernelINS0_14default_configENS1_32segmented_reduce_config_selectorIdEEZNS1_21segmented_reduce_implIS3_PKdPdPKldN6hipcub16HIPCUB_304000_NS6detail27convert_result_type_wrapperIS8_S9_N2at6native12_GLOBAL__N_19CustomMaxEEEEE10hipError_tPvRmT0_T1_jT2_SQ_T4_T3_P12ihipStream_tbEUlT_E_NS1_11comp_targetILNS1_3genE5ELNS1_11target_archE942ELNS1_3gpuE9ELNS1_3repE0EEENS1_30default_config_static_selectorELNS0_4arch9wavefront6targetE1EEEvSP_.has_recursion, 0
	.set _ZN7rocprim17ROCPRIM_400000_NS6detail17trampoline_kernelINS0_14default_configENS1_32segmented_reduce_config_selectorIdEEZNS1_21segmented_reduce_implIS3_PKdPdPKldN6hipcub16HIPCUB_304000_NS6detail27convert_result_type_wrapperIS8_S9_N2at6native12_GLOBAL__N_19CustomMaxEEEEE10hipError_tPvRmT0_T1_jT2_SQ_T4_T3_P12ihipStream_tbEUlT_E_NS1_11comp_targetILNS1_3genE5ELNS1_11target_archE942ELNS1_3gpuE9ELNS1_3repE0EEENS1_30default_config_static_selectorELNS0_4arch9wavefront6targetE1EEEvSP_.has_indirect_call, 0
	.section	.AMDGPU.csdata,"",@progbits
; Kernel info:
; codeLenInByte = 0
; TotalNumSgprs: 4
; NumVgprs: 0
; ScratchSize: 0
; MemoryBound: 0
; FloatMode: 240
; IeeeMode: 1
; LDSByteSize: 0 bytes/workgroup (compile time only)
; SGPRBlocks: 0
; VGPRBlocks: 0
; NumSGPRsForWavesPerEU: 4
; NumVGPRsForWavesPerEU: 1
; Occupancy: 10
; WaveLimiterHint : 0
; COMPUTE_PGM_RSRC2:SCRATCH_EN: 0
; COMPUTE_PGM_RSRC2:USER_SGPR: 6
; COMPUTE_PGM_RSRC2:TRAP_HANDLER: 0
; COMPUTE_PGM_RSRC2:TGID_X_EN: 1
; COMPUTE_PGM_RSRC2:TGID_Y_EN: 0
; COMPUTE_PGM_RSRC2:TGID_Z_EN: 0
; COMPUTE_PGM_RSRC2:TIDIG_COMP_CNT: 0
	.section	.text._ZN7rocprim17ROCPRIM_400000_NS6detail17trampoline_kernelINS0_14default_configENS1_32segmented_reduce_config_selectorIdEEZNS1_21segmented_reduce_implIS3_PKdPdPKldN6hipcub16HIPCUB_304000_NS6detail27convert_result_type_wrapperIS8_S9_N2at6native12_GLOBAL__N_19CustomMaxEEEEE10hipError_tPvRmT0_T1_jT2_SQ_T4_T3_P12ihipStream_tbEUlT_E_NS1_11comp_targetILNS1_3genE10ELNS1_11target_archE1201ELNS1_3gpuE5ELNS1_3repE0EEENS1_30default_config_static_selectorELNS0_4arch9wavefront6targetE1EEEvSP_,"axG",@progbits,_ZN7rocprim17ROCPRIM_400000_NS6detail17trampoline_kernelINS0_14default_configENS1_32segmented_reduce_config_selectorIdEEZNS1_21segmented_reduce_implIS3_PKdPdPKldN6hipcub16HIPCUB_304000_NS6detail27convert_result_type_wrapperIS8_S9_N2at6native12_GLOBAL__N_19CustomMaxEEEEE10hipError_tPvRmT0_T1_jT2_SQ_T4_T3_P12ihipStream_tbEUlT_E_NS1_11comp_targetILNS1_3genE10ELNS1_11target_archE1201ELNS1_3gpuE5ELNS1_3repE0EEENS1_30default_config_static_selectorELNS0_4arch9wavefront6targetE1EEEvSP_,comdat
	.globl	_ZN7rocprim17ROCPRIM_400000_NS6detail17trampoline_kernelINS0_14default_configENS1_32segmented_reduce_config_selectorIdEEZNS1_21segmented_reduce_implIS3_PKdPdPKldN6hipcub16HIPCUB_304000_NS6detail27convert_result_type_wrapperIS8_S9_N2at6native12_GLOBAL__N_19CustomMaxEEEEE10hipError_tPvRmT0_T1_jT2_SQ_T4_T3_P12ihipStream_tbEUlT_E_NS1_11comp_targetILNS1_3genE10ELNS1_11target_archE1201ELNS1_3gpuE5ELNS1_3repE0EEENS1_30default_config_static_selectorELNS0_4arch9wavefront6targetE1EEEvSP_ ; -- Begin function _ZN7rocprim17ROCPRIM_400000_NS6detail17trampoline_kernelINS0_14default_configENS1_32segmented_reduce_config_selectorIdEEZNS1_21segmented_reduce_implIS3_PKdPdPKldN6hipcub16HIPCUB_304000_NS6detail27convert_result_type_wrapperIS8_S9_N2at6native12_GLOBAL__N_19CustomMaxEEEEE10hipError_tPvRmT0_T1_jT2_SQ_T4_T3_P12ihipStream_tbEUlT_E_NS1_11comp_targetILNS1_3genE10ELNS1_11target_archE1201ELNS1_3gpuE5ELNS1_3repE0EEENS1_30default_config_static_selectorELNS0_4arch9wavefront6targetE1EEEvSP_
	.p2align	8
	.type	_ZN7rocprim17ROCPRIM_400000_NS6detail17trampoline_kernelINS0_14default_configENS1_32segmented_reduce_config_selectorIdEEZNS1_21segmented_reduce_implIS3_PKdPdPKldN6hipcub16HIPCUB_304000_NS6detail27convert_result_type_wrapperIS8_S9_N2at6native12_GLOBAL__N_19CustomMaxEEEEE10hipError_tPvRmT0_T1_jT2_SQ_T4_T3_P12ihipStream_tbEUlT_E_NS1_11comp_targetILNS1_3genE10ELNS1_11target_archE1201ELNS1_3gpuE5ELNS1_3repE0EEENS1_30default_config_static_selectorELNS0_4arch9wavefront6targetE1EEEvSP_,@function
_ZN7rocprim17ROCPRIM_400000_NS6detail17trampoline_kernelINS0_14default_configENS1_32segmented_reduce_config_selectorIdEEZNS1_21segmented_reduce_implIS3_PKdPdPKldN6hipcub16HIPCUB_304000_NS6detail27convert_result_type_wrapperIS8_S9_N2at6native12_GLOBAL__N_19CustomMaxEEEEE10hipError_tPvRmT0_T1_jT2_SQ_T4_T3_P12ihipStream_tbEUlT_E_NS1_11comp_targetILNS1_3genE10ELNS1_11target_archE1201ELNS1_3gpuE5ELNS1_3repE0EEENS1_30default_config_static_selectorELNS0_4arch9wavefront6targetE1EEEvSP_: ; @_ZN7rocprim17ROCPRIM_400000_NS6detail17trampoline_kernelINS0_14default_configENS1_32segmented_reduce_config_selectorIdEEZNS1_21segmented_reduce_implIS3_PKdPdPKldN6hipcub16HIPCUB_304000_NS6detail27convert_result_type_wrapperIS8_S9_N2at6native12_GLOBAL__N_19CustomMaxEEEEE10hipError_tPvRmT0_T1_jT2_SQ_T4_T3_P12ihipStream_tbEUlT_E_NS1_11comp_targetILNS1_3genE10ELNS1_11target_archE1201ELNS1_3gpuE5ELNS1_3repE0EEENS1_30default_config_static_selectorELNS0_4arch9wavefront6targetE1EEEvSP_
; %bb.0:
	.section	.rodata,"a",@progbits
	.p2align	6, 0x0
	.amdhsa_kernel _ZN7rocprim17ROCPRIM_400000_NS6detail17trampoline_kernelINS0_14default_configENS1_32segmented_reduce_config_selectorIdEEZNS1_21segmented_reduce_implIS3_PKdPdPKldN6hipcub16HIPCUB_304000_NS6detail27convert_result_type_wrapperIS8_S9_N2at6native12_GLOBAL__N_19CustomMaxEEEEE10hipError_tPvRmT0_T1_jT2_SQ_T4_T3_P12ihipStream_tbEUlT_E_NS1_11comp_targetILNS1_3genE10ELNS1_11target_archE1201ELNS1_3gpuE5ELNS1_3repE0EEENS1_30default_config_static_selectorELNS0_4arch9wavefront6targetE1EEEvSP_
		.amdhsa_group_segment_fixed_size 0
		.amdhsa_private_segment_fixed_size 0
		.amdhsa_kernarg_size 56
		.amdhsa_user_sgpr_count 6
		.amdhsa_user_sgpr_private_segment_buffer 1
		.amdhsa_user_sgpr_dispatch_ptr 0
		.amdhsa_user_sgpr_queue_ptr 0
		.amdhsa_user_sgpr_kernarg_segment_ptr 1
		.amdhsa_user_sgpr_dispatch_id 0
		.amdhsa_user_sgpr_flat_scratch_init 0
		.amdhsa_user_sgpr_private_segment_size 0
		.amdhsa_uses_dynamic_stack 0
		.amdhsa_system_sgpr_private_segment_wavefront_offset 0
		.amdhsa_system_sgpr_workgroup_id_x 1
		.amdhsa_system_sgpr_workgroup_id_y 0
		.amdhsa_system_sgpr_workgroup_id_z 0
		.amdhsa_system_sgpr_workgroup_info 0
		.amdhsa_system_vgpr_workitem_id 0
		.amdhsa_next_free_vgpr 1
		.amdhsa_next_free_sgpr 0
		.amdhsa_reserve_vcc 0
		.amdhsa_reserve_flat_scratch 0
		.amdhsa_float_round_mode_32 0
		.amdhsa_float_round_mode_16_64 0
		.amdhsa_float_denorm_mode_32 3
		.amdhsa_float_denorm_mode_16_64 3
		.amdhsa_dx10_clamp 1
		.amdhsa_ieee_mode 1
		.amdhsa_fp16_overflow 0
		.amdhsa_exception_fp_ieee_invalid_op 0
		.amdhsa_exception_fp_denorm_src 0
		.amdhsa_exception_fp_ieee_div_zero 0
		.amdhsa_exception_fp_ieee_overflow 0
		.amdhsa_exception_fp_ieee_underflow 0
		.amdhsa_exception_fp_ieee_inexact 0
		.amdhsa_exception_int_div_zero 0
	.end_amdhsa_kernel
	.section	.text._ZN7rocprim17ROCPRIM_400000_NS6detail17trampoline_kernelINS0_14default_configENS1_32segmented_reduce_config_selectorIdEEZNS1_21segmented_reduce_implIS3_PKdPdPKldN6hipcub16HIPCUB_304000_NS6detail27convert_result_type_wrapperIS8_S9_N2at6native12_GLOBAL__N_19CustomMaxEEEEE10hipError_tPvRmT0_T1_jT2_SQ_T4_T3_P12ihipStream_tbEUlT_E_NS1_11comp_targetILNS1_3genE10ELNS1_11target_archE1201ELNS1_3gpuE5ELNS1_3repE0EEENS1_30default_config_static_selectorELNS0_4arch9wavefront6targetE1EEEvSP_,"axG",@progbits,_ZN7rocprim17ROCPRIM_400000_NS6detail17trampoline_kernelINS0_14default_configENS1_32segmented_reduce_config_selectorIdEEZNS1_21segmented_reduce_implIS3_PKdPdPKldN6hipcub16HIPCUB_304000_NS6detail27convert_result_type_wrapperIS8_S9_N2at6native12_GLOBAL__N_19CustomMaxEEEEE10hipError_tPvRmT0_T1_jT2_SQ_T4_T3_P12ihipStream_tbEUlT_E_NS1_11comp_targetILNS1_3genE10ELNS1_11target_archE1201ELNS1_3gpuE5ELNS1_3repE0EEENS1_30default_config_static_selectorELNS0_4arch9wavefront6targetE1EEEvSP_,comdat
.Lfunc_end147:
	.size	_ZN7rocprim17ROCPRIM_400000_NS6detail17trampoline_kernelINS0_14default_configENS1_32segmented_reduce_config_selectorIdEEZNS1_21segmented_reduce_implIS3_PKdPdPKldN6hipcub16HIPCUB_304000_NS6detail27convert_result_type_wrapperIS8_S9_N2at6native12_GLOBAL__N_19CustomMaxEEEEE10hipError_tPvRmT0_T1_jT2_SQ_T4_T3_P12ihipStream_tbEUlT_E_NS1_11comp_targetILNS1_3genE10ELNS1_11target_archE1201ELNS1_3gpuE5ELNS1_3repE0EEENS1_30default_config_static_selectorELNS0_4arch9wavefront6targetE1EEEvSP_, .Lfunc_end147-_ZN7rocprim17ROCPRIM_400000_NS6detail17trampoline_kernelINS0_14default_configENS1_32segmented_reduce_config_selectorIdEEZNS1_21segmented_reduce_implIS3_PKdPdPKldN6hipcub16HIPCUB_304000_NS6detail27convert_result_type_wrapperIS8_S9_N2at6native12_GLOBAL__N_19CustomMaxEEEEE10hipError_tPvRmT0_T1_jT2_SQ_T4_T3_P12ihipStream_tbEUlT_E_NS1_11comp_targetILNS1_3genE10ELNS1_11target_archE1201ELNS1_3gpuE5ELNS1_3repE0EEENS1_30default_config_static_selectorELNS0_4arch9wavefront6targetE1EEEvSP_
                                        ; -- End function
	.set _ZN7rocprim17ROCPRIM_400000_NS6detail17trampoline_kernelINS0_14default_configENS1_32segmented_reduce_config_selectorIdEEZNS1_21segmented_reduce_implIS3_PKdPdPKldN6hipcub16HIPCUB_304000_NS6detail27convert_result_type_wrapperIS8_S9_N2at6native12_GLOBAL__N_19CustomMaxEEEEE10hipError_tPvRmT0_T1_jT2_SQ_T4_T3_P12ihipStream_tbEUlT_E_NS1_11comp_targetILNS1_3genE10ELNS1_11target_archE1201ELNS1_3gpuE5ELNS1_3repE0EEENS1_30default_config_static_selectorELNS0_4arch9wavefront6targetE1EEEvSP_.num_vgpr, 0
	.set _ZN7rocprim17ROCPRIM_400000_NS6detail17trampoline_kernelINS0_14default_configENS1_32segmented_reduce_config_selectorIdEEZNS1_21segmented_reduce_implIS3_PKdPdPKldN6hipcub16HIPCUB_304000_NS6detail27convert_result_type_wrapperIS8_S9_N2at6native12_GLOBAL__N_19CustomMaxEEEEE10hipError_tPvRmT0_T1_jT2_SQ_T4_T3_P12ihipStream_tbEUlT_E_NS1_11comp_targetILNS1_3genE10ELNS1_11target_archE1201ELNS1_3gpuE5ELNS1_3repE0EEENS1_30default_config_static_selectorELNS0_4arch9wavefront6targetE1EEEvSP_.num_agpr, 0
	.set _ZN7rocprim17ROCPRIM_400000_NS6detail17trampoline_kernelINS0_14default_configENS1_32segmented_reduce_config_selectorIdEEZNS1_21segmented_reduce_implIS3_PKdPdPKldN6hipcub16HIPCUB_304000_NS6detail27convert_result_type_wrapperIS8_S9_N2at6native12_GLOBAL__N_19CustomMaxEEEEE10hipError_tPvRmT0_T1_jT2_SQ_T4_T3_P12ihipStream_tbEUlT_E_NS1_11comp_targetILNS1_3genE10ELNS1_11target_archE1201ELNS1_3gpuE5ELNS1_3repE0EEENS1_30default_config_static_selectorELNS0_4arch9wavefront6targetE1EEEvSP_.numbered_sgpr, 0
	.set _ZN7rocprim17ROCPRIM_400000_NS6detail17trampoline_kernelINS0_14default_configENS1_32segmented_reduce_config_selectorIdEEZNS1_21segmented_reduce_implIS3_PKdPdPKldN6hipcub16HIPCUB_304000_NS6detail27convert_result_type_wrapperIS8_S9_N2at6native12_GLOBAL__N_19CustomMaxEEEEE10hipError_tPvRmT0_T1_jT2_SQ_T4_T3_P12ihipStream_tbEUlT_E_NS1_11comp_targetILNS1_3genE10ELNS1_11target_archE1201ELNS1_3gpuE5ELNS1_3repE0EEENS1_30default_config_static_selectorELNS0_4arch9wavefront6targetE1EEEvSP_.num_named_barrier, 0
	.set _ZN7rocprim17ROCPRIM_400000_NS6detail17trampoline_kernelINS0_14default_configENS1_32segmented_reduce_config_selectorIdEEZNS1_21segmented_reduce_implIS3_PKdPdPKldN6hipcub16HIPCUB_304000_NS6detail27convert_result_type_wrapperIS8_S9_N2at6native12_GLOBAL__N_19CustomMaxEEEEE10hipError_tPvRmT0_T1_jT2_SQ_T4_T3_P12ihipStream_tbEUlT_E_NS1_11comp_targetILNS1_3genE10ELNS1_11target_archE1201ELNS1_3gpuE5ELNS1_3repE0EEENS1_30default_config_static_selectorELNS0_4arch9wavefront6targetE1EEEvSP_.private_seg_size, 0
	.set _ZN7rocprim17ROCPRIM_400000_NS6detail17trampoline_kernelINS0_14default_configENS1_32segmented_reduce_config_selectorIdEEZNS1_21segmented_reduce_implIS3_PKdPdPKldN6hipcub16HIPCUB_304000_NS6detail27convert_result_type_wrapperIS8_S9_N2at6native12_GLOBAL__N_19CustomMaxEEEEE10hipError_tPvRmT0_T1_jT2_SQ_T4_T3_P12ihipStream_tbEUlT_E_NS1_11comp_targetILNS1_3genE10ELNS1_11target_archE1201ELNS1_3gpuE5ELNS1_3repE0EEENS1_30default_config_static_selectorELNS0_4arch9wavefront6targetE1EEEvSP_.uses_vcc, 0
	.set _ZN7rocprim17ROCPRIM_400000_NS6detail17trampoline_kernelINS0_14default_configENS1_32segmented_reduce_config_selectorIdEEZNS1_21segmented_reduce_implIS3_PKdPdPKldN6hipcub16HIPCUB_304000_NS6detail27convert_result_type_wrapperIS8_S9_N2at6native12_GLOBAL__N_19CustomMaxEEEEE10hipError_tPvRmT0_T1_jT2_SQ_T4_T3_P12ihipStream_tbEUlT_E_NS1_11comp_targetILNS1_3genE10ELNS1_11target_archE1201ELNS1_3gpuE5ELNS1_3repE0EEENS1_30default_config_static_selectorELNS0_4arch9wavefront6targetE1EEEvSP_.uses_flat_scratch, 0
	.set _ZN7rocprim17ROCPRIM_400000_NS6detail17trampoline_kernelINS0_14default_configENS1_32segmented_reduce_config_selectorIdEEZNS1_21segmented_reduce_implIS3_PKdPdPKldN6hipcub16HIPCUB_304000_NS6detail27convert_result_type_wrapperIS8_S9_N2at6native12_GLOBAL__N_19CustomMaxEEEEE10hipError_tPvRmT0_T1_jT2_SQ_T4_T3_P12ihipStream_tbEUlT_E_NS1_11comp_targetILNS1_3genE10ELNS1_11target_archE1201ELNS1_3gpuE5ELNS1_3repE0EEENS1_30default_config_static_selectorELNS0_4arch9wavefront6targetE1EEEvSP_.has_dyn_sized_stack, 0
	.set _ZN7rocprim17ROCPRIM_400000_NS6detail17trampoline_kernelINS0_14default_configENS1_32segmented_reduce_config_selectorIdEEZNS1_21segmented_reduce_implIS3_PKdPdPKldN6hipcub16HIPCUB_304000_NS6detail27convert_result_type_wrapperIS8_S9_N2at6native12_GLOBAL__N_19CustomMaxEEEEE10hipError_tPvRmT0_T1_jT2_SQ_T4_T3_P12ihipStream_tbEUlT_E_NS1_11comp_targetILNS1_3genE10ELNS1_11target_archE1201ELNS1_3gpuE5ELNS1_3repE0EEENS1_30default_config_static_selectorELNS0_4arch9wavefront6targetE1EEEvSP_.has_recursion, 0
	.set _ZN7rocprim17ROCPRIM_400000_NS6detail17trampoline_kernelINS0_14default_configENS1_32segmented_reduce_config_selectorIdEEZNS1_21segmented_reduce_implIS3_PKdPdPKldN6hipcub16HIPCUB_304000_NS6detail27convert_result_type_wrapperIS8_S9_N2at6native12_GLOBAL__N_19CustomMaxEEEEE10hipError_tPvRmT0_T1_jT2_SQ_T4_T3_P12ihipStream_tbEUlT_E_NS1_11comp_targetILNS1_3genE10ELNS1_11target_archE1201ELNS1_3gpuE5ELNS1_3repE0EEENS1_30default_config_static_selectorELNS0_4arch9wavefront6targetE1EEEvSP_.has_indirect_call, 0
	.section	.AMDGPU.csdata,"",@progbits
; Kernel info:
; codeLenInByte = 0
; TotalNumSgprs: 4
; NumVgprs: 0
; ScratchSize: 0
; MemoryBound: 0
; FloatMode: 240
; IeeeMode: 1
; LDSByteSize: 0 bytes/workgroup (compile time only)
; SGPRBlocks: 0
; VGPRBlocks: 0
; NumSGPRsForWavesPerEU: 4
; NumVGPRsForWavesPerEU: 1
; Occupancy: 10
; WaveLimiterHint : 0
; COMPUTE_PGM_RSRC2:SCRATCH_EN: 0
; COMPUTE_PGM_RSRC2:USER_SGPR: 6
; COMPUTE_PGM_RSRC2:TRAP_HANDLER: 0
; COMPUTE_PGM_RSRC2:TGID_X_EN: 1
; COMPUTE_PGM_RSRC2:TGID_Y_EN: 0
; COMPUTE_PGM_RSRC2:TGID_Z_EN: 0
; COMPUTE_PGM_RSRC2:TIDIG_COMP_CNT: 0
	.section	.text._ZN7rocprim17ROCPRIM_400000_NS6detail17trampoline_kernelINS0_14default_configENS1_32segmented_reduce_config_selectorIdEEZNS1_21segmented_reduce_implIS3_PKdPdPKldN6hipcub16HIPCUB_304000_NS6detail27convert_result_type_wrapperIS8_S9_N2at6native12_GLOBAL__N_19CustomMaxEEEEE10hipError_tPvRmT0_T1_jT2_SQ_T4_T3_P12ihipStream_tbEUlT_E_NS1_11comp_targetILNS1_3genE4ELNS1_11target_archE910ELNS1_3gpuE8ELNS1_3repE0EEENS1_30default_config_static_selectorELNS0_4arch9wavefront6targetE1EEEvSP_,"axG",@progbits,_ZN7rocprim17ROCPRIM_400000_NS6detail17trampoline_kernelINS0_14default_configENS1_32segmented_reduce_config_selectorIdEEZNS1_21segmented_reduce_implIS3_PKdPdPKldN6hipcub16HIPCUB_304000_NS6detail27convert_result_type_wrapperIS8_S9_N2at6native12_GLOBAL__N_19CustomMaxEEEEE10hipError_tPvRmT0_T1_jT2_SQ_T4_T3_P12ihipStream_tbEUlT_E_NS1_11comp_targetILNS1_3genE4ELNS1_11target_archE910ELNS1_3gpuE8ELNS1_3repE0EEENS1_30default_config_static_selectorELNS0_4arch9wavefront6targetE1EEEvSP_,comdat
	.globl	_ZN7rocprim17ROCPRIM_400000_NS6detail17trampoline_kernelINS0_14default_configENS1_32segmented_reduce_config_selectorIdEEZNS1_21segmented_reduce_implIS3_PKdPdPKldN6hipcub16HIPCUB_304000_NS6detail27convert_result_type_wrapperIS8_S9_N2at6native12_GLOBAL__N_19CustomMaxEEEEE10hipError_tPvRmT0_T1_jT2_SQ_T4_T3_P12ihipStream_tbEUlT_E_NS1_11comp_targetILNS1_3genE4ELNS1_11target_archE910ELNS1_3gpuE8ELNS1_3repE0EEENS1_30default_config_static_selectorELNS0_4arch9wavefront6targetE1EEEvSP_ ; -- Begin function _ZN7rocprim17ROCPRIM_400000_NS6detail17trampoline_kernelINS0_14default_configENS1_32segmented_reduce_config_selectorIdEEZNS1_21segmented_reduce_implIS3_PKdPdPKldN6hipcub16HIPCUB_304000_NS6detail27convert_result_type_wrapperIS8_S9_N2at6native12_GLOBAL__N_19CustomMaxEEEEE10hipError_tPvRmT0_T1_jT2_SQ_T4_T3_P12ihipStream_tbEUlT_E_NS1_11comp_targetILNS1_3genE4ELNS1_11target_archE910ELNS1_3gpuE8ELNS1_3repE0EEENS1_30default_config_static_selectorELNS0_4arch9wavefront6targetE1EEEvSP_
	.p2align	8
	.type	_ZN7rocprim17ROCPRIM_400000_NS6detail17trampoline_kernelINS0_14default_configENS1_32segmented_reduce_config_selectorIdEEZNS1_21segmented_reduce_implIS3_PKdPdPKldN6hipcub16HIPCUB_304000_NS6detail27convert_result_type_wrapperIS8_S9_N2at6native12_GLOBAL__N_19CustomMaxEEEEE10hipError_tPvRmT0_T1_jT2_SQ_T4_T3_P12ihipStream_tbEUlT_E_NS1_11comp_targetILNS1_3genE4ELNS1_11target_archE910ELNS1_3gpuE8ELNS1_3repE0EEENS1_30default_config_static_selectorELNS0_4arch9wavefront6targetE1EEEvSP_,@function
_ZN7rocprim17ROCPRIM_400000_NS6detail17trampoline_kernelINS0_14default_configENS1_32segmented_reduce_config_selectorIdEEZNS1_21segmented_reduce_implIS3_PKdPdPKldN6hipcub16HIPCUB_304000_NS6detail27convert_result_type_wrapperIS8_S9_N2at6native12_GLOBAL__N_19CustomMaxEEEEE10hipError_tPvRmT0_T1_jT2_SQ_T4_T3_P12ihipStream_tbEUlT_E_NS1_11comp_targetILNS1_3genE4ELNS1_11target_archE910ELNS1_3gpuE8ELNS1_3repE0EEENS1_30default_config_static_selectorELNS0_4arch9wavefront6targetE1EEEvSP_: ; @_ZN7rocprim17ROCPRIM_400000_NS6detail17trampoline_kernelINS0_14default_configENS1_32segmented_reduce_config_selectorIdEEZNS1_21segmented_reduce_implIS3_PKdPdPKldN6hipcub16HIPCUB_304000_NS6detail27convert_result_type_wrapperIS8_S9_N2at6native12_GLOBAL__N_19CustomMaxEEEEE10hipError_tPvRmT0_T1_jT2_SQ_T4_T3_P12ihipStream_tbEUlT_E_NS1_11comp_targetILNS1_3genE4ELNS1_11target_archE910ELNS1_3gpuE8ELNS1_3repE0EEENS1_30default_config_static_selectorELNS0_4arch9wavefront6targetE1EEEvSP_
; %bb.0:
	.section	.rodata,"a",@progbits
	.p2align	6, 0x0
	.amdhsa_kernel _ZN7rocprim17ROCPRIM_400000_NS6detail17trampoline_kernelINS0_14default_configENS1_32segmented_reduce_config_selectorIdEEZNS1_21segmented_reduce_implIS3_PKdPdPKldN6hipcub16HIPCUB_304000_NS6detail27convert_result_type_wrapperIS8_S9_N2at6native12_GLOBAL__N_19CustomMaxEEEEE10hipError_tPvRmT0_T1_jT2_SQ_T4_T3_P12ihipStream_tbEUlT_E_NS1_11comp_targetILNS1_3genE4ELNS1_11target_archE910ELNS1_3gpuE8ELNS1_3repE0EEENS1_30default_config_static_selectorELNS0_4arch9wavefront6targetE1EEEvSP_
		.amdhsa_group_segment_fixed_size 0
		.amdhsa_private_segment_fixed_size 0
		.amdhsa_kernarg_size 56
		.amdhsa_user_sgpr_count 6
		.amdhsa_user_sgpr_private_segment_buffer 1
		.amdhsa_user_sgpr_dispatch_ptr 0
		.amdhsa_user_sgpr_queue_ptr 0
		.amdhsa_user_sgpr_kernarg_segment_ptr 1
		.amdhsa_user_sgpr_dispatch_id 0
		.amdhsa_user_sgpr_flat_scratch_init 0
		.amdhsa_user_sgpr_private_segment_size 0
		.amdhsa_uses_dynamic_stack 0
		.amdhsa_system_sgpr_private_segment_wavefront_offset 0
		.amdhsa_system_sgpr_workgroup_id_x 1
		.amdhsa_system_sgpr_workgroup_id_y 0
		.amdhsa_system_sgpr_workgroup_id_z 0
		.amdhsa_system_sgpr_workgroup_info 0
		.amdhsa_system_vgpr_workitem_id 0
		.amdhsa_next_free_vgpr 1
		.amdhsa_next_free_sgpr 0
		.amdhsa_reserve_vcc 0
		.amdhsa_reserve_flat_scratch 0
		.amdhsa_float_round_mode_32 0
		.amdhsa_float_round_mode_16_64 0
		.amdhsa_float_denorm_mode_32 3
		.amdhsa_float_denorm_mode_16_64 3
		.amdhsa_dx10_clamp 1
		.amdhsa_ieee_mode 1
		.amdhsa_fp16_overflow 0
		.amdhsa_exception_fp_ieee_invalid_op 0
		.amdhsa_exception_fp_denorm_src 0
		.amdhsa_exception_fp_ieee_div_zero 0
		.amdhsa_exception_fp_ieee_overflow 0
		.amdhsa_exception_fp_ieee_underflow 0
		.amdhsa_exception_fp_ieee_inexact 0
		.amdhsa_exception_int_div_zero 0
	.end_amdhsa_kernel
	.section	.text._ZN7rocprim17ROCPRIM_400000_NS6detail17trampoline_kernelINS0_14default_configENS1_32segmented_reduce_config_selectorIdEEZNS1_21segmented_reduce_implIS3_PKdPdPKldN6hipcub16HIPCUB_304000_NS6detail27convert_result_type_wrapperIS8_S9_N2at6native12_GLOBAL__N_19CustomMaxEEEEE10hipError_tPvRmT0_T1_jT2_SQ_T4_T3_P12ihipStream_tbEUlT_E_NS1_11comp_targetILNS1_3genE4ELNS1_11target_archE910ELNS1_3gpuE8ELNS1_3repE0EEENS1_30default_config_static_selectorELNS0_4arch9wavefront6targetE1EEEvSP_,"axG",@progbits,_ZN7rocprim17ROCPRIM_400000_NS6detail17trampoline_kernelINS0_14default_configENS1_32segmented_reduce_config_selectorIdEEZNS1_21segmented_reduce_implIS3_PKdPdPKldN6hipcub16HIPCUB_304000_NS6detail27convert_result_type_wrapperIS8_S9_N2at6native12_GLOBAL__N_19CustomMaxEEEEE10hipError_tPvRmT0_T1_jT2_SQ_T4_T3_P12ihipStream_tbEUlT_E_NS1_11comp_targetILNS1_3genE4ELNS1_11target_archE910ELNS1_3gpuE8ELNS1_3repE0EEENS1_30default_config_static_selectorELNS0_4arch9wavefront6targetE1EEEvSP_,comdat
.Lfunc_end148:
	.size	_ZN7rocprim17ROCPRIM_400000_NS6detail17trampoline_kernelINS0_14default_configENS1_32segmented_reduce_config_selectorIdEEZNS1_21segmented_reduce_implIS3_PKdPdPKldN6hipcub16HIPCUB_304000_NS6detail27convert_result_type_wrapperIS8_S9_N2at6native12_GLOBAL__N_19CustomMaxEEEEE10hipError_tPvRmT0_T1_jT2_SQ_T4_T3_P12ihipStream_tbEUlT_E_NS1_11comp_targetILNS1_3genE4ELNS1_11target_archE910ELNS1_3gpuE8ELNS1_3repE0EEENS1_30default_config_static_selectorELNS0_4arch9wavefront6targetE1EEEvSP_, .Lfunc_end148-_ZN7rocprim17ROCPRIM_400000_NS6detail17trampoline_kernelINS0_14default_configENS1_32segmented_reduce_config_selectorIdEEZNS1_21segmented_reduce_implIS3_PKdPdPKldN6hipcub16HIPCUB_304000_NS6detail27convert_result_type_wrapperIS8_S9_N2at6native12_GLOBAL__N_19CustomMaxEEEEE10hipError_tPvRmT0_T1_jT2_SQ_T4_T3_P12ihipStream_tbEUlT_E_NS1_11comp_targetILNS1_3genE4ELNS1_11target_archE910ELNS1_3gpuE8ELNS1_3repE0EEENS1_30default_config_static_selectorELNS0_4arch9wavefront6targetE1EEEvSP_
                                        ; -- End function
	.set _ZN7rocprim17ROCPRIM_400000_NS6detail17trampoline_kernelINS0_14default_configENS1_32segmented_reduce_config_selectorIdEEZNS1_21segmented_reduce_implIS3_PKdPdPKldN6hipcub16HIPCUB_304000_NS6detail27convert_result_type_wrapperIS8_S9_N2at6native12_GLOBAL__N_19CustomMaxEEEEE10hipError_tPvRmT0_T1_jT2_SQ_T4_T3_P12ihipStream_tbEUlT_E_NS1_11comp_targetILNS1_3genE4ELNS1_11target_archE910ELNS1_3gpuE8ELNS1_3repE0EEENS1_30default_config_static_selectorELNS0_4arch9wavefront6targetE1EEEvSP_.num_vgpr, 0
	.set _ZN7rocprim17ROCPRIM_400000_NS6detail17trampoline_kernelINS0_14default_configENS1_32segmented_reduce_config_selectorIdEEZNS1_21segmented_reduce_implIS3_PKdPdPKldN6hipcub16HIPCUB_304000_NS6detail27convert_result_type_wrapperIS8_S9_N2at6native12_GLOBAL__N_19CustomMaxEEEEE10hipError_tPvRmT0_T1_jT2_SQ_T4_T3_P12ihipStream_tbEUlT_E_NS1_11comp_targetILNS1_3genE4ELNS1_11target_archE910ELNS1_3gpuE8ELNS1_3repE0EEENS1_30default_config_static_selectorELNS0_4arch9wavefront6targetE1EEEvSP_.num_agpr, 0
	.set _ZN7rocprim17ROCPRIM_400000_NS6detail17trampoline_kernelINS0_14default_configENS1_32segmented_reduce_config_selectorIdEEZNS1_21segmented_reduce_implIS3_PKdPdPKldN6hipcub16HIPCUB_304000_NS6detail27convert_result_type_wrapperIS8_S9_N2at6native12_GLOBAL__N_19CustomMaxEEEEE10hipError_tPvRmT0_T1_jT2_SQ_T4_T3_P12ihipStream_tbEUlT_E_NS1_11comp_targetILNS1_3genE4ELNS1_11target_archE910ELNS1_3gpuE8ELNS1_3repE0EEENS1_30default_config_static_selectorELNS0_4arch9wavefront6targetE1EEEvSP_.numbered_sgpr, 0
	.set _ZN7rocprim17ROCPRIM_400000_NS6detail17trampoline_kernelINS0_14default_configENS1_32segmented_reduce_config_selectorIdEEZNS1_21segmented_reduce_implIS3_PKdPdPKldN6hipcub16HIPCUB_304000_NS6detail27convert_result_type_wrapperIS8_S9_N2at6native12_GLOBAL__N_19CustomMaxEEEEE10hipError_tPvRmT0_T1_jT2_SQ_T4_T3_P12ihipStream_tbEUlT_E_NS1_11comp_targetILNS1_3genE4ELNS1_11target_archE910ELNS1_3gpuE8ELNS1_3repE0EEENS1_30default_config_static_selectorELNS0_4arch9wavefront6targetE1EEEvSP_.num_named_barrier, 0
	.set _ZN7rocprim17ROCPRIM_400000_NS6detail17trampoline_kernelINS0_14default_configENS1_32segmented_reduce_config_selectorIdEEZNS1_21segmented_reduce_implIS3_PKdPdPKldN6hipcub16HIPCUB_304000_NS6detail27convert_result_type_wrapperIS8_S9_N2at6native12_GLOBAL__N_19CustomMaxEEEEE10hipError_tPvRmT0_T1_jT2_SQ_T4_T3_P12ihipStream_tbEUlT_E_NS1_11comp_targetILNS1_3genE4ELNS1_11target_archE910ELNS1_3gpuE8ELNS1_3repE0EEENS1_30default_config_static_selectorELNS0_4arch9wavefront6targetE1EEEvSP_.private_seg_size, 0
	.set _ZN7rocprim17ROCPRIM_400000_NS6detail17trampoline_kernelINS0_14default_configENS1_32segmented_reduce_config_selectorIdEEZNS1_21segmented_reduce_implIS3_PKdPdPKldN6hipcub16HIPCUB_304000_NS6detail27convert_result_type_wrapperIS8_S9_N2at6native12_GLOBAL__N_19CustomMaxEEEEE10hipError_tPvRmT0_T1_jT2_SQ_T4_T3_P12ihipStream_tbEUlT_E_NS1_11comp_targetILNS1_3genE4ELNS1_11target_archE910ELNS1_3gpuE8ELNS1_3repE0EEENS1_30default_config_static_selectorELNS0_4arch9wavefront6targetE1EEEvSP_.uses_vcc, 0
	.set _ZN7rocprim17ROCPRIM_400000_NS6detail17trampoline_kernelINS0_14default_configENS1_32segmented_reduce_config_selectorIdEEZNS1_21segmented_reduce_implIS3_PKdPdPKldN6hipcub16HIPCUB_304000_NS6detail27convert_result_type_wrapperIS8_S9_N2at6native12_GLOBAL__N_19CustomMaxEEEEE10hipError_tPvRmT0_T1_jT2_SQ_T4_T3_P12ihipStream_tbEUlT_E_NS1_11comp_targetILNS1_3genE4ELNS1_11target_archE910ELNS1_3gpuE8ELNS1_3repE0EEENS1_30default_config_static_selectorELNS0_4arch9wavefront6targetE1EEEvSP_.uses_flat_scratch, 0
	.set _ZN7rocprim17ROCPRIM_400000_NS6detail17trampoline_kernelINS0_14default_configENS1_32segmented_reduce_config_selectorIdEEZNS1_21segmented_reduce_implIS3_PKdPdPKldN6hipcub16HIPCUB_304000_NS6detail27convert_result_type_wrapperIS8_S9_N2at6native12_GLOBAL__N_19CustomMaxEEEEE10hipError_tPvRmT0_T1_jT2_SQ_T4_T3_P12ihipStream_tbEUlT_E_NS1_11comp_targetILNS1_3genE4ELNS1_11target_archE910ELNS1_3gpuE8ELNS1_3repE0EEENS1_30default_config_static_selectorELNS0_4arch9wavefront6targetE1EEEvSP_.has_dyn_sized_stack, 0
	.set _ZN7rocprim17ROCPRIM_400000_NS6detail17trampoline_kernelINS0_14default_configENS1_32segmented_reduce_config_selectorIdEEZNS1_21segmented_reduce_implIS3_PKdPdPKldN6hipcub16HIPCUB_304000_NS6detail27convert_result_type_wrapperIS8_S9_N2at6native12_GLOBAL__N_19CustomMaxEEEEE10hipError_tPvRmT0_T1_jT2_SQ_T4_T3_P12ihipStream_tbEUlT_E_NS1_11comp_targetILNS1_3genE4ELNS1_11target_archE910ELNS1_3gpuE8ELNS1_3repE0EEENS1_30default_config_static_selectorELNS0_4arch9wavefront6targetE1EEEvSP_.has_recursion, 0
	.set _ZN7rocprim17ROCPRIM_400000_NS6detail17trampoline_kernelINS0_14default_configENS1_32segmented_reduce_config_selectorIdEEZNS1_21segmented_reduce_implIS3_PKdPdPKldN6hipcub16HIPCUB_304000_NS6detail27convert_result_type_wrapperIS8_S9_N2at6native12_GLOBAL__N_19CustomMaxEEEEE10hipError_tPvRmT0_T1_jT2_SQ_T4_T3_P12ihipStream_tbEUlT_E_NS1_11comp_targetILNS1_3genE4ELNS1_11target_archE910ELNS1_3gpuE8ELNS1_3repE0EEENS1_30default_config_static_selectorELNS0_4arch9wavefront6targetE1EEEvSP_.has_indirect_call, 0
	.section	.AMDGPU.csdata,"",@progbits
; Kernel info:
; codeLenInByte = 0
; TotalNumSgprs: 4
; NumVgprs: 0
; ScratchSize: 0
; MemoryBound: 0
; FloatMode: 240
; IeeeMode: 1
; LDSByteSize: 0 bytes/workgroup (compile time only)
; SGPRBlocks: 0
; VGPRBlocks: 0
; NumSGPRsForWavesPerEU: 4
; NumVGPRsForWavesPerEU: 1
; Occupancy: 10
; WaveLimiterHint : 0
; COMPUTE_PGM_RSRC2:SCRATCH_EN: 0
; COMPUTE_PGM_RSRC2:USER_SGPR: 6
; COMPUTE_PGM_RSRC2:TRAP_HANDLER: 0
; COMPUTE_PGM_RSRC2:TGID_X_EN: 1
; COMPUTE_PGM_RSRC2:TGID_Y_EN: 0
; COMPUTE_PGM_RSRC2:TGID_Z_EN: 0
; COMPUTE_PGM_RSRC2:TIDIG_COMP_CNT: 0
	.section	.text._ZN7rocprim17ROCPRIM_400000_NS6detail17trampoline_kernelINS0_14default_configENS1_32segmented_reduce_config_selectorIdEEZNS1_21segmented_reduce_implIS3_PKdPdPKldN6hipcub16HIPCUB_304000_NS6detail27convert_result_type_wrapperIS8_S9_N2at6native12_GLOBAL__N_19CustomMaxEEEEE10hipError_tPvRmT0_T1_jT2_SQ_T4_T3_P12ihipStream_tbEUlT_E_NS1_11comp_targetILNS1_3genE3ELNS1_11target_archE908ELNS1_3gpuE7ELNS1_3repE0EEENS1_30default_config_static_selectorELNS0_4arch9wavefront6targetE1EEEvSP_,"axG",@progbits,_ZN7rocprim17ROCPRIM_400000_NS6detail17trampoline_kernelINS0_14default_configENS1_32segmented_reduce_config_selectorIdEEZNS1_21segmented_reduce_implIS3_PKdPdPKldN6hipcub16HIPCUB_304000_NS6detail27convert_result_type_wrapperIS8_S9_N2at6native12_GLOBAL__N_19CustomMaxEEEEE10hipError_tPvRmT0_T1_jT2_SQ_T4_T3_P12ihipStream_tbEUlT_E_NS1_11comp_targetILNS1_3genE3ELNS1_11target_archE908ELNS1_3gpuE7ELNS1_3repE0EEENS1_30default_config_static_selectorELNS0_4arch9wavefront6targetE1EEEvSP_,comdat
	.globl	_ZN7rocprim17ROCPRIM_400000_NS6detail17trampoline_kernelINS0_14default_configENS1_32segmented_reduce_config_selectorIdEEZNS1_21segmented_reduce_implIS3_PKdPdPKldN6hipcub16HIPCUB_304000_NS6detail27convert_result_type_wrapperIS8_S9_N2at6native12_GLOBAL__N_19CustomMaxEEEEE10hipError_tPvRmT0_T1_jT2_SQ_T4_T3_P12ihipStream_tbEUlT_E_NS1_11comp_targetILNS1_3genE3ELNS1_11target_archE908ELNS1_3gpuE7ELNS1_3repE0EEENS1_30default_config_static_selectorELNS0_4arch9wavefront6targetE1EEEvSP_ ; -- Begin function _ZN7rocprim17ROCPRIM_400000_NS6detail17trampoline_kernelINS0_14default_configENS1_32segmented_reduce_config_selectorIdEEZNS1_21segmented_reduce_implIS3_PKdPdPKldN6hipcub16HIPCUB_304000_NS6detail27convert_result_type_wrapperIS8_S9_N2at6native12_GLOBAL__N_19CustomMaxEEEEE10hipError_tPvRmT0_T1_jT2_SQ_T4_T3_P12ihipStream_tbEUlT_E_NS1_11comp_targetILNS1_3genE3ELNS1_11target_archE908ELNS1_3gpuE7ELNS1_3repE0EEENS1_30default_config_static_selectorELNS0_4arch9wavefront6targetE1EEEvSP_
	.p2align	8
	.type	_ZN7rocprim17ROCPRIM_400000_NS6detail17trampoline_kernelINS0_14default_configENS1_32segmented_reduce_config_selectorIdEEZNS1_21segmented_reduce_implIS3_PKdPdPKldN6hipcub16HIPCUB_304000_NS6detail27convert_result_type_wrapperIS8_S9_N2at6native12_GLOBAL__N_19CustomMaxEEEEE10hipError_tPvRmT0_T1_jT2_SQ_T4_T3_P12ihipStream_tbEUlT_E_NS1_11comp_targetILNS1_3genE3ELNS1_11target_archE908ELNS1_3gpuE7ELNS1_3repE0EEENS1_30default_config_static_selectorELNS0_4arch9wavefront6targetE1EEEvSP_,@function
_ZN7rocprim17ROCPRIM_400000_NS6detail17trampoline_kernelINS0_14default_configENS1_32segmented_reduce_config_selectorIdEEZNS1_21segmented_reduce_implIS3_PKdPdPKldN6hipcub16HIPCUB_304000_NS6detail27convert_result_type_wrapperIS8_S9_N2at6native12_GLOBAL__N_19CustomMaxEEEEE10hipError_tPvRmT0_T1_jT2_SQ_T4_T3_P12ihipStream_tbEUlT_E_NS1_11comp_targetILNS1_3genE3ELNS1_11target_archE908ELNS1_3gpuE7ELNS1_3repE0EEENS1_30default_config_static_selectorELNS0_4arch9wavefront6targetE1EEEvSP_: ; @_ZN7rocprim17ROCPRIM_400000_NS6detail17trampoline_kernelINS0_14default_configENS1_32segmented_reduce_config_selectorIdEEZNS1_21segmented_reduce_implIS3_PKdPdPKldN6hipcub16HIPCUB_304000_NS6detail27convert_result_type_wrapperIS8_S9_N2at6native12_GLOBAL__N_19CustomMaxEEEEE10hipError_tPvRmT0_T1_jT2_SQ_T4_T3_P12ihipStream_tbEUlT_E_NS1_11comp_targetILNS1_3genE3ELNS1_11target_archE908ELNS1_3gpuE7ELNS1_3repE0EEENS1_30default_config_static_selectorELNS0_4arch9wavefront6targetE1EEEvSP_
; %bb.0:
	.section	.rodata,"a",@progbits
	.p2align	6, 0x0
	.amdhsa_kernel _ZN7rocprim17ROCPRIM_400000_NS6detail17trampoline_kernelINS0_14default_configENS1_32segmented_reduce_config_selectorIdEEZNS1_21segmented_reduce_implIS3_PKdPdPKldN6hipcub16HIPCUB_304000_NS6detail27convert_result_type_wrapperIS8_S9_N2at6native12_GLOBAL__N_19CustomMaxEEEEE10hipError_tPvRmT0_T1_jT2_SQ_T4_T3_P12ihipStream_tbEUlT_E_NS1_11comp_targetILNS1_3genE3ELNS1_11target_archE908ELNS1_3gpuE7ELNS1_3repE0EEENS1_30default_config_static_selectorELNS0_4arch9wavefront6targetE1EEEvSP_
		.amdhsa_group_segment_fixed_size 0
		.amdhsa_private_segment_fixed_size 0
		.amdhsa_kernarg_size 56
		.amdhsa_user_sgpr_count 6
		.amdhsa_user_sgpr_private_segment_buffer 1
		.amdhsa_user_sgpr_dispatch_ptr 0
		.amdhsa_user_sgpr_queue_ptr 0
		.amdhsa_user_sgpr_kernarg_segment_ptr 1
		.amdhsa_user_sgpr_dispatch_id 0
		.amdhsa_user_sgpr_flat_scratch_init 0
		.amdhsa_user_sgpr_private_segment_size 0
		.amdhsa_uses_dynamic_stack 0
		.amdhsa_system_sgpr_private_segment_wavefront_offset 0
		.amdhsa_system_sgpr_workgroup_id_x 1
		.amdhsa_system_sgpr_workgroup_id_y 0
		.amdhsa_system_sgpr_workgroup_id_z 0
		.amdhsa_system_sgpr_workgroup_info 0
		.amdhsa_system_vgpr_workitem_id 0
		.amdhsa_next_free_vgpr 1
		.amdhsa_next_free_sgpr 0
		.amdhsa_reserve_vcc 0
		.amdhsa_reserve_flat_scratch 0
		.amdhsa_float_round_mode_32 0
		.amdhsa_float_round_mode_16_64 0
		.amdhsa_float_denorm_mode_32 3
		.amdhsa_float_denorm_mode_16_64 3
		.amdhsa_dx10_clamp 1
		.amdhsa_ieee_mode 1
		.amdhsa_fp16_overflow 0
		.amdhsa_exception_fp_ieee_invalid_op 0
		.amdhsa_exception_fp_denorm_src 0
		.amdhsa_exception_fp_ieee_div_zero 0
		.amdhsa_exception_fp_ieee_overflow 0
		.amdhsa_exception_fp_ieee_underflow 0
		.amdhsa_exception_fp_ieee_inexact 0
		.amdhsa_exception_int_div_zero 0
	.end_amdhsa_kernel
	.section	.text._ZN7rocprim17ROCPRIM_400000_NS6detail17trampoline_kernelINS0_14default_configENS1_32segmented_reduce_config_selectorIdEEZNS1_21segmented_reduce_implIS3_PKdPdPKldN6hipcub16HIPCUB_304000_NS6detail27convert_result_type_wrapperIS8_S9_N2at6native12_GLOBAL__N_19CustomMaxEEEEE10hipError_tPvRmT0_T1_jT2_SQ_T4_T3_P12ihipStream_tbEUlT_E_NS1_11comp_targetILNS1_3genE3ELNS1_11target_archE908ELNS1_3gpuE7ELNS1_3repE0EEENS1_30default_config_static_selectorELNS0_4arch9wavefront6targetE1EEEvSP_,"axG",@progbits,_ZN7rocprim17ROCPRIM_400000_NS6detail17trampoline_kernelINS0_14default_configENS1_32segmented_reduce_config_selectorIdEEZNS1_21segmented_reduce_implIS3_PKdPdPKldN6hipcub16HIPCUB_304000_NS6detail27convert_result_type_wrapperIS8_S9_N2at6native12_GLOBAL__N_19CustomMaxEEEEE10hipError_tPvRmT0_T1_jT2_SQ_T4_T3_P12ihipStream_tbEUlT_E_NS1_11comp_targetILNS1_3genE3ELNS1_11target_archE908ELNS1_3gpuE7ELNS1_3repE0EEENS1_30default_config_static_selectorELNS0_4arch9wavefront6targetE1EEEvSP_,comdat
.Lfunc_end149:
	.size	_ZN7rocprim17ROCPRIM_400000_NS6detail17trampoline_kernelINS0_14default_configENS1_32segmented_reduce_config_selectorIdEEZNS1_21segmented_reduce_implIS3_PKdPdPKldN6hipcub16HIPCUB_304000_NS6detail27convert_result_type_wrapperIS8_S9_N2at6native12_GLOBAL__N_19CustomMaxEEEEE10hipError_tPvRmT0_T1_jT2_SQ_T4_T3_P12ihipStream_tbEUlT_E_NS1_11comp_targetILNS1_3genE3ELNS1_11target_archE908ELNS1_3gpuE7ELNS1_3repE0EEENS1_30default_config_static_selectorELNS0_4arch9wavefront6targetE1EEEvSP_, .Lfunc_end149-_ZN7rocprim17ROCPRIM_400000_NS6detail17trampoline_kernelINS0_14default_configENS1_32segmented_reduce_config_selectorIdEEZNS1_21segmented_reduce_implIS3_PKdPdPKldN6hipcub16HIPCUB_304000_NS6detail27convert_result_type_wrapperIS8_S9_N2at6native12_GLOBAL__N_19CustomMaxEEEEE10hipError_tPvRmT0_T1_jT2_SQ_T4_T3_P12ihipStream_tbEUlT_E_NS1_11comp_targetILNS1_3genE3ELNS1_11target_archE908ELNS1_3gpuE7ELNS1_3repE0EEENS1_30default_config_static_selectorELNS0_4arch9wavefront6targetE1EEEvSP_
                                        ; -- End function
	.set _ZN7rocprim17ROCPRIM_400000_NS6detail17trampoline_kernelINS0_14default_configENS1_32segmented_reduce_config_selectorIdEEZNS1_21segmented_reduce_implIS3_PKdPdPKldN6hipcub16HIPCUB_304000_NS6detail27convert_result_type_wrapperIS8_S9_N2at6native12_GLOBAL__N_19CustomMaxEEEEE10hipError_tPvRmT0_T1_jT2_SQ_T4_T3_P12ihipStream_tbEUlT_E_NS1_11comp_targetILNS1_3genE3ELNS1_11target_archE908ELNS1_3gpuE7ELNS1_3repE0EEENS1_30default_config_static_selectorELNS0_4arch9wavefront6targetE1EEEvSP_.num_vgpr, 0
	.set _ZN7rocprim17ROCPRIM_400000_NS6detail17trampoline_kernelINS0_14default_configENS1_32segmented_reduce_config_selectorIdEEZNS1_21segmented_reduce_implIS3_PKdPdPKldN6hipcub16HIPCUB_304000_NS6detail27convert_result_type_wrapperIS8_S9_N2at6native12_GLOBAL__N_19CustomMaxEEEEE10hipError_tPvRmT0_T1_jT2_SQ_T4_T3_P12ihipStream_tbEUlT_E_NS1_11comp_targetILNS1_3genE3ELNS1_11target_archE908ELNS1_3gpuE7ELNS1_3repE0EEENS1_30default_config_static_selectorELNS0_4arch9wavefront6targetE1EEEvSP_.num_agpr, 0
	.set _ZN7rocprim17ROCPRIM_400000_NS6detail17trampoline_kernelINS0_14default_configENS1_32segmented_reduce_config_selectorIdEEZNS1_21segmented_reduce_implIS3_PKdPdPKldN6hipcub16HIPCUB_304000_NS6detail27convert_result_type_wrapperIS8_S9_N2at6native12_GLOBAL__N_19CustomMaxEEEEE10hipError_tPvRmT0_T1_jT2_SQ_T4_T3_P12ihipStream_tbEUlT_E_NS1_11comp_targetILNS1_3genE3ELNS1_11target_archE908ELNS1_3gpuE7ELNS1_3repE0EEENS1_30default_config_static_selectorELNS0_4arch9wavefront6targetE1EEEvSP_.numbered_sgpr, 0
	.set _ZN7rocprim17ROCPRIM_400000_NS6detail17trampoline_kernelINS0_14default_configENS1_32segmented_reduce_config_selectorIdEEZNS1_21segmented_reduce_implIS3_PKdPdPKldN6hipcub16HIPCUB_304000_NS6detail27convert_result_type_wrapperIS8_S9_N2at6native12_GLOBAL__N_19CustomMaxEEEEE10hipError_tPvRmT0_T1_jT2_SQ_T4_T3_P12ihipStream_tbEUlT_E_NS1_11comp_targetILNS1_3genE3ELNS1_11target_archE908ELNS1_3gpuE7ELNS1_3repE0EEENS1_30default_config_static_selectorELNS0_4arch9wavefront6targetE1EEEvSP_.num_named_barrier, 0
	.set _ZN7rocprim17ROCPRIM_400000_NS6detail17trampoline_kernelINS0_14default_configENS1_32segmented_reduce_config_selectorIdEEZNS1_21segmented_reduce_implIS3_PKdPdPKldN6hipcub16HIPCUB_304000_NS6detail27convert_result_type_wrapperIS8_S9_N2at6native12_GLOBAL__N_19CustomMaxEEEEE10hipError_tPvRmT0_T1_jT2_SQ_T4_T3_P12ihipStream_tbEUlT_E_NS1_11comp_targetILNS1_3genE3ELNS1_11target_archE908ELNS1_3gpuE7ELNS1_3repE0EEENS1_30default_config_static_selectorELNS0_4arch9wavefront6targetE1EEEvSP_.private_seg_size, 0
	.set _ZN7rocprim17ROCPRIM_400000_NS6detail17trampoline_kernelINS0_14default_configENS1_32segmented_reduce_config_selectorIdEEZNS1_21segmented_reduce_implIS3_PKdPdPKldN6hipcub16HIPCUB_304000_NS6detail27convert_result_type_wrapperIS8_S9_N2at6native12_GLOBAL__N_19CustomMaxEEEEE10hipError_tPvRmT0_T1_jT2_SQ_T4_T3_P12ihipStream_tbEUlT_E_NS1_11comp_targetILNS1_3genE3ELNS1_11target_archE908ELNS1_3gpuE7ELNS1_3repE0EEENS1_30default_config_static_selectorELNS0_4arch9wavefront6targetE1EEEvSP_.uses_vcc, 0
	.set _ZN7rocprim17ROCPRIM_400000_NS6detail17trampoline_kernelINS0_14default_configENS1_32segmented_reduce_config_selectorIdEEZNS1_21segmented_reduce_implIS3_PKdPdPKldN6hipcub16HIPCUB_304000_NS6detail27convert_result_type_wrapperIS8_S9_N2at6native12_GLOBAL__N_19CustomMaxEEEEE10hipError_tPvRmT0_T1_jT2_SQ_T4_T3_P12ihipStream_tbEUlT_E_NS1_11comp_targetILNS1_3genE3ELNS1_11target_archE908ELNS1_3gpuE7ELNS1_3repE0EEENS1_30default_config_static_selectorELNS0_4arch9wavefront6targetE1EEEvSP_.uses_flat_scratch, 0
	.set _ZN7rocprim17ROCPRIM_400000_NS6detail17trampoline_kernelINS0_14default_configENS1_32segmented_reduce_config_selectorIdEEZNS1_21segmented_reduce_implIS3_PKdPdPKldN6hipcub16HIPCUB_304000_NS6detail27convert_result_type_wrapperIS8_S9_N2at6native12_GLOBAL__N_19CustomMaxEEEEE10hipError_tPvRmT0_T1_jT2_SQ_T4_T3_P12ihipStream_tbEUlT_E_NS1_11comp_targetILNS1_3genE3ELNS1_11target_archE908ELNS1_3gpuE7ELNS1_3repE0EEENS1_30default_config_static_selectorELNS0_4arch9wavefront6targetE1EEEvSP_.has_dyn_sized_stack, 0
	.set _ZN7rocprim17ROCPRIM_400000_NS6detail17trampoline_kernelINS0_14default_configENS1_32segmented_reduce_config_selectorIdEEZNS1_21segmented_reduce_implIS3_PKdPdPKldN6hipcub16HIPCUB_304000_NS6detail27convert_result_type_wrapperIS8_S9_N2at6native12_GLOBAL__N_19CustomMaxEEEEE10hipError_tPvRmT0_T1_jT2_SQ_T4_T3_P12ihipStream_tbEUlT_E_NS1_11comp_targetILNS1_3genE3ELNS1_11target_archE908ELNS1_3gpuE7ELNS1_3repE0EEENS1_30default_config_static_selectorELNS0_4arch9wavefront6targetE1EEEvSP_.has_recursion, 0
	.set _ZN7rocprim17ROCPRIM_400000_NS6detail17trampoline_kernelINS0_14default_configENS1_32segmented_reduce_config_selectorIdEEZNS1_21segmented_reduce_implIS3_PKdPdPKldN6hipcub16HIPCUB_304000_NS6detail27convert_result_type_wrapperIS8_S9_N2at6native12_GLOBAL__N_19CustomMaxEEEEE10hipError_tPvRmT0_T1_jT2_SQ_T4_T3_P12ihipStream_tbEUlT_E_NS1_11comp_targetILNS1_3genE3ELNS1_11target_archE908ELNS1_3gpuE7ELNS1_3repE0EEENS1_30default_config_static_selectorELNS0_4arch9wavefront6targetE1EEEvSP_.has_indirect_call, 0
	.section	.AMDGPU.csdata,"",@progbits
; Kernel info:
; codeLenInByte = 0
; TotalNumSgprs: 4
; NumVgprs: 0
; ScratchSize: 0
; MemoryBound: 0
; FloatMode: 240
; IeeeMode: 1
; LDSByteSize: 0 bytes/workgroup (compile time only)
; SGPRBlocks: 0
; VGPRBlocks: 0
; NumSGPRsForWavesPerEU: 4
; NumVGPRsForWavesPerEU: 1
; Occupancy: 10
; WaveLimiterHint : 0
; COMPUTE_PGM_RSRC2:SCRATCH_EN: 0
; COMPUTE_PGM_RSRC2:USER_SGPR: 6
; COMPUTE_PGM_RSRC2:TRAP_HANDLER: 0
; COMPUTE_PGM_RSRC2:TGID_X_EN: 1
; COMPUTE_PGM_RSRC2:TGID_Y_EN: 0
; COMPUTE_PGM_RSRC2:TGID_Z_EN: 0
; COMPUTE_PGM_RSRC2:TIDIG_COMP_CNT: 0
	.section	.text._ZN7rocprim17ROCPRIM_400000_NS6detail17trampoline_kernelINS0_14default_configENS1_32segmented_reduce_config_selectorIdEEZNS1_21segmented_reduce_implIS3_PKdPdPKldN6hipcub16HIPCUB_304000_NS6detail27convert_result_type_wrapperIS8_S9_N2at6native12_GLOBAL__N_19CustomMaxEEEEE10hipError_tPvRmT0_T1_jT2_SQ_T4_T3_P12ihipStream_tbEUlT_E_NS1_11comp_targetILNS1_3genE2ELNS1_11target_archE906ELNS1_3gpuE6ELNS1_3repE0EEENS1_30default_config_static_selectorELNS0_4arch9wavefront6targetE1EEEvSP_,"axG",@progbits,_ZN7rocprim17ROCPRIM_400000_NS6detail17trampoline_kernelINS0_14default_configENS1_32segmented_reduce_config_selectorIdEEZNS1_21segmented_reduce_implIS3_PKdPdPKldN6hipcub16HIPCUB_304000_NS6detail27convert_result_type_wrapperIS8_S9_N2at6native12_GLOBAL__N_19CustomMaxEEEEE10hipError_tPvRmT0_T1_jT2_SQ_T4_T3_P12ihipStream_tbEUlT_E_NS1_11comp_targetILNS1_3genE2ELNS1_11target_archE906ELNS1_3gpuE6ELNS1_3repE0EEENS1_30default_config_static_selectorELNS0_4arch9wavefront6targetE1EEEvSP_,comdat
	.globl	_ZN7rocprim17ROCPRIM_400000_NS6detail17trampoline_kernelINS0_14default_configENS1_32segmented_reduce_config_selectorIdEEZNS1_21segmented_reduce_implIS3_PKdPdPKldN6hipcub16HIPCUB_304000_NS6detail27convert_result_type_wrapperIS8_S9_N2at6native12_GLOBAL__N_19CustomMaxEEEEE10hipError_tPvRmT0_T1_jT2_SQ_T4_T3_P12ihipStream_tbEUlT_E_NS1_11comp_targetILNS1_3genE2ELNS1_11target_archE906ELNS1_3gpuE6ELNS1_3repE0EEENS1_30default_config_static_selectorELNS0_4arch9wavefront6targetE1EEEvSP_ ; -- Begin function _ZN7rocprim17ROCPRIM_400000_NS6detail17trampoline_kernelINS0_14default_configENS1_32segmented_reduce_config_selectorIdEEZNS1_21segmented_reduce_implIS3_PKdPdPKldN6hipcub16HIPCUB_304000_NS6detail27convert_result_type_wrapperIS8_S9_N2at6native12_GLOBAL__N_19CustomMaxEEEEE10hipError_tPvRmT0_T1_jT2_SQ_T4_T3_P12ihipStream_tbEUlT_E_NS1_11comp_targetILNS1_3genE2ELNS1_11target_archE906ELNS1_3gpuE6ELNS1_3repE0EEENS1_30default_config_static_selectorELNS0_4arch9wavefront6targetE1EEEvSP_
	.p2align	8
	.type	_ZN7rocprim17ROCPRIM_400000_NS6detail17trampoline_kernelINS0_14default_configENS1_32segmented_reduce_config_selectorIdEEZNS1_21segmented_reduce_implIS3_PKdPdPKldN6hipcub16HIPCUB_304000_NS6detail27convert_result_type_wrapperIS8_S9_N2at6native12_GLOBAL__N_19CustomMaxEEEEE10hipError_tPvRmT0_T1_jT2_SQ_T4_T3_P12ihipStream_tbEUlT_E_NS1_11comp_targetILNS1_3genE2ELNS1_11target_archE906ELNS1_3gpuE6ELNS1_3repE0EEENS1_30default_config_static_selectorELNS0_4arch9wavefront6targetE1EEEvSP_,@function
_ZN7rocprim17ROCPRIM_400000_NS6detail17trampoline_kernelINS0_14default_configENS1_32segmented_reduce_config_selectorIdEEZNS1_21segmented_reduce_implIS3_PKdPdPKldN6hipcub16HIPCUB_304000_NS6detail27convert_result_type_wrapperIS8_S9_N2at6native12_GLOBAL__N_19CustomMaxEEEEE10hipError_tPvRmT0_T1_jT2_SQ_T4_T3_P12ihipStream_tbEUlT_E_NS1_11comp_targetILNS1_3genE2ELNS1_11target_archE906ELNS1_3gpuE6ELNS1_3repE0EEENS1_30default_config_static_selectorELNS0_4arch9wavefront6targetE1EEEvSP_: ; @_ZN7rocprim17ROCPRIM_400000_NS6detail17trampoline_kernelINS0_14default_configENS1_32segmented_reduce_config_selectorIdEEZNS1_21segmented_reduce_implIS3_PKdPdPKldN6hipcub16HIPCUB_304000_NS6detail27convert_result_type_wrapperIS8_S9_N2at6native12_GLOBAL__N_19CustomMaxEEEEE10hipError_tPvRmT0_T1_jT2_SQ_T4_T3_P12ihipStream_tbEUlT_E_NS1_11comp_targetILNS1_3genE2ELNS1_11target_archE906ELNS1_3gpuE6ELNS1_3repE0EEENS1_30default_config_static_selectorELNS0_4arch9wavefront6targetE1EEEvSP_
; %bb.0:
	s_load_dwordx8 s[8:15], s[4:5], 0x0
	s_load_dwordx2 s[0:1], s[4:5], 0x20
	s_load_dwordx2 s[16:17], s[4:5], 0x30
	s_mov_b32 s7, 0
	s_waitcnt lgkmcnt(0)
	s_lshl_b64 s[2:3], s[12:13], 3
	s_add_u32 s12, s14, s2
	s_addc_u32 s13, s15, s3
	s_add_u32 s18, s0, s2
	s_addc_u32 s19, s1, s3
	s_lshl_b64 s[4:5], s[6:7], 3
	s_add_u32 s0, s12, s4
	s_addc_u32 s1, s13, s5
	s_load_dwordx2 s[14:15], s[0:1], 0x0
	s_add_u32 s0, s18, s4
	s_addc_u32 s1, s19, s5
	s_load_dwordx2 s[12:13], s[0:1], 0x0
	v_cmp_eq_u32_e64 s[0:1], 0, v0
	s_waitcnt lgkmcnt(0)
	v_mov_b32_e32 v1, s14
	v_mov_b32_e32 v2, s15
	v_cmp_gt_i64_e32 vcc, s[12:13], v[1:2]
	s_cbranch_vccnz .LBB150_3
; %bb.1:
	s_and_b64 s[6:7], s[0:1], exec
	s_cbranch_execz .LBB150_4
; %bb.2:
	v_mov_b32_e32 v3, s16
	v_mov_b32_e32 v4, s17
	s_and_saveexec_b64 s[0:1], s[6:7]
	s_cbranch_execnz .LBB150_261
	s_branch .LBB150_262
.LBB150_3:
	s_mov_b64 s[6:7], 0
.LBB150_4:
	s_add_u32 s0, s14, 0x800
	v_mov_b32_e32 v1, s12
	s_addc_u32 s1, s15, 0
	v_mov_b32_e32 v2, s13
	v_cmp_le_i64_e32 vcc, s[0:1], v[1:2]
	s_cbranch_vccz .LBB150_12
; %bb.5:
	s_lshl_b64 s[18:19], s[14:15], 3
	s_add_u32 s20, s8, s18
	s_addc_u32 s21, s9, s19
	v_lshlrev_b32_e32 v23, 3, v0
	v_mov_b32_e32 v1, s21
	v_add_co_u32_e32 v3, vcc, s20, v23
	v_addc_co_u32_e32 v4, vcc, 0, v1, vcc
	v_add_co_u32_e32 v1, vcc, 0x1000, v3
	v_addc_co_u32_e32 v2, vcc, 0, v4, vcc
	global_load_dwordx2 v[17:18], v23, s[20:21]
	global_load_dwordx2 v[15:16], v23, s[20:21] offset:2048
	global_load_dwordx2 v[13:14], v[1:2], off
	global_load_dwordx2 v[11:12], v[1:2], off offset:2048
	v_add_co_u32_e32 v9, vcc, 0x2000, v3
	v_addc_co_u32_e32 v10, vcc, 0, v4, vcc
	v_add_co_u32_e32 v19, vcc, 0x3000, v3
	v_addc_co_u32_e32 v20, vcc, 0, v4, vcc
	global_load_dwordx2 v[7:8], v[9:10], off
	global_load_dwordx2 v[5:6], v[9:10], off offset:2048
	global_load_dwordx2 v[3:4], v[19:20], off
	global_load_dwordx2 v[1:2], v[19:20], off offset:2048
	s_waitcnt vmcnt(7)
	v_cmp_o_f64_e32 vcc, v[17:18], v[17:18]
	v_mov_b32_e32 v9, v17
	v_mov_b32_e32 v10, v18
	s_and_saveexec_b64 s[20:21], vcc
	s_cbranch_execnz .LBB150_13
; %bb.6:
	s_or_b64 exec, exec, s[20:21]
	v_cmp_o_f64_e32 vcc, v[9:10], v[9:10]
	s_and_saveexec_b64 s[20:21], vcc
	s_cbranch_execnz .LBB150_16
.LBB150_7:
	s_or_b64 exec, exec, s[20:21]
	v_cmp_o_f64_e32 vcc, v[9:10], v[9:10]
	s_and_saveexec_b64 s[20:21], vcc
	s_cbranch_execnz .LBB150_19
.LBB150_8:
	s_or_b64 exec, exec, s[20:21]
	v_cmp_o_f64_e32 vcc, v[9:10], v[9:10]
	s_and_saveexec_b64 s[20:21], vcc
	s_cbranch_execnz .LBB150_22
.LBB150_9:
	s_or_b64 exec, exec, s[20:21]
	v_cmp_o_f64_e32 vcc, v[9:10], v[9:10]
	s_and_saveexec_b64 s[20:21], vcc
	s_cbranch_execnz .LBB150_25
.LBB150_10:
	s_or_b64 exec, exec, s[20:21]
	v_cmp_o_f64_e32 vcc, v[9:10], v[9:10]
	s_and_saveexec_b64 s[20:21], vcc
	s_cbranch_execnz .LBB150_28
.LBB150_11:
	s_or_b64 exec, exec, s[20:21]
	v_cmp_o_f64_e32 vcc, v[9:10], v[9:10]
	s_and_saveexec_b64 s[20:21], vcc
	s_cbranch_execnz .LBB150_31
	s_branch .LBB150_34
.LBB150_12:
                                        ; implicit-def: $vgpr1_vgpr2
	s_cbranch_execnz .LBB150_156
	s_branch .LBB150_254
.LBB150_13:
	s_waitcnt vmcnt(6)
	v_cmp_o_f64_e32 vcc, v[15:16], v[15:16]
	v_mov_b32_e32 v9, v15
	v_mov_b32_e32 v10, v16
	s_and_saveexec_b64 s[22:23], vcc
	s_cbranch_execz .LBB150_15
; %bb.14:
	v_cmp_lt_f64_e32 vcc, v[17:18], v[15:16]
	v_cndmask_b32_e32 v10, v18, v16, vcc
	v_cndmask_b32_e32 v9, v17, v15, vcc
.LBB150_15:
	s_or_b64 exec, exec, s[22:23]
	s_or_b64 exec, exec, s[20:21]
	v_cmp_o_f64_e32 vcc, v[9:10], v[9:10]
	s_and_saveexec_b64 s[20:21], vcc
	s_cbranch_execz .LBB150_7
.LBB150_16:
	s_waitcnt vmcnt(5)
	v_cmp_o_f64_e32 vcc, v[13:14], v[13:14]
	v_mov_b32_e32 v20, v14
	v_mov_b32_e32 v19, v13
	s_and_saveexec_b64 s[22:23], vcc
	s_cbranch_execz .LBB150_18
; %bb.17:
	v_cmp_lt_f64_e32 vcc, v[9:10], v[13:14]
	v_cndmask_b32_e32 v20, v10, v14, vcc
	v_cndmask_b32_e32 v19, v9, v13, vcc
.LBB150_18:
	s_or_b64 exec, exec, s[22:23]
	v_mov_b32_e32 v9, v19
	v_mov_b32_e32 v10, v20
	s_or_b64 exec, exec, s[20:21]
	v_cmp_o_f64_e32 vcc, v[9:10], v[9:10]
	s_and_saveexec_b64 s[20:21], vcc
	s_cbranch_execz .LBB150_8
.LBB150_19:
	s_waitcnt vmcnt(4)
	v_cmp_o_f64_e32 vcc, v[11:12], v[11:12]
	v_mov_b32_e32 v20, v12
	v_mov_b32_e32 v19, v11
	s_and_saveexec_b64 s[22:23], vcc
	s_cbranch_execz .LBB150_21
; %bb.20:
	v_cmp_lt_f64_e32 vcc, v[9:10], v[11:12]
	v_cndmask_b32_e32 v20, v10, v12, vcc
	v_cndmask_b32_e32 v19, v9, v11, vcc
.LBB150_21:
	s_or_b64 exec, exec, s[22:23]
	v_mov_b32_e32 v9, v19
	v_mov_b32_e32 v10, v20
	s_or_b64 exec, exec, s[20:21]
	v_cmp_o_f64_e32 vcc, v[9:10], v[9:10]
	s_and_saveexec_b64 s[20:21], vcc
	s_cbranch_execz .LBB150_9
.LBB150_22:
	s_waitcnt vmcnt(3)
	v_cmp_o_f64_e32 vcc, v[7:8], v[7:8]
	v_mov_b32_e32 v20, v8
	v_mov_b32_e32 v19, v7
	s_and_saveexec_b64 s[22:23], vcc
	s_cbranch_execz .LBB150_24
; %bb.23:
	v_cmp_lt_f64_e32 vcc, v[9:10], v[7:8]
	v_cndmask_b32_e32 v20, v10, v8, vcc
	v_cndmask_b32_e32 v19, v9, v7, vcc
.LBB150_24:
	s_or_b64 exec, exec, s[22:23]
	v_mov_b32_e32 v9, v19
	v_mov_b32_e32 v10, v20
	s_or_b64 exec, exec, s[20:21]
	v_cmp_o_f64_e32 vcc, v[9:10], v[9:10]
	s_and_saveexec_b64 s[20:21], vcc
	s_cbranch_execz .LBB150_10
.LBB150_25:
	s_waitcnt vmcnt(2)
	v_cmp_o_f64_e32 vcc, v[5:6], v[5:6]
	v_mov_b32_e32 v20, v6
	v_mov_b32_e32 v19, v5
	s_and_saveexec_b64 s[22:23], vcc
	s_cbranch_execz .LBB150_27
; %bb.26:
	v_cmp_lt_f64_e32 vcc, v[9:10], v[5:6]
	v_cndmask_b32_e32 v20, v10, v6, vcc
	v_cndmask_b32_e32 v19, v9, v5, vcc
.LBB150_27:
	s_or_b64 exec, exec, s[22:23]
	v_mov_b32_e32 v9, v19
	v_mov_b32_e32 v10, v20
	s_or_b64 exec, exec, s[20:21]
	v_cmp_o_f64_e32 vcc, v[9:10], v[9:10]
	s_and_saveexec_b64 s[20:21], vcc
	s_cbranch_execz .LBB150_11
.LBB150_28:
	s_waitcnt vmcnt(1)
	v_cmp_o_f64_e32 vcc, v[3:4], v[3:4]
	v_mov_b32_e32 v20, v4
	v_mov_b32_e32 v19, v3
	s_and_saveexec_b64 s[22:23], vcc
	s_cbranch_execz .LBB150_30
; %bb.29:
	v_cmp_lt_f64_e32 vcc, v[9:10], v[3:4]
	v_cndmask_b32_e32 v20, v10, v4, vcc
	v_cndmask_b32_e32 v19, v9, v3, vcc
.LBB150_30:
	s_or_b64 exec, exec, s[22:23]
	v_mov_b32_e32 v9, v19
	v_mov_b32_e32 v10, v20
	s_or_b64 exec, exec, s[20:21]
	v_cmp_o_f64_e32 vcc, v[9:10], v[9:10]
	s_and_saveexec_b64 s[20:21], vcc
	s_cbranch_execz .LBB150_34
.LBB150_31:
	s_waitcnt vmcnt(0)
	v_cmp_o_f64_e32 vcc, v[1:2], v[1:2]
	v_mov_b32_e32 v20, v2
	v_mov_b32_e32 v19, v1
	s_and_saveexec_b64 s[22:23], vcc
	s_cbranch_execz .LBB150_33
; %bb.32:
	v_cmp_lt_f64_e32 vcc, v[9:10], v[1:2]
	v_cndmask_b32_e32 v20, v10, v2, vcc
	v_cndmask_b32_e32 v19, v9, v1, vcc
.LBB150_33:
	s_or_b64 exec, exec, s[22:23]
	v_mov_b32_e32 v9, v19
	v_mov_b32_e32 v10, v20
.LBB150_34:
	s_or_b64 exec, exec, s[20:21]
	s_add_u32 s20, s14, 0x1000
	v_mov_b32_e32 v20, s13
	s_addc_u32 s21, s15, 0
	v_mov_b32_e32 v19, s12
	v_cmp_ge_i64_e32 vcc, s[20:21], v[19:20]
	s_cbranch_vccnz .LBB150_71
; %bb.35:
	s_add_u32 s18, s8, s18
	s_addc_u32 s19, s9, s19
	s_waitcnt vmcnt(0)
	v_mov_b32_e32 v1, s19
	v_add_co_u32_e32 v2, vcc, s18, v23
	v_addc_co_u32_e32 v1, vcc, 0, v1, vcc
	v_add_co_u32_e32 v19, vcc, 0x4000, v2
	v_addc_co_u32_e32 v20, vcc, 0, v1, vcc
.LBB150_36:                             ; =>This Inner Loop Header: Depth=1
	s_waitcnt vmcnt(0)
	v_add_co_u32_e32 v1, vcc, 0x1000, v19
	v_addc_co_u32_e32 v2, vcc, 0, v20, vcc
	v_add_co_u32_e32 v3, vcc, 0x2000, v19
	v_addc_co_u32_e32 v4, vcc, 0, v20, vcc
	v_add_co_u32_e32 v21, vcc, 0x3000, v19
	global_load_dwordx2 v[13:14], v[1:2], off
	global_load_dwordx2 v[11:12], v[1:2], off offset:2048
	global_load_dwordx2 v[7:8], v[3:4], off
	global_load_dwordx2 v[5:6], v[3:4], off offset:2048
	v_addc_co_u32_e32 v22, vcc, 0, v20, vcc
	global_load_dwordx2 v[17:18], v[19:20], off
	global_load_dwordx2 v[15:16], v[19:20], off offset:2048
	global_load_dwordx2 v[3:4], v[21:22], off
	global_load_dwordx2 v[1:2], v[21:22], off offset:2048
	v_cmp_o_f64_e32 vcc, v[9:10], v[9:10]
	s_and_saveexec_b64 s[18:19], vcc
	s_cbranch_execnz .LBB150_44
; %bb.37:                               ;   in Loop: Header=BB150_36 Depth=1
	s_or_b64 exec, exec, s[18:19]
	v_cmp_o_f64_e32 vcc, v[9:10], v[9:10]
	s_and_saveexec_b64 s[18:19], vcc
	s_cbranch_execnz .LBB150_47
.LBB150_38:                             ;   in Loop: Header=BB150_36 Depth=1
	s_or_b64 exec, exec, s[18:19]
	v_cmp_o_f64_e32 vcc, v[9:10], v[9:10]
	s_and_saveexec_b64 s[18:19], vcc
	s_cbranch_execnz .LBB150_50
.LBB150_39:                             ;   in Loop: Header=BB150_36 Depth=1
	s_or_b64 exec, exec, s[18:19]
	v_cmp_o_f64_e32 vcc, v[9:10], v[9:10]
	s_and_saveexec_b64 s[18:19], vcc
	s_cbranch_execnz .LBB150_53
.LBB150_40:                             ;   in Loop: Header=BB150_36 Depth=1
	s_or_b64 exec, exec, s[18:19]
	v_cmp_o_f64_e32 vcc, v[9:10], v[9:10]
	s_and_saveexec_b64 s[18:19], vcc
	s_cbranch_execnz .LBB150_56
.LBB150_41:                             ;   in Loop: Header=BB150_36 Depth=1
	s_or_b64 exec, exec, s[18:19]
	v_cmp_o_f64_e32 vcc, v[9:10], v[9:10]
	s_and_saveexec_b64 s[18:19], vcc
	s_cbranch_execnz .LBB150_59
.LBB150_42:                             ;   in Loop: Header=BB150_36 Depth=1
	s_or_b64 exec, exec, s[18:19]
	v_cmp_o_f64_e32 vcc, v[9:10], v[9:10]
	s_and_saveexec_b64 s[18:19], vcc
	s_cbranch_execnz .LBB150_62
.LBB150_43:                             ;   in Loop: Header=BB150_36 Depth=1
	s_or_b64 exec, exec, s[18:19]
	v_cmp_o_f64_e32 vcc, v[9:10], v[9:10]
	s_and_saveexec_b64 s[18:19], vcc
	s_cbranch_execnz .LBB150_65
	s_branch .LBB150_68
.LBB150_44:                             ;   in Loop: Header=BB150_36 Depth=1
	s_waitcnt vmcnt(3)
	v_cmp_o_f64_e32 vcc, v[17:18], v[17:18]
	v_mov_b32_e32 v22, v18
	v_mov_b32_e32 v21, v17
	s_and_saveexec_b64 s[20:21], vcc
	s_cbranch_execz .LBB150_46
; %bb.45:                               ;   in Loop: Header=BB150_36 Depth=1
	v_cmp_lt_f64_e32 vcc, v[9:10], v[17:18]
	v_cndmask_b32_e32 v22, v10, v18, vcc
	v_cndmask_b32_e32 v21, v9, v17, vcc
.LBB150_46:                             ;   in Loop: Header=BB150_36 Depth=1
	s_or_b64 exec, exec, s[20:21]
	v_mov_b32_e32 v9, v21
	v_mov_b32_e32 v10, v22
	s_or_b64 exec, exec, s[18:19]
	v_cmp_o_f64_e32 vcc, v[9:10], v[9:10]
	s_and_saveexec_b64 s[18:19], vcc
	s_cbranch_execz .LBB150_38
.LBB150_47:                             ;   in Loop: Header=BB150_36 Depth=1
	s_waitcnt vmcnt(2)
	v_cmp_o_f64_e32 vcc, v[15:16], v[15:16]
	v_mov_b32_e32 v22, v16
	v_mov_b32_e32 v21, v15
	s_and_saveexec_b64 s[20:21], vcc
	s_cbranch_execz .LBB150_49
; %bb.48:                               ;   in Loop: Header=BB150_36 Depth=1
	v_cmp_lt_f64_e32 vcc, v[9:10], v[15:16]
	v_cndmask_b32_e32 v22, v10, v16, vcc
	v_cndmask_b32_e32 v21, v9, v15, vcc
.LBB150_49:                             ;   in Loop: Header=BB150_36 Depth=1
	s_or_b64 exec, exec, s[20:21]
	v_mov_b32_e32 v9, v21
	v_mov_b32_e32 v10, v22
	s_or_b64 exec, exec, s[18:19]
	v_cmp_o_f64_e32 vcc, v[9:10], v[9:10]
	s_and_saveexec_b64 s[18:19], vcc
	s_cbranch_execz .LBB150_39
.LBB150_50:                             ;   in Loop: Header=BB150_36 Depth=1
	s_waitcnt vmcnt(7)
	v_cmp_o_f64_e32 vcc, v[13:14], v[13:14]
	v_mov_b32_e32 v22, v14
	v_mov_b32_e32 v21, v13
	s_and_saveexec_b64 s[20:21], vcc
	s_cbranch_execz .LBB150_52
; %bb.51:                               ;   in Loop: Header=BB150_36 Depth=1
	v_cmp_lt_f64_e32 vcc, v[9:10], v[13:14]
	v_cndmask_b32_e32 v22, v10, v14, vcc
	v_cndmask_b32_e32 v21, v9, v13, vcc
.LBB150_52:                             ;   in Loop: Header=BB150_36 Depth=1
	s_or_b64 exec, exec, s[20:21]
	v_mov_b32_e32 v9, v21
	v_mov_b32_e32 v10, v22
	s_or_b64 exec, exec, s[18:19]
	v_cmp_o_f64_e32 vcc, v[9:10], v[9:10]
	s_and_saveexec_b64 s[18:19], vcc
	s_cbranch_execz .LBB150_40
.LBB150_53:                             ;   in Loop: Header=BB150_36 Depth=1
	s_waitcnt vmcnt(6)
	v_cmp_o_f64_e32 vcc, v[11:12], v[11:12]
	v_mov_b32_e32 v22, v12
	v_mov_b32_e32 v21, v11
	s_and_saveexec_b64 s[20:21], vcc
	s_cbranch_execz .LBB150_55
; %bb.54:                               ;   in Loop: Header=BB150_36 Depth=1
	v_cmp_lt_f64_e32 vcc, v[9:10], v[11:12]
	v_cndmask_b32_e32 v22, v10, v12, vcc
	v_cndmask_b32_e32 v21, v9, v11, vcc
.LBB150_55:                             ;   in Loop: Header=BB150_36 Depth=1
	s_or_b64 exec, exec, s[20:21]
	v_mov_b32_e32 v9, v21
	v_mov_b32_e32 v10, v22
	s_or_b64 exec, exec, s[18:19]
	v_cmp_o_f64_e32 vcc, v[9:10], v[9:10]
	s_and_saveexec_b64 s[18:19], vcc
	s_cbranch_execz .LBB150_41
.LBB150_56:                             ;   in Loop: Header=BB150_36 Depth=1
	s_waitcnt vmcnt(5)
	v_cmp_o_f64_e32 vcc, v[7:8], v[7:8]
	v_mov_b32_e32 v22, v8
	v_mov_b32_e32 v21, v7
	s_and_saveexec_b64 s[20:21], vcc
	s_cbranch_execz .LBB150_58
; %bb.57:                               ;   in Loop: Header=BB150_36 Depth=1
	v_cmp_lt_f64_e32 vcc, v[9:10], v[7:8]
	v_cndmask_b32_e32 v22, v10, v8, vcc
	v_cndmask_b32_e32 v21, v9, v7, vcc
.LBB150_58:                             ;   in Loop: Header=BB150_36 Depth=1
	s_or_b64 exec, exec, s[20:21]
	v_mov_b32_e32 v9, v21
	v_mov_b32_e32 v10, v22
	s_or_b64 exec, exec, s[18:19]
	v_cmp_o_f64_e32 vcc, v[9:10], v[9:10]
	s_and_saveexec_b64 s[18:19], vcc
	s_cbranch_execz .LBB150_42
.LBB150_59:                             ;   in Loop: Header=BB150_36 Depth=1
	s_waitcnt vmcnt(4)
	v_cmp_o_f64_e32 vcc, v[5:6], v[5:6]
	v_mov_b32_e32 v22, v6
	v_mov_b32_e32 v21, v5
	s_and_saveexec_b64 s[20:21], vcc
	s_cbranch_execz .LBB150_61
; %bb.60:                               ;   in Loop: Header=BB150_36 Depth=1
	v_cmp_lt_f64_e32 vcc, v[9:10], v[5:6]
	v_cndmask_b32_e32 v22, v10, v6, vcc
	v_cndmask_b32_e32 v21, v9, v5, vcc
.LBB150_61:                             ;   in Loop: Header=BB150_36 Depth=1
	s_or_b64 exec, exec, s[20:21]
	v_mov_b32_e32 v9, v21
	v_mov_b32_e32 v10, v22
	s_or_b64 exec, exec, s[18:19]
	v_cmp_o_f64_e32 vcc, v[9:10], v[9:10]
	s_and_saveexec_b64 s[18:19], vcc
	s_cbranch_execz .LBB150_43
.LBB150_62:                             ;   in Loop: Header=BB150_36 Depth=1
	s_waitcnt vmcnt(1)
	v_cmp_o_f64_e32 vcc, v[3:4], v[3:4]
	v_mov_b32_e32 v22, v4
	v_mov_b32_e32 v21, v3
	s_and_saveexec_b64 s[20:21], vcc
	s_cbranch_execz .LBB150_64
; %bb.63:                               ;   in Loop: Header=BB150_36 Depth=1
	v_cmp_lt_f64_e32 vcc, v[9:10], v[3:4]
	v_cndmask_b32_e32 v22, v10, v4, vcc
	v_cndmask_b32_e32 v21, v9, v3, vcc
.LBB150_64:                             ;   in Loop: Header=BB150_36 Depth=1
	s_or_b64 exec, exec, s[20:21]
	v_mov_b32_e32 v9, v21
	v_mov_b32_e32 v10, v22
	s_or_b64 exec, exec, s[18:19]
	v_cmp_o_f64_e32 vcc, v[9:10], v[9:10]
	s_and_saveexec_b64 s[18:19], vcc
	s_cbranch_execz .LBB150_68
.LBB150_65:                             ;   in Loop: Header=BB150_36 Depth=1
	s_waitcnt vmcnt(0)
	v_cmp_o_f64_e32 vcc, v[1:2], v[1:2]
	v_mov_b32_e32 v22, v2
	v_mov_b32_e32 v21, v1
	s_and_saveexec_b64 s[20:21], vcc
	s_cbranch_execz .LBB150_67
; %bb.66:                               ;   in Loop: Header=BB150_36 Depth=1
	v_cmp_lt_f64_e32 vcc, v[9:10], v[1:2]
	v_cndmask_b32_e32 v22, v10, v2, vcc
	v_cndmask_b32_e32 v21, v9, v1, vcc
.LBB150_67:                             ;   in Loop: Header=BB150_36 Depth=1
	s_or_b64 exec, exec, s[20:21]
	v_mov_b32_e32 v9, v21
	v_mov_b32_e32 v10, v22
.LBB150_68:                             ;   in Loop: Header=BB150_36 Depth=1
	s_or_b64 exec, exec, s[18:19]
	s_add_u32 s18, s0, 0x800
	s_addc_u32 s19, s1, 0
	s_add_u32 s0, s0, 0x1000
	v_mov_b32_e32 v22, s13
	s_addc_u32 s1, s1, 0
	v_mov_b32_e32 v21, s12
	v_add_co_u32_e32 v19, vcc, 0x4000, v19
	v_cmp_lt_i64_e64 s[0:1], s[0:1], v[21:22]
	v_addc_co_u32_e32 v20, vcc, 0, v20, vcc
	s_and_b64 vcc, exec, s[0:1]
	s_cbranch_vccz .LBB150_70
; %bb.69:                               ;   in Loop: Header=BB150_36 Depth=1
	s_mov_b64 s[0:1], s[18:19]
	s_branch .LBB150_36
.LBB150_70:
	s_mov_b64 s[0:1], s[18:19]
.LBB150_71:
	s_sub_i32 s20, s12, s0
	s_lshl_b64 s[0:1], s[0:1], 3
	s_add_u32 s0, s8, s0
	s_addc_u32 s1, s9, s1
	v_cmp_gt_u32_e32 vcc, s20, v0
	s_and_saveexec_b64 s[18:19], vcc
	s_cbranch_execz .LBB150_73
; %bb.72:
	global_load_dwordx2 v[17:18], v23, s[0:1]
.LBB150_73:
	s_or_b64 exec, exec, s[18:19]
	v_or_b32_e32 v25, 0x100, v0
	v_cmp_gt_u32_e32 vcc, s20, v25
	s_and_saveexec_b64 s[18:19], vcc
	s_cbranch_execz .LBB150_75
; %bb.74:
	global_load_dwordx2 v[15:16], v23, s[0:1] offset:2048
.LBB150_75:
	s_or_b64 exec, exec, s[18:19]
	v_or_b32_e32 v24, 0x200, v0
	v_cmp_gt_u32_e32 vcc, s20, v24
	s_and_saveexec_b64 s[18:19], vcc
	s_cbranch_execz .LBB150_77
; %bb.76:
	s_waitcnt vmcnt(5)
	v_lshlrev_b32_e32 v13, 3, v24
	global_load_dwordx2 v[13:14], v13, s[0:1]
.LBB150_77:
	s_or_b64 exec, exec, s[18:19]
	v_or_b32_e32 v23, 0x300, v0
	v_cmp_gt_u32_e32 vcc, s20, v23
	s_and_saveexec_b64 s[18:19], vcc
	s_cbranch_execz .LBB150_79
; %bb.78:
	s_waitcnt vmcnt(4)
	v_lshlrev_b32_e32 v11, 3, v23
	global_load_dwordx2 v[11:12], v11, s[0:1]
.LBB150_79:
	;; [unrolled: 10-line block ×6, first 2 shown]
	s_or_b64 exec, exec, s[18:19]
	v_cmp_o_f64_e32 vcc, v[9:10], v[9:10]
	v_cmp_gt_u32_e64 s[0:1], s20, v0
	s_and_b64 s[18:19], s[0:1], vcc
	s_and_saveexec_b64 s[0:1], s[18:19]
	s_cbranch_execz .LBB150_91
; %bb.88:
	s_waitcnt vmcnt(0)
	v_cmp_o_f64_e32 vcc, v[17:18], v[17:18]
	s_and_saveexec_b64 s[18:19], vcc
	s_cbranch_execz .LBB150_90
; %bb.89:
	v_cmp_lt_f64_e32 vcc, v[9:10], v[17:18]
	v_cndmask_b32_e32 v18, v10, v18, vcc
	v_cndmask_b32_e32 v17, v9, v17, vcc
.LBB150_90:
	s_or_b64 exec, exec, s[18:19]
	v_mov_b32_e32 v9, v17
	v_mov_b32_e32 v10, v18
.LBB150_91:
	s_or_b64 exec, exec, s[0:1]
	v_cmp_o_f64_e32 vcc, v[9:10], v[9:10]
	v_cmp_gt_u32_e64 s[0:1], s20, v25
	s_and_b64 s[18:19], s[0:1], vcc
	s_and_saveexec_b64 s[0:1], s[18:19]
	s_cbranch_execz .LBB150_95
; %bb.92:
	s_waitcnt vmcnt(0)
	v_cmp_o_f64_e32 vcc, v[15:16], v[15:16]
	s_and_saveexec_b64 s[18:19], vcc
	s_cbranch_execz .LBB150_94
; %bb.93:
	v_cmp_lt_f64_e32 vcc, v[9:10], v[15:16]
	v_cndmask_b32_e32 v16, v10, v16, vcc
	v_cndmask_b32_e32 v15, v9, v15, vcc
.LBB150_94:
	s_or_b64 exec, exec, s[18:19]
	v_mov_b32_e32 v9, v15
	v_mov_b32_e32 v10, v16
.LBB150_95:
	;; [unrolled: 20-line block ×8, first 2 shown]
	s_or_b64 exec, exec, s[0:1]
	s_waitcnt vmcnt(0)
	v_mov_b32_dpp v1, v9 quad_perm:[1,0,3,2] row_mask:0xf bank_mask:0xf bound_ctrl:1
	v_mov_b32_dpp v2, v10 quad_perm:[1,0,3,2] row_mask:0xf bank_mask:0xf bound_ctrl:1
	v_cmp_o_f64_e32 vcc, v[1:2], v[1:2]
	s_and_saveexec_b64 s[0:1], vcc
	s_xor_b64 s[0:1], exec, s[0:1]
	s_cbranch_execz .LBB150_123
; %bb.120:
	v_cmp_o_f64_e32 vcc, v[9:10], v[9:10]
	s_and_saveexec_b64 s[18:19], vcc
	s_cbranch_execz .LBB150_122
; %bb.121:
	v_cmp_gt_f64_e32 vcc, v[9:10], v[1:2]
	v_cndmask_b32_e32 v10, v2, v10, vcc
	v_cndmask_b32_e32 v9, v1, v9, vcc
.LBB150_122:
	s_or_b64 exec, exec, s[18:19]
	v_mov_b32_e32 v1, v9
	v_mov_b32_e32 v2, v10
.LBB150_123:
	s_or_b64 exec, exec, s[0:1]
	v_mov_b32_dpp v3, v1 quad_perm:[2,3,0,1] row_mask:0xf bank_mask:0xf bound_ctrl:1
	v_mov_b32_dpp v4, v2 quad_perm:[2,3,0,1] row_mask:0xf bank_mask:0xf bound_ctrl:1
	v_cmp_o_f64_e32 vcc, v[3:4], v[3:4]
	s_and_saveexec_b64 s[0:1], vcc
	s_cbranch_execz .LBB150_127
; %bb.124:
	v_cmp_o_f64_e32 vcc, v[1:2], v[1:2]
	s_and_saveexec_b64 s[18:19], vcc
	s_cbranch_execz .LBB150_126
; %bb.125:
	v_cmp_gt_f64_e32 vcc, v[1:2], v[3:4]
	v_cndmask_b32_e32 v2, v4, v2, vcc
	v_cndmask_b32_e32 v1, v3, v1, vcc
.LBB150_126:
	s_or_b64 exec, exec, s[18:19]
	v_mov_b32_e32 v4, v2
	v_mov_b32_e32 v3, v1
.LBB150_127:
	s_or_b64 exec, exec, s[0:1]
	s_nop 0
	v_mov_b32_dpp v1, v3 row_ror:4 row_mask:0xf bank_mask:0xf bound_ctrl:1
	v_mov_b32_dpp v2, v4 row_ror:4 row_mask:0xf bank_mask:0xf bound_ctrl:1
	v_cmp_o_f64_e32 vcc, v[1:2], v[1:2]
	s_and_saveexec_b64 s[0:1], vcc
	s_cbranch_execz .LBB150_131
; %bb.128:
	v_cmp_o_f64_e32 vcc, v[3:4], v[3:4]
	s_and_saveexec_b64 s[18:19], vcc
	s_cbranch_execz .LBB150_130
; %bb.129:
	v_cmp_gt_f64_e32 vcc, v[3:4], v[1:2]
	v_cndmask_b32_e32 v4, v2, v4, vcc
	v_cndmask_b32_e32 v3, v1, v3, vcc
.LBB150_130:
	s_or_b64 exec, exec, s[18:19]
	v_mov_b32_e32 v1, v3
	v_mov_b32_e32 v2, v4
.LBB150_131:
	s_or_b64 exec, exec, s[0:1]
	v_mov_b32_dpp v3, v1 row_ror:8 row_mask:0xf bank_mask:0xf bound_ctrl:1
	v_mov_b32_dpp v4, v2 row_ror:8 row_mask:0xf bank_mask:0xf bound_ctrl:1
	v_cmp_o_f64_e32 vcc, v[3:4], v[3:4]
	s_and_saveexec_b64 s[0:1], vcc
	s_cbranch_execz .LBB150_135
; %bb.132:
	v_cmp_o_f64_e32 vcc, v[1:2], v[1:2]
	s_and_saveexec_b64 s[18:19], vcc
	s_cbranch_execz .LBB150_134
; %bb.133:
	v_cmp_gt_f64_e32 vcc, v[1:2], v[3:4]
	v_cndmask_b32_e32 v2, v4, v2, vcc
	v_cndmask_b32_e32 v1, v3, v1, vcc
.LBB150_134:
	s_or_b64 exec, exec, s[18:19]
	v_mov_b32_e32 v4, v2
	v_mov_b32_e32 v3, v1
.LBB150_135:
	s_or_b64 exec, exec, s[0:1]
	s_nop 0
	v_mov_b32_dpp v1, v3 row_bcast:15 row_mask:0xf bank_mask:0xf bound_ctrl:1
	v_mov_b32_dpp v2, v4 row_bcast:15 row_mask:0xf bank_mask:0xf bound_ctrl:1
	v_cmp_o_f64_e32 vcc, v[1:2], v[1:2]
	s_and_saveexec_b64 s[0:1], vcc
	s_cbranch_execz .LBB150_139
; %bb.136:
	v_cmp_o_f64_e32 vcc, v[3:4], v[3:4]
	s_and_saveexec_b64 s[18:19], vcc
	s_cbranch_execz .LBB150_138
; %bb.137:
	v_cmp_gt_f64_e32 vcc, v[3:4], v[1:2]
	v_cndmask_b32_e32 v4, v2, v4, vcc
	v_cndmask_b32_e32 v3, v1, v3, vcc
.LBB150_138:
	s_or_b64 exec, exec, s[18:19]
	v_mov_b32_e32 v1, v3
	v_mov_b32_e32 v2, v4
.LBB150_139:
	s_or_b64 exec, exec, s[0:1]
	v_mov_b32_dpp v3, v1 row_bcast:31 row_mask:0xf bank_mask:0xf bound_ctrl:1
	v_mov_b32_dpp v4, v2 row_bcast:31 row_mask:0xf bank_mask:0xf bound_ctrl:1
	v_cmp_o_f64_e32 vcc, v[3:4], v[3:4]
	s_and_saveexec_b64 s[0:1], vcc
	s_cbranch_execz .LBB150_143
; %bb.140:
	v_cmp_o_f64_e32 vcc, v[1:2], v[1:2]
	s_and_saveexec_b64 s[18:19], vcc
	s_cbranch_execz .LBB150_142
; %bb.141:
	v_cmp_gt_f64_e32 vcc, v[1:2], v[3:4]
	v_cndmask_b32_e32 v2, v4, v2, vcc
	v_cndmask_b32_e32 v1, v3, v1, vcc
.LBB150_142:
	s_or_b64 exec, exec, s[18:19]
	v_mov_b32_e32 v4, v2
	v_mov_b32_e32 v3, v1
.LBB150_143:
	s_or_b64 exec, exec, s[0:1]
	v_mbcnt_lo_u32_b32 v1, -1, 0
	v_mbcnt_hi_u32_b32 v6, -1, v1
	v_lshlrev_b32_e32 v5, 2, v6
	v_or_b32_e32 v2, 0xfc, v5
	ds_bpermute_b32 v1, v2, v3
	ds_bpermute_b32 v2, v2, v4
	v_cmp_eq_u32_e32 vcc, 0, v6
	s_and_saveexec_b64 s[0:1], vcc
	s_cbranch_execz .LBB150_145
; %bb.144:
	v_lshrrev_b32_e32 v3, 3, v0
	v_and_b32_e32 v3, 24, v3
	s_waitcnt lgkmcnt(0)
	ds_write_b64 v3, v[1:2]
.LBB150_145:
	s_or_b64 exec, exec, s[0:1]
	v_cmp_gt_u32_e32 vcc, 64, v0
	s_waitcnt lgkmcnt(0)
	s_barrier
	s_and_saveexec_b64 s[0:1], vcc
	s_cbranch_execz .LBB150_155
; %bb.146:
	v_and_b32_e32 v3, 3, v6
	v_lshlrev_b32_e32 v1, 3, v3
	ds_read_b64 v[1:2], v1
	v_cmp_ne_u32_e32 vcc, 3, v3
	v_addc_co_u32_e32 v3, vcc, 0, v6, vcc
	v_lshlrev_b32_e32 v4, 2, v3
	s_waitcnt lgkmcnt(0)
	v_cmp_o_f64_e32 vcc, v[1:2], v[1:2]
	ds_bpermute_b32 v3, v4, v1
	ds_bpermute_b32 v4, v4, v2
	s_and_saveexec_b64 s[18:19], vcc
	s_cbranch_execz .LBB150_150
; %bb.147:
	s_waitcnt lgkmcnt(0)
	v_cmp_o_f64_e32 vcc, v[3:4], v[3:4]
	s_and_saveexec_b64 s[20:21], vcc
	s_cbranch_execz .LBB150_149
; %bb.148:
	v_cmp_lt_f64_e32 vcc, v[1:2], v[3:4]
	v_cndmask_b32_e32 v4, v2, v4, vcc
	v_cndmask_b32_e32 v3, v1, v3, vcc
.LBB150_149:
	s_or_b64 exec, exec, s[20:21]
	v_mov_b32_e32 v1, v3
	v_mov_b32_e32 v2, v4
.LBB150_150:
	s_or_b64 exec, exec, s[18:19]
	v_cmp_o_f64_e32 vcc, v[1:2], v[1:2]
	s_waitcnt lgkmcnt(0)
	v_or_b32_e32 v4, 8, v5
	ds_bpermute_b32 v3, v4, v1
	ds_bpermute_b32 v4, v4, v2
	s_and_saveexec_b64 s[18:19], vcc
	s_cbranch_execz .LBB150_154
; %bb.151:
	s_waitcnt lgkmcnt(0)
	v_cmp_o_f64_e32 vcc, v[3:4], v[3:4]
	s_and_saveexec_b64 s[20:21], vcc
	s_cbranch_execz .LBB150_153
; %bb.152:
	v_cmp_lt_f64_e32 vcc, v[1:2], v[3:4]
	v_cndmask_b32_e32 v4, v2, v4, vcc
	v_cndmask_b32_e32 v3, v1, v3, vcc
.LBB150_153:
	s_or_b64 exec, exec, s[20:21]
	v_mov_b32_e32 v1, v3
	v_mov_b32_e32 v2, v4
.LBB150_154:
	s_or_b64 exec, exec, s[18:19]
.LBB150_155:
	s_or_b64 exec, exec, s[0:1]
	s_branch .LBB150_254
.LBB150_156:
	s_sub_i32 s22, s12, s14
	v_cmp_gt_u32_e32 vcc, s22, v0
                                        ; implicit-def: $vgpr3_vgpr4
	s_and_saveexec_b64 s[18:19], vcc
	s_cbranch_execz .LBB150_166
; %bb.157:
	v_mov_b32_e32 v2, s15
	v_add_co_u32_e32 v1, vcc, s14, v0
	v_addc_co_u32_e32 v2, vcc, 0, v2, vcc
	s_waitcnt lgkmcnt(0)
	v_lshlrev_b64 v[4:5], 3, v[1:2]
	v_mov_b32_e32 v3, s9
	v_add_co_u32_e64 v6, s[0:1], s8, v4
	v_addc_co_u32_e64 v7, vcc, v3, v5, s[0:1]
	global_load_dwordx2 v[3:4], v[6:7], off
	v_add_co_u32_e32 v1, vcc, 0x100, v1
	v_addc_co_u32_e32 v2, vcc, 0, v2, vcc
	v_cmp_gt_i64_e32 vcc, s[12:13], v[1:2]
	s_and_saveexec_b64 s[14:15], vcc
	s_cbranch_execz .LBB150_165
; %bb.158:
	v_mov_b32_e32 v7, s9
	v_addc_co_u32_e64 v7, vcc, v7, v5, s[0:1]
	v_add_co_u32_e32 v5, vcc, 0x800, v6
	v_addc_co_u32_e32 v6, vcc, 0, v7, vcc
	s_mov_b64 s[8:9], 0
	s_branch .LBB150_161
.LBB150_159:                            ;   in Loop: Header=BB150_161 Depth=1
	s_or_b64 exec, exec, s[20:21]
	v_mov_b32_e32 v3, v7
	v_mov_b32_e32 v4, v8
.LBB150_160:                            ;   in Loop: Header=BB150_161 Depth=1
	s_or_b64 exec, exec, s[0:1]
	v_add_co_u32_e32 v1, vcc, 0x100, v1
	v_addc_co_u32_e32 v2, vcc, 0, v2, vcc
	v_cmp_le_i64_e64 s[0:1], s[12:13], v[1:2]
	v_add_co_u32_e32 v5, vcc, 0x800, v5
	s_or_b64 s[8:9], s[0:1], s[8:9]
	v_addc_co_u32_e32 v6, vcc, 0, v6, vcc
	s_andn2_b64 exec, exec, s[8:9]
	s_cbranch_execz .LBB150_164
.LBB150_161:                            ; =>This Inner Loop Header: Depth=1
	s_waitcnt vmcnt(0)
	v_cmp_o_f64_e32 vcc, v[3:4], v[3:4]
	s_and_saveexec_b64 s[0:1], vcc
	s_cbranch_execz .LBB150_160
; %bb.162:                              ;   in Loop: Header=BB150_161 Depth=1
	global_load_dwordx2 v[7:8], v[5:6], off
	s_waitcnt vmcnt(0)
	v_cmp_o_f64_e32 vcc, v[7:8], v[7:8]
	s_and_saveexec_b64 s[20:21], vcc
	s_cbranch_execz .LBB150_159
; %bb.163:                              ;   in Loop: Header=BB150_161 Depth=1
	v_cmp_lt_f64_e32 vcc, v[3:4], v[7:8]
	v_cndmask_b32_e32 v8, v4, v8, vcc
	v_cndmask_b32_e32 v7, v3, v7, vcc
	s_branch .LBB150_159
.LBB150_164:
	s_or_b64 exec, exec, s[8:9]
.LBB150_165:
	s_or_b64 exec, exec, s[14:15]
.LBB150_166:
	s_or_b64 exec, exec, s[18:19]
	v_mbcnt_lo_u32_b32 v1, -1, 0
	s_cmpk_lt_u32 s22, 0x100
	v_lshrrev_b32_e32 v10, 6, v0
	v_mbcnt_hi_u32_b32 v9, -1, v1
	s_cbranch_scc0 .LBB150_216
; %bb.167:
	v_and_b32_e32 v12, 63, v9
	v_cmp_ne_u32_e32 vcc, 63, v12
	v_addc_co_u32_e32 v2, vcc, 0, v9, vcc
	v_lshlrev_b32_e32 v2, 2, v2
	s_waitcnt vmcnt(0) lgkmcnt(1)
	ds_bpermute_b32 v7, v2, v3
	s_waitcnt lgkmcnt(1)
	ds_bpermute_b32 v8, v2, v4
	v_and_b32_e32 v1, 0xc0, v0
	v_sub_u32_e64 v11, s22, v1 clamp
	v_add_u32_e32 v1, 1, v12
	v_cmp_lt_u32_e32 vcc, v1, v11
	v_mov_b32_e32 v1, v3
	v_mov_b32_e32 v5, v3
	;; [unrolled: 1-line block ×4, first 2 shown]
	s_and_saveexec_b64 s[0:1], vcc
	s_cbranch_execz .LBB150_173
; %bb.168:
	v_cmp_o_f64_e32 vcc, v[3:4], v[3:4]
	v_mov_b32_e32 v6, v4
	v_mov_b32_e32 v5, v3
	s_and_saveexec_b64 s[8:9], vcc
	s_cbranch_execz .LBB150_172
; %bb.169:
	s_waitcnt lgkmcnt(0)
	v_cmp_o_f64_e32 vcc, v[7:8], v[7:8]
	s_and_saveexec_b64 s[12:13], vcc
	s_cbranch_execz .LBB150_171
; %bb.170:
	v_cmp_lt_f64_e32 vcc, v[3:4], v[7:8]
	v_cndmask_b32_e32 v8, v4, v8, vcc
	v_cndmask_b32_e32 v7, v3, v7, vcc
.LBB150_171:
	s_or_b64 exec, exec, s[12:13]
	v_mov_b32_e32 v5, v7
	v_mov_b32_e32 v6, v8
.LBB150_172:
	s_or_b64 exec, exec, s[8:9]
	v_mov_b32_e32 v1, v5
	v_mov_b32_e32 v2, v6
.LBB150_173:
	s_or_b64 exec, exec, s[0:1]
	v_cmp_gt_u32_e32 vcc, 62, v12
	s_waitcnt lgkmcnt(1)
	v_cndmask_b32_e64 v7, 0, 2, vcc
	s_waitcnt lgkmcnt(0)
	v_add_lshl_u32 v8, v7, v9, 2
	ds_bpermute_b32 v7, v8, v5
	ds_bpermute_b32 v8, v8, v6
	v_add_u32_e32 v13, 2, v12
	v_cmp_lt_u32_e32 vcc, v13, v11
	s_and_saveexec_b64 s[0:1], vcc
	s_cbranch_execz .LBB150_179
; %bb.174:
	v_cmp_o_f64_e32 vcc, v[1:2], v[1:2]
	s_and_saveexec_b64 s[8:9], vcc
	s_cbranch_execz .LBB150_178
; %bb.175:
	s_waitcnt lgkmcnt(0)
	v_cmp_o_f64_e32 vcc, v[7:8], v[7:8]
	s_and_saveexec_b64 s[12:13], vcc
	s_cbranch_execz .LBB150_177
; %bb.176:
	v_cmp_lt_f64_e32 vcc, v[1:2], v[7:8]
	v_cndmask_b32_e32 v8, v2, v8, vcc
	v_cndmask_b32_e32 v7, v1, v7, vcc
.LBB150_177:
	s_or_b64 exec, exec, s[12:13]
	v_mov_b32_e32 v1, v7
	v_mov_b32_e32 v2, v8
.LBB150_178:
	s_or_b64 exec, exec, s[8:9]
	v_mov_b32_e32 v5, v1
	v_mov_b32_e32 v6, v2
.LBB150_179:
	s_or_b64 exec, exec, s[0:1]
	v_cmp_gt_u32_e32 vcc, 60, v12
	s_waitcnt lgkmcnt(1)
	v_cndmask_b32_e64 v7, 0, 4, vcc
	s_waitcnt lgkmcnt(0)
	v_add_lshl_u32 v8, v7, v9, 2
	ds_bpermute_b32 v7, v8, v5
	ds_bpermute_b32 v8, v8, v6
	v_add_u32_e32 v13, 4, v12
	v_cmp_lt_u32_e32 vcc, v13, v11
	s_and_saveexec_b64 s[0:1], vcc
	s_cbranch_execz .LBB150_185
; %bb.180:
	v_cmp_o_f64_e32 vcc, v[1:2], v[1:2]
	s_and_saveexec_b64 s[8:9], vcc
	s_cbranch_execz .LBB150_184
; %bb.181:
	s_waitcnt lgkmcnt(0)
	v_cmp_o_f64_e32 vcc, v[7:8], v[7:8]
	s_and_saveexec_b64 s[12:13], vcc
	s_cbranch_execz .LBB150_183
; %bb.182:
	v_cmp_lt_f64_e32 vcc, v[1:2], v[7:8]
	v_cndmask_b32_e32 v8, v2, v8, vcc
	v_cndmask_b32_e32 v7, v1, v7, vcc
.LBB150_183:
	s_or_b64 exec, exec, s[12:13]
	v_mov_b32_e32 v1, v7
	v_mov_b32_e32 v2, v8
.LBB150_184:
	s_or_b64 exec, exec, s[8:9]
	v_mov_b32_e32 v5, v1
	v_mov_b32_e32 v6, v2
.LBB150_185:
	;; [unrolled: 34-line block ×4, first 2 shown]
	s_or_b64 exec, exec, s[0:1]
	v_cmp_o_f64_e32 vcc, v[1:2], v[1:2]
	s_waitcnt lgkmcnt(1)
	v_lshlrev_b32_e32 v7, 2, v9
	s_waitcnt lgkmcnt(0)
	v_or_b32_e32 v8, 0x80, v7
	ds_bpermute_b32 v5, v8, v5
	ds_bpermute_b32 v6, v8, v6
	v_add_u32_e32 v8, 32, v12
	v_cmp_lt_u32_e64 s[0:1], v8, v11
	s_and_b64 s[8:9], s[0:1], vcc
	s_and_saveexec_b64 s[0:1], s[8:9]
	s_cbranch_execz .LBB150_201
; %bb.198:
	s_waitcnt lgkmcnt(0)
	v_cmp_o_f64_e32 vcc, v[5:6], v[5:6]
	s_and_saveexec_b64 s[8:9], vcc
	s_cbranch_execz .LBB150_200
; %bb.199:
	v_cmp_lt_f64_e32 vcc, v[1:2], v[5:6]
	v_cndmask_b32_e32 v6, v2, v6, vcc
	v_cndmask_b32_e32 v5, v1, v5, vcc
.LBB150_200:
	s_or_b64 exec, exec, s[8:9]
	v_mov_b32_e32 v1, v5
	v_mov_b32_e32 v2, v6
.LBB150_201:
	s_or_b64 exec, exec, s[0:1]
	v_cmp_eq_u32_e32 vcc, 0, v9
	s_and_saveexec_b64 s[0:1], vcc
	s_cbranch_execz .LBB150_203
; %bb.202:
	s_waitcnt lgkmcnt(1)
	v_lshlrev_b32_e32 v5, 3, v10
	ds_write_b64 v5, v[1:2]
.LBB150_203:
	s_or_b64 exec, exec, s[0:1]
	v_cmp_gt_u32_e32 vcc, 4, v0
	s_waitcnt lgkmcnt(0)
	s_barrier
	s_and_saveexec_b64 s[8:9], vcc
	s_cbranch_execz .LBB150_215
; %bb.204:
	v_lshlrev_b32_e32 v1, 3, v9
	ds_read_b64 v[1:2], v1
	v_and_b32_e32 v8, 3, v9
	v_cmp_ne_u32_e32 vcc, 3, v8
	v_addc_co_u32_e32 v5, vcc, 0, v9, vcc
	v_lshlrev_b32_e32 v6, 2, v5
	s_waitcnt lgkmcnt(0)
	ds_bpermute_b32 v5, v6, v1
	ds_bpermute_b32 v6, v6, v2
	s_add_i32 s22, s22, 63
	s_lshr_b32 s18, s22, 6
	v_add_u32_e32 v11, 1, v8
	v_cmp_gt_u32_e32 vcc, s18, v11
	s_and_saveexec_b64 s[0:1], vcc
	s_cbranch_execz .LBB150_210
; %bb.205:
	v_cmp_o_f64_e32 vcc, v[1:2], v[1:2]
	s_and_saveexec_b64 s[12:13], vcc
	s_cbranch_execz .LBB150_209
; %bb.206:
	s_waitcnt lgkmcnt(0)
	v_cmp_o_f64_e32 vcc, v[5:6], v[5:6]
	s_and_saveexec_b64 s[14:15], vcc
	s_cbranch_execz .LBB150_208
; %bb.207:
	v_cmp_lt_f64_e32 vcc, v[1:2], v[5:6]
	v_cndmask_b32_e32 v6, v2, v6, vcc
	v_cndmask_b32_e32 v5, v1, v5, vcc
.LBB150_208:
	s_or_b64 exec, exec, s[14:15]
	v_mov_b32_e32 v1, v5
	v_mov_b32_e32 v2, v6
.LBB150_209:
	s_or_b64 exec, exec, s[12:13]
.LBB150_210:
	s_or_b64 exec, exec, s[0:1]
	v_cmp_o_f64_e32 vcc, v[1:2], v[1:2]
	s_waitcnt lgkmcnt(0)
	v_or_b32_e32 v6, 8, v7
	ds_bpermute_b32 v5, v6, v1
	ds_bpermute_b32 v6, v6, v2
	v_add_u32_e32 v7, 2, v8
	v_cmp_gt_u32_e64 s[0:1], s18, v7
	s_and_b64 s[12:13], s[0:1], vcc
	s_and_saveexec_b64 s[0:1], s[12:13]
	s_cbranch_execz .LBB150_214
; %bb.211:
	s_waitcnt lgkmcnt(0)
	v_cmp_o_f64_e32 vcc, v[5:6], v[5:6]
	s_and_saveexec_b64 s[12:13], vcc
	s_cbranch_execz .LBB150_213
; %bb.212:
	v_cmp_lt_f64_e32 vcc, v[1:2], v[5:6]
	v_cndmask_b32_e32 v6, v2, v6, vcc
	v_cndmask_b32_e32 v5, v1, v5, vcc
.LBB150_213:
	s_or_b64 exec, exec, s[12:13]
	v_mov_b32_e32 v1, v5
	v_mov_b32_e32 v2, v6
.LBB150_214:
	s_or_b64 exec, exec, s[0:1]
.LBB150_215:
	s_or_b64 exec, exec, s[8:9]
	s_branch .LBB150_254
.LBB150_216:
                                        ; implicit-def: $vgpr1_vgpr2
	s_cbranch_execz .LBB150_254
; %bb.217:
	s_waitcnt vmcnt(0) lgkmcnt(1)
	v_mov_b32_dpp v1, v3 quad_perm:[1,0,3,2] row_mask:0xf bank_mask:0xf bound_ctrl:1
	s_waitcnt lgkmcnt(0)
	v_mov_b32_dpp v2, v4 quad_perm:[1,0,3,2] row_mask:0xf bank_mask:0xf bound_ctrl:1
	v_cmp_o_f64_e32 vcc, v[1:2], v[1:2]
	s_and_saveexec_b64 s[0:1], vcc
	s_cbranch_execz .LBB150_221
; %bb.218:
	v_cmp_o_f64_e32 vcc, v[3:4], v[3:4]
	s_and_saveexec_b64 s[8:9], vcc
	s_cbranch_execz .LBB150_220
; %bb.219:
	v_cmp_gt_f64_e32 vcc, v[3:4], v[1:2]
	v_cndmask_b32_e32 v4, v2, v4, vcc
	v_cndmask_b32_e32 v3, v1, v3, vcc
.LBB150_220:
	s_or_b64 exec, exec, s[8:9]
	v_mov_b32_e32 v1, v3
	v_mov_b32_e32 v2, v4
.LBB150_221:
	s_or_b64 exec, exec, s[0:1]
	v_mov_b32_dpp v3, v1 quad_perm:[2,3,0,1] row_mask:0xf bank_mask:0xf bound_ctrl:1
	v_mov_b32_dpp v4, v2 quad_perm:[2,3,0,1] row_mask:0xf bank_mask:0xf bound_ctrl:1
	v_cmp_o_f64_e32 vcc, v[3:4], v[3:4]
	s_and_saveexec_b64 s[0:1], vcc
	s_cbranch_execz .LBB150_225
; %bb.222:
	v_cmp_o_f64_e32 vcc, v[1:2], v[1:2]
	s_and_saveexec_b64 s[8:9], vcc
	s_cbranch_execz .LBB150_224
; %bb.223:
	v_cmp_gt_f64_e32 vcc, v[1:2], v[3:4]
	v_cndmask_b32_e32 v2, v4, v2, vcc
	v_cndmask_b32_e32 v1, v3, v1, vcc
.LBB150_224:
	s_or_b64 exec, exec, s[8:9]
	v_mov_b32_e32 v4, v2
	v_mov_b32_e32 v3, v1
.LBB150_225:
	s_or_b64 exec, exec, s[0:1]
	s_nop 0
	v_mov_b32_dpp v1, v3 row_ror:4 row_mask:0xf bank_mask:0xf bound_ctrl:1
	v_mov_b32_dpp v2, v4 row_ror:4 row_mask:0xf bank_mask:0xf bound_ctrl:1
	v_cmp_o_f64_e32 vcc, v[1:2], v[1:2]
	s_and_saveexec_b64 s[0:1], vcc
	s_cbranch_execz .LBB150_229
; %bb.226:
	v_cmp_o_f64_e32 vcc, v[3:4], v[3:4]
	s_and_saveexec_b64 s[8:9], vcc
	s_cbranch_execz .LBB150_228
; %bb.227:
	v_cmp_gt_f64_e32 vcc, v[3:4], v[1:2]
	v_cndmask_b32_e32 v4, v2, v4, vcc
	v_cndmask_b32_e32 v3, v1, v3, vcc
.LBB150_228:
	s_or_b64 exec, exec, s[8:9]
	v_mov_b32_e32 v1, v3
	v_mov_b32_e32 v2, v4
.LBB150_229:
	s_or_b64 exec, exec, s[0:1]
	v_mov_b32_dpp v3, v1 row_ror:8 row_mask:0xf bank_mask:0xf bound_ctrl:1
	v_mov_b32_dpp v4, v2 row_ror:8 row_mask:0xf bank_mask:0xf bound_ctrl:1
	v_cmp_o_f64_e32 vcc, v[3:4], v[3:4]
	s_and_saveexec_b64 s[0:1], vcc
	s_cbranch_execz .LBB150_233
; %bb.230:
	v_cmp_o_f64_e32 vcc, v[1:2], v[1:2]
	s_and_saveexec_b64 s[8:9], vcc
	s_cbranch_execz .LBB150_232
; %bb.231:
	v_cmp_gt_f64_e32 vcc, v[1:2], v[3:4]
	v_cndmask_b32_e32 v2, v4, v2, vcc
	v_cndmask_b32_e32 v1, v3, v1, vcc
.LBB150_232:
	s_or_b64 exec, exec, s[8:9]
	v_mov_b32_e32 v4, v2
	v_mov_b32_e32 v3, v1
.LBB150_233:
	s_or_b64 exec, exec, s[0:1]
	s_nop 0
	v_mov_b32_dpp v1, v3 row_bcast:15 row_mask:0xf bank_mask:0xf bound_ctrl:1
	v_mov_b32_dpp v2, v4 row_bcast:15 row_mask:0xf bank_mask:0xf bound_ctrl:1
	v_cmp_o_f64_e32 vcc, v[1:2], v[1:2]
	s_and_saveexec_b64 s[0:1], vcc
	s_cbranch_execz .LBB150_237
; %bb.234:
	v_cmp_o_f64_e32 vcc, v[3:4], v[3:4]
	s_and_saveexec_b64 s[8:9], vcc
	s_cbranch_execz .LBB150_236
; %bb.235:
	v_cmp_gt_f64_e32 vcc, v[3:4], v[1:2]
	v_cndmask_b32_e32 v4, v2, v4, vcc
	v_cndmask_b32_e32 v3, v1, v3, vcc
.LBB150_236:
	s_or_b64 exec, exec, s[8:9]
	v_mov_b32_e32 v1, v3
	v_mov_b32_e32 v2, v4
.LBB150_237:
	s_or_b64 exec, exec, s[0:1]
	v_mov_b32_dpp v3, v1 row_bcast:31 row_mask:0xf bank_mask:0xf bound_ctrl:1
	v_mov_b32_dpp v4, v2 row_bcast:31 row_mask:0xf bank_mask:0xf bound_ctrl:1
	v_cmp_o_f64_e32 vcc, v[3:4], v[3:4]
	s_and_saveexec_b64 s[0:1], vcc
	s_cbranch_execz .LBB150_241
; %bb.238:
	v_cmp_o_f64_e32 vcc, v[1:2], v[1:2]
	s_and_saveexec_b64 s[8:9], vcc
	s_cbranch_execz .LBB150_240
; %bb.239:
	v_cmp_gt_f64_e32 vcc, v[1:2], v[3:4]
	v_cndmask_b32_e32 v2, v4, v2, vcc
	v_cndmask_b32_e32 v1, v3, v1, vcc
.LBB150_240:
	s_or_b64 exec, exec, s[8:9]
	v_mov_b32_e32 v4, v2
	v_mov_b32_e32 v3, v1
.LBB150_241:
	s_or_b64 exec, exec, s[0:1]
	v_lshlrev_b32_e32 v5, 2, v9
	v_or_b32_e32 v2, 0xfc, v5
	ds_bpermute_b32 v1, v2, v3
	ds_bpermute_b32 v2, v2, v4
	v_cmp_eq_u32_e32 vcc, 0, v9
	s_and_saveexec_b64 s[0:1], vcc
	s_cbranch_execz .LBB150_243
; %bb.242:
	v_lshlrev_b32_e32 v3, 3, v10
	s_waitcnt lgkmcnt(0)
	ds_write_b64 v3, v[1:2]
.LBB150_243:
	s_or_b64 exec, exec, s[0:1]
	v_cmp_gt_u32_e32 vcc, 64, v0
	s_waitcnt lgkmcnt(0)
	s_barrier
	s_and_saveexec_b64 s[0:1], vcc
	s_cbranch_execz .LBB150_253
; %bb.244:
	v_and_b32_e32 v3, 3, v9
	v_lshlrev_b32_e32 v1, 3, v3
	ds_read_b64 v[1:2], v1
	v_cmp_ne_u32_e32 vcc, 3, v3
	v_addc_co_u32_e32 v3, vcc, 0, v9, vcc
	v_lshlrev_b32_e32 v4, 2, v3
	s_waitcnt lgkmcnt(0)
	v_cmp_o_f64_e32 vcc, v[1:2], v[1:2]
	ds_bpermute_b32 v3, v4, v1
	ds_bpermute_b32 v4, v4, v2
	s_and_saveexec_b64 s[8:9], vcc
	s_cbranch_execz .LBB150_248
; %bb.245:
	s_waitcnt lgkmcnt(0)
	v_cmp_o_f64_e32 vcc, v[3:4], v[3:4]
	s_and_saveexec_b64 s[12:13], vcc
	s_cbranch_execz .LBB150_247
; %bb.246:
	v_cmp_lt_f64_e32 vcc, v[1:2], v[3:4]
	v_cndmask_b32_e32 v4, v2, v4, vcc
	v_cndmask_b32_e32 v3, v1, v3, vcc
.LBB150_247:
	s_or_b64 exec, exec, s[12:13]
	v_mov_b32_e32 v1, v3
	v_mov_b32_e32 v2, v4
.LBB150_248:
	s_or_b64 exec, exec, s[8:9]
	v_cmp_o_f64_e32 vcc, v[1:2], v[1:2]
	s_waitcnt lgkmcnt(0)
	v_or_b32_e32 v4, 8, v5
	ds_bpermute_b32 v3, v4, v1
	ds_bpermute_b32 v4, v4, v2
	s_and_saveexec_b64 s[8:9], vcc
	s_cbranch_execz .LBB150_252
; %bb.249:
	s_waitcnt lgkmcnt(0)
	v_cmp_o_f64_e32 vcc, v[3:4], v[3:4]
	s_and_saveexec_b64 s[12:13], vcc
	s_cbranch_execz .LBB150_251
; %bb.250:
	v_cmp_lt_f64_e32 vcc, v[1:2], v[3:4]
	v_cndmask_b32_e32 v4, v2, v4, vcc
	v_cndmask_b32_e32 v3, v1, v3, vcc
.LBB150_251:
	s_or_b64 exec, exec, s[12:13]
	v_mov_b32_e32 v1, v3
	v_mov_b32_e32 v2, v4
.LBB150_252:
	s_or_b64 exec, exec, s[8:9]
.LBB150_253:
	s_or_b64 exec, exec, s[0:1]
.LBB150_254:
	v_cmp_eq_u32_e32 vcc, 0, v0
                                        ; implicit-def: $vgpr3_vgpr4
	s_and_saveexec_b64 s[0:1], vcc
	s_cbranch_execz .LBB150_260
; %bb.255:
	v_cmp_u_f64_e64 s[8:9], s[16:17], s[16:17]
	s_waitcnt vmcnt(0) lgkmcnt(0)
	v_mov_b32_e32 v3, s16
	v_mov_b32_e32 v4, s17
	s_and_b64 vcc, exec, s[8:9]
	s_cbranch_vccnz .LBB150_259
; %bb.256:
	v_cmp_o_f64_e32 vcc, v[1:2], v[1:2]
	s_and_saveexec_b64 s[8:9], vcc
	s_cbranch_execz .LBB150_258
; %bb.257:
	v_cmp_lt_f64_e32 vcc, s[16:17], v[1:2]
	v_mov_b32_e32 v0, s17
	v_cndmask_b32_e32 v2, v0, v2, vcc
	v_mov_b32_e32 v0, s16
	v_cndmask_b32_e32 v1, v0, v1, vcc
.LBB150_258:
	s_or_b64 exec, exec, s[8:9]
	v_mov_b32_e32 v4, v2
	v_mov_b32_e32 v3, v1
.LBB150_259:
	s_or_b64 s[6:7], s[6:7], exec
.LBB150_260:
	s_or_b64 exec, exec, s[0:1]
	s_and_saveexec_b64 s[0:1], s[6:7]
	s_cbranch_execz .LBB150_262
.LBB150_261:
	s_add_u32 s0, s10, s2
	s_addc_u32 s1, s11, s3
	s_add_u32 s0, s0, s4
	s_addc_u32 s1, s1, s5
	v_mov_b32_e32 v0, 0
	s_waitcnt vmcnt(0) lgkmcnt(0)
	global_store_dwordx2 v0, v[3:4], s[0:1]
.LBB150_262:
	s_endpgm
	.section	.rodata,"a",@progbits
	.p2align	6, 0x0
	.amdhsa_kernel _ZN7rocprim17ROCPRIM_400000_NS6detail17trampoline_kernelINS0_14default_configENS1_32segmented_reduce_config_selectorIdEEZNS1_21segmented_reduce_implIS3_PKdPdPKldN6hipcub16HIPCUB_304000_NS6detail27convert_result_type_wrapperIS8_S9_N2at6native12_GLOBAL__N_19CustomMaxEEEEE10hipError_tPvRmT0_T1_jT2_SQ_T4_T3_P12ihipStream_tbEUlT_E_NS1_11comp_targetILNS1_3genE2ELNS1_11target_archE906ELNS1_3gpuE6ELNS1_3repE0EEENS1_30default_config_static_selectorELNS0_4arch9wavefront6targetE1EEEvSP_
		.amdhsa_group_segment_fixed_size 32
		.amdhsa_private_segment_fixed_size 0
		.amdhsa_kernarg_size 56
		.amdhsa_user_sgpr_count 6
		.amdhsa_user_sgpr_private_segment_buffer 1
		.amdhsa_user_sgpr_dispatch_ptr 0
		.amdhsa_user_sgpr_queue_ptr 0
		.amdhsa_user_sgpr_kernarg_segment_ptr 1
		.amdhsa_user_sgpr_dispatch_id 0
		.amdhsa_user_sgpr_flat_scratch_init 0
		.amdhsa_user_sgpr_private_segment_size 0
		.amdhsa_uses_dynamic_stack 0
		.amdhsa_system_sgpr_private_segment_wavefront_offset 0
		.amdhsa_system_sgpr_workgroup_id_x 1
		.amdhsa_system_sgpr_workgroup_id_y 0
		.amdhsa_system_sgpr_workgroup_id_z 0
		.amdhsa_system_sgpr_workgroup_info 0
		.amdhsa_system_vgpr_workitem_id 0
		.amdhsa_next_free_vgpr 26
		.amdhsa_next_free_sgpr 24
		.amdhsa_reserve_vcc 1
		.amdhsa_reserve_flat_scratch 0
		.amdhsa_float_round_mode_32 0
		.amdhsa_float_round_mode_16_64 0
		.amdhsa_float_denorm_mode_32 3
		.amdhsa_float_denorm_mode_16_64 3
		.amdhsa_dx10_clamp 1
		.amdhsa_ieee_mode 1
		.amdhsa_fp16_overflow 0
		.amdhsa_exception_fp_ieee_invalid_op 0
		.amdhsa_exception_fp_denorm_src 0
		.amdhsa_exception_fp_ieee_div_zero 0
		.amdhsa_exception_fp_ieee_overflow 0
		.amdhsa_exception_fp_ieee_underflow 0
		.amdhsa_exception_fp_ieee_inexact 0
		.amdhsa_exception_int_div_zero 0
	.end_amdhsa_kernel
	.section	.text._ZN7rocprim17ROCPRIM_400000_NS6detail17trampoline_kernelINS0_14default_configENS1_32segmented_reduce_config_selectorIdEEZNS1_21segmented_reduce_implIS3_PKdPdPKldN6hipcub16HIPCUB_304000_NS6detail27convert_result_type_wrapperIS8_S9_N2at6native12_GLOBAL__N_19CustomMaxEEEEE10hipError_tPvRmT0_T1_jT2_SQ_T4_T3_P12ihipStream_tbEUlT_E_NS1_11comp_targetILNS1_3genE2ELNS1_11target_archE906ELNS1_3gpuE6ELNS1_3repE0EEENS1_30default_config_static_selectorELNS0_4arch9wavefront6targetE1EEEvSP_,"axG",@progbits,_ZN7rocprim17ROCPRIM_400000_NS6detail17trampoline_kernelINS0_14default_configENS1_32segmented_reduce_config_selectorIdEEZNS1_21segmented_reduce_implIS3_PKdPdPKldN6hipcub16HIPCUB_304000_NS6detail27convert_result_type_wrapperIS8_S9_N2at6native12_GLOBAL__N_19CustomMaxEEEEE10hipError_tPvRmT0_T1_jT2_SQ_T4_T3_P12ihipStream_tbEUlT_E_NS1_11comp_targetILNS1_3genE2ELNS1_11target_archE906ELNS1_3gpuE6ELNS1_3repE0EEENS1_30default_config_static_selectorELNS0_4arch9wavefront6targetE1EEEvSP_,comdat
.Lfunc_end150:
	.size	_ZN7rocprim17ROCPRIM_400000_NS6detail17trampoline_kernelINS0_14default_configENS1_32segmented_reduce_config_selectorIdEEZNS1_21segmented_reduce_implIS3_PKdPdPKldN6hipcub16HIPCUB_304000_NS6detail27convert_result_type_wrapperIS8_S9_N2at6native12_GLOBAL__N_19CustomMaxEEEEE10hipError_tPvRmT0_T1_jT2_SQ_T4_T3_P12ihipStream_tbEUlT_E_NS1_11comp_targetILNS1_3genE2ELNS1_11target_archE906ELNS1_3gpuE6ELNS1_3repE0EEENS1_30default_config_static_selectorELNS0_4arch9wavefront6targetE1EEEvSP_, .Lfunc_end150-_ZN7rocprim17ROCPRIM_400000_NS6detail17trampoline_kernelINS0_14default_configENS1_32segmented_reduce_config_selectorIdEEZNS1_21segmented_reduce_implIS3_PKdPdPKldN6hipcub16HIPCUB_304000_NS6detail27convert_result_type_wrapperIS8_S9_N2at6native12_GLOBAL__N_19CustomMaxEEEEE10hipError_tPvRmT0_T1_jT2_SQ_T4_T3_P12ihipStream_tbEUlT_E_NS1_11comp_targetILNS1_3genE2ELNS1_11target_archE906ELNS1_3gpuE6ELNS1_3repE0EEENS1_30default_config_static_selectorELNS0_4arch9wavefront6targetE1EEEvSP_
                                        ; -- End function
	.set _ZN7rocprim17ROCPRIM_400000_NS6detail17trampoline_kernelINS0_14default_configENS1_32segmented_reduce_config_selectorIdEEZNS1_21segmented_reduce_implIS3_PKdPdPKldN6hipcub16HIPCUB_304000_NS6detail27convert_result_type_wrapperIS8_S9_N2at6native12_GLOBAL__N_19CustomMaxEEEEE10hipError_tPvRmT0_T1_jT2_SQ_T4_T3_P12ihipStream_tbEUlT_E_NS1_11comp_targetILNS1_3genE2ELNS1_11target_archE906ELNS1_3gpuE6ELNS1_3repE0EEENS1_30default_config_static_selectorELNS0_4arch9wavefront6targetE1EEEvSP_.num_vgpr, 26
	.set _ZN7rocprim17ROCPRIM_400000_NS6detail17trampoline_kernelINS0_14default_configENS1_32segmented_reduce_config_selectorIdEEZNS1_21segmented_reduce_implIS3_PKdPdPKldN6hipcub16HIPCUB_304000_NS6detail27convert_result_type_wrapperIS8_S9_N2at6native12_GLOBAL__N_19CustomMaxEEEEE10hipError_tPvRmT0_T1_jT2_SQ_T4_T3_P12ihipStream_tbEUlT_E_NS1_11comp_targetILNS1_3genE2ELNS1_11target_archE906ELNS1_3gpuE6ELNS1_3repE0EEENS1_30default_config_static_selectorELNS0_4arch9wavefront6targetE1EEEvSP_.num_agpr, 0
	.set _ZN7rocprim17ROCPRIM_400000_NS6detail17trampoline_kernelINS0_14default_configENS1_32segmented_reduce_config_selectorIdEEZNS1_21segmented_reduce_implIS3_PKdPdPKldN6hipcub16HIPCUB_304000_NS6detail27convert_result_type_wrapperIS8_S9_N2at6native12_GLOBAL__N_19CustomMaxEEEEE10hipError_tPvRmT0_T1_jT2_SQ_T4_T3_P12ihipStream_tbEUlT_E_NS1_11comp_targetILNS1_3genE2ELNS1_11target_archE906ELNS1_3gpuE6ELNS1_3repE0EEENS1_30default_config_static_selectorELNS0_4arch9wavefront6targetE1EEEvSP_.numbered_sgpr, 24
	.set _ZN7rocprim17ROCPRIM_400000_NS6detail17trampoline_kernelINS0_14default_configENS1_32segmented_reduce_config_selectorIdEEZNS1_21segmented_reduce_implIS3_PKdPdPKldN6hipcub16HIPCUB_304000_NS6detail27convert_result_type_wrapperIS8_S9_N2at6native12_GLOBAL__N_19CustomMaxEEEEE10hipError_tPvRmT0_T1_jT2_SQ_T4_T3_P12ihipStream_tbEUlT_E_NS1_11comp_targetILNS1_3genE2ELNS1_11target_archE906ELNS1_3gpuE6ELNS1_3repE0EEENS1_30default_config_static_selectorELNS0_4arch9wavefront6targetE1EEEvSP_.num_named_barrier, 0
	.set _ZN7rocprim17ROCPRIM_400000_NS6detail17trampoline_kernelINS0_14default_configENS1_32segmented_reduce_config_selectorIdEEZNS1_21segmented_reduce_implIS3_PKdPdPKldN6hipcub16HIPCUB_304000_NS6detail27convert_result_type_wrapperIS8_S9_N2at6native12_GLOBAL__N_19CustomMaxEEEEE10hipError_tPvRmT0_T1_jT2_SQ_T4_T3_P12ihipStream_tbEUlT_E_NS1_11comp_targetILNS1_3genE2ELNS1_11target_archE906ELNS1_3gpuE6ELNS1_3repE0EEENS1_30default_config_static_selectorELNS0_4arch9wavefront6targetE1EEEvSP_.private_seg_size, 0
	.set _ZN7rocprim17ROCPRIM_400000_NS6detail17trampoline_kernelINS0_14default_configENS1_32segmented_reduce_config_selectorIdEEZNS1_21segmented_reduce_implIS3_PKdPdPKldN6hipcub16HIPCUB_304000_NS6detail27convert_result_type_wrapperIS8_S9_N2at6native12_GLOBAL__N_19CustomMaxEEEEE10hipError_tPvRmT0_T1_jT2_SQ_T4_T3_P12ihipStream_tbEUlT_E_NS1_11comp_targetILNS1_3genE2ELNS1_11target_archE906ELNS1_3gpuE6ELNS1_3repE0EEENS1_30default_config_static_selectorELNS0_4arch9wavefront6targetE1EEEvSP_.uses_vcc, 1
	.set _ZN7rocprim17ROCPRIM_400000_NS6detail17trampoline_kernelINS0_14default_configENS1_32segmented_reduce_config_selectorIdEEZNS1_21segmented_reduce_implIS3_PKdPdPKldN6hipcub16HIPCUB_304000_NS6detail27convert_result_type_wrapperIS8_S9_N2at6native12_GLOBAL__N_19CustomMaxEEEEE10hipError_tPvRmT0_T1_jT2_SQ_T4_T3_P12ihipStream_tbEUlT_E_NS1_11comp_targetILNS1_3genE2ELNS1_11target_archE906ELNS1_3gpuE6ELNS1_3repE0EEENS1_30default_config_static_selectorELNS0_4arch9wavefront6targetE1EEEvSP_.uses_flat_scratch, 0
	.set _ZN7rocprim17ROCPRIM_400000_NS6detail17trampoline_kernelINS0_14default_configENS1_32segmented_reduce_config_selectorIdEEZNS1_21segmented_reduce_implIS3_PKdPdPKldN6hipcub16HIPCUB_304000_NS6detail27convert_result_type_wrapperIS8_S9_N2at6native12_GLOBAL__N_19CustomMaxEEEEE10hipError_tPvRmT0_T1_jT2_SQ_T4_T3_P12ihipStream_tbEUlT_E_NS1_11comp_targetILNS1_3genE2ELNS1_11target_archE906ELNS1_3gpuE6ELNS1_3repE0EEENS1_30default_config_static_selectorELNS0_4arch9wavefront6targetE1EEEvSP_.has_dyn_sized_stack, 0
	.set _ZN7rocprim17ROCPRIM_400000_NS6detail17trampoline_kernelINS0_14default_configENS1_32segmented_reduce_config_selectorIdEEZNS1_21segmented_reduce_implIS3_PKdPdPKldN6hipcub16HIPCUB_304000_NS6detail27convert_result_type_wrapperIS8_S9_N2at6native12_GLOBAL__N_19CustomMaxEEEEE10hipError_tPvRmT0_T1_jT2_SQ_T4_T3_P12ihipStream_tbEUlT_E_NS1_11comp_targetILNS1_3genE2ELNS1_11target_archE906ELNS1_3gpuE6ELNS1_3repE0EEENS1_30default_config_static_selectorELNS0_4arch9wavefront6targetE1EEEvSP_.has_recursion, 0
	.set _ZN7rocprim17ROCPRIM_400000_NS6detail17trampoline_kernelINS0_14default_configENS1_32segmented_reduce_config_selectorIdEEZNS1_21segmented_reduce_implIS3_PKdPdPKldN6hipcub16HIPCUB_304000_NS6detail27convert_result_type_wrapperIS8_S9_N2at6native12_GLOBAL__N_19CustomMaxEEEEE10hipError_tPvRmT0_T1_jT2_SQ_T4_T3_P12ihipStream_tbEUlT_E_NS1_11comp_targetILNS1_3genE2ELNS1_11target_archE906ELNS1_3gpuE6ELNS1_3repE0EEENS1_30default_config_static_selectorELNS0_4arch9wavefront6targetE1EEEvSP_.has_indirect_call, 0
	.section	.AMDGPU.csdata,"",@progbits
; Kernel info:
; codeLenInByte = 5488
; TotalNumSgprs: 28
; NumVgprs: 26
; ScratchSize: 0
; MemoryBound: 0
; FloatMode: 240
; IeeeMode: 1
; LDSByteSize: 32 bytes/workgroup (compile time only)
; SGPRBlocks: 3
; VGPRBlocks: 6
; NumSGPRsForWavesPerEU: 28
; NumVGPRsForWavesPerEU: 26
; Occupancy: 9
; WaveLimiterHint : 1
; COMPUTE_PGM_RSRC2:SCRATCH_EN: 0
; COMPUTE_PGM_RSRC2:USER_SGPR: 6
; COMPUTE_PGM_RSRC2:TRAP_HANDLER: 0
; COMPUTE_PGM_RSRC2:TGID_X_EN: 1
; COMPUTE_PGM_RSRC2:TGID_Y_EN: 0
; COMPUTE_PGM_RSRC2:TGID_Z_EN: 0
; COMPUTE_PGM_RSRC2:TIDIG_COMP_CNT: 0
	.section	.text._ZN7rocprim17ROCPRIM_400000_NS6detail17trampoline_kernelINS0_14default_configENS1_32segmented_reduce_config_selectorIdEEZNS1_21segmented_reduce_implIS3_PKdPdPKldN6hipcub16HIPCUB_304000_NS6detail27convert_result_type_wrapperIS8_S9_N2at6native12_GLOBAL__N_19CustomMaxEEEEE10hipError_tPvRmT0_T1_jT2_SQ_T4_T3_P12ihipStream_tbEUlT_E_NS1_11comp_targetILNS1_3genE9ELNS1_11target_archE1100ELNS1_3gpuE3ELNS1_3repE0EEENS1_30default_config_static_selectorELNS0_4arch9wavefront6targetE1EEEvSP_,"axG",@progbits,_ZN7rocprim17ROCPRIM_400000_NS6detail17trampoline_kernelINS0_14default_configENS1_32segmented_reduce_config_selectorIdEEZNS1_21segmented_reduce_implIS3_PKdPdPKldN6hipcub16HIPCUB_304000_NS6detail27convert_result_type_wrapperIS8_S9_N2at6native12_GLOBAL__N_19CustomMaxEEEEE10hipError_tPvRmT0_T1_jT2_SQ_T4_T3_P12ihipStream_tbEUlT_E_NS1_11comp_targetILNS1_3genE9ELNS1_11target_archE1100ELNS1_3gpuE3ELNS1_3repE0EEENS1_30default_config_static_selectorELNS0_4arch9wavefront6targetE1EEEvSP_,comdat
	.globl	_ZN7rocprim17ROCPRIM_400000_NS6detail17trampoline_kernelINS0_14default_configENS1_32segmented_reduce_config_selectorIdEEZNS1_21segmented_reduce_implIS3_PKdPdPKldN6hipcub16HIPCUB_304000_NS6detail27convert_result_type_wrapperIS8_S9_N2at6native12_GLOBAL__N_19CustomMaxEEEEE10hipError_tPvRmT0_T1_jT2_SQ_T4_T3_P12ihipStream_tbEUlT_E_NS1_11comp_targetILNS1_3genE9ELNS1_11target_archE1100ELNS1_3gpuE3ELNS1_3repE0EEENS1_30default_config_static_selectorELNS0_4arch9wavefront6targetE1EEEvSP_ ; -- Begin function _ZN7rocprim17ROCPRIM_400000_NS6detail17trampoline_kernelINS0_14default_configENS1_32segmented_reduce_config_selectorIdEEZNS1_21segmented_reduce_implIS3_PKdPdPKldN6hipcub16HIPCUB_304000_NS6detail27convert_result_type_wrapperIS8_S9_N2at6native12_GLOBAL__N_19CustomMaxEEEEE10hipError_tPvRmT0_T1_jT2_SQ_T4_T3_P12ihipStream_tbEUlT_E_NS1_11comp_targetILNS1_3genE9ELNS1_11target_archE1100ELNS1_3gpuE3ELNS1_3repE0EEENS1_30default_config_static_selectorELNS0_4arch9wavefront6targetE1EEEvSP_
	.p2align	8
	.type	_ZN7rocprim17ROCPRIM_400000_NS6detail17trampoline_kernelINS0_14default_configENS1_32segmented_reduce_config_selectorIdEEZNS1_21segmented_reduce_implIS3_PKdPdPKldN6hipcub16HIPCUB_304000_NS6detail27convert_result_type_wrapperIS8_S9_N2at6native12_GLOBAL__N_19CustomMaxEEEEE10hipError_tPvRmT0_T1_jT2_SQ_T4_T3_P12ihipStream_tbEUlT_E_NS1_11comp_targetILNS1_3genE9ELNS1_11target_archE1100ELNS1_3gpuE3ELNS1_3repE0EEENS1_30default_config_static_selectorELNS0_4arch9wavefront6targetE1EEEvSP_,@function
_ZN7rocprim17ROCPRIM_400000_NS6detail17trampoline_kernelINS0_14default_configENS1_32segmented_reduce_config_selectorIdEEZNS1_21segmented_reduce_implIS3_PKdPdPKldN6hipcub16HIPCUB_304000_NS6detail27convert_result_type_wrapperIS8_S9_N2at6native12_GLOBAL__N_19CustomMaxEEEEE10hipError_tPvRmT0_T1_jT2_SQ_T4_T3_P12ihipStream_tbEUlT_E_NS1_11comp_targetILNS1_3genE9ELNS1_11target_archE1100ELNS1_3gpuE3ELNS1_3repE0EEENS1_30default_config_static_selectorELNS0_4arch9wavefront6targetE1EEEvSP_: ; @_ZN7rocprim17ROCPRIM_400000_NS6detail17trampoline_kernelINS0_14default_configENS1_32segmented_reduce_config_selectorIdEEZNS1_21segmented_reduce_implIS3_PKdPdPKldN6hipcub16HIPCUB_304000_NS6detail27convert_result_type_wrapperIS8_S9_N2at6native12_GLOBAL__N_19CustomMaxEEEEE10hipError_tPvRmT0_T1_jT2_SQ_T4_T3_P12ihipStream_tbEUlT_E_NS1_11comp_targetILNS1_3genE9ELNS1_11target_archE1100ELNS1_3gpuE3ELNS1_3repE0EEENS1_30default_config_static_selectorELNS0_4arch9wavefront6targetE1EEEvSP_
; %bb.0:
	.section	.rodata,"a",@progbits
	.p2align	6, 0x0
	.amdhsa_kernel _ZN7rocprim17ROCPRIM_400000_NS6detail17trampoline_kernelINS0_14default_configENS1_32segmented_reduce_config_selectorIdEEZNS1_21segmented_reduce_implIS3_PKdPdPKldN6hipcub16HIPCUB_304000_NS6detail27convert_result_type_wrapperIS8_S9_N2at6native12_GLOBAL__N_19CustomMaxEEEEE10hipError_tPvRmT0_T1_jT2_SQ_T4_T3_P12ihipStream_tbEUlT_E_NS1_11comp_targetILNS1_3genE9ELNS1_11target_archE1100ELNS1_3gpuE3ELNS1_3repE0EEENS1_30default_config_static_selectorELNS0_4arch9wavefront6targetE1EEEvSP_
		.amdhsa_group_segment_fixed_size 0
		.amdhsa_private_segment_fixed_size 0
		.amdhsa_kernarg_size 56
		.amdhsa_user_sgpr_count 6
		.amdhsa_user_sgpr_private_segment_buffer 1
		.amdhsa_user_sgpr_dispatch_ptr 0
		.amdhsa_user_sgpr_queue_ptr 0
		.amdhsa_user_sgpr_kernarg_segment_ptr 1
		.amdhsa_user_sgpr_dispatch_id 0
		.amdhsa_user_sgpr_flat_scratch_init 0
		.amdhsa_user_sgpr_private_segment_size 0
		.amdhsa_uses_dynamic_stack 0
		.amdhsa_system_sgpr_private_segment_wavefront_offset 0
		.amdhsa_system_sgpr_workgroup_id_x 1
		.amdhsa_system_sgpr_workgroup_id_y 0
		.amdhsa_system_sgpr_workgroup_id_z 0
		.amdhsa_system_sgpr_workgroup_info 0
		.amdhsa_system_vgpr_workitem_id 0
		.amdhsa_next_free_vgpr 1
		.amdhsa_next_free_sgpr 0
		.amdhsa_reserve_vcc 0
		.amdhsa_reserve_flat_scratch 0
		.amdhsa_float_round_mode_32 0
		.amdhsa_float_round_mode_16_64 0
		.amdhsa_float_denorm_mode_32 3
		.amdhsa_float_denorm_mode_16_64 3
		.amdhsa_dx10_clamp 1
		.amdhsa_ieee_mode 1
		.amdhsa_fp16_overflow 0
		.amdhsa_exception_fp_ieee_invalid_op 0
		.amdhsa_exception_fp_denorm_src 0
		.amdhsa_exception_fp_ieee_div_zero 0
		.amdhsa_exception_fp_ieee_overflow 0
		.amdhsa_exception_fp_ieee_underflow 0
		.amdhsa_exception_fp_ieee_inexact 0
		.amdhsa_exception_int_div_zero 0
	.end_amdhsa_kernel
	.section	.text._ZN7rocprim17ROCPRIM_400000_NS6detail17trampoline_kernelINS0_14default_configENS1_32segmented_reduce_config_selectorIdEEZNS1_21segmented_reduce_implIS3_PKdPdPKldN6hipcub16HIPCUB_304000_NS6detail27convert_result_type_wrapperIS8_S9_N2at6native12_GLOBAL__N_19CustomMaxEEEEE10hipError_tPvRmT0_T1_jT2_SQ_T4_T3_P12ihipStream_tbEUlT_E_NS1_11comp_targetILNS1_3genE9ELNS1_11target_archE1100ELNS1_3gpuE3ELNS1_3repE0EEENS1_30default_config_static_selectorELNS0_4arch9wavefront6targetE1EEEvSP_,"axG",@progbits,_ZN7rocprim17ROCPRIM_400000_NS6detail17trampoline_kernelINS0_14default_configENS1_32segmented_reduce_config_selectorIdEEZNS1_21segmented_reduce_implIS3_PKdPdPKldN6hipcub16HIPCUB_304000_NS6detail27convert_result_type_wrapperIS8_S9_N2at6native12_GLOBAL__N_19CustomMaxEEEEE10hipError_tPvRmT0_T1_jT2_SQ_T4_T3_P12ihipStream_tbEUlT_E_NS1_11comp_targetILNS1_3genE9ELNS1_11target_archE1100ELNS1_3gpuE3ELNS1_3repE0EEENS1_30default_config_static_selectorELNS0_4arch9wavefront6targetE1EEEvSP_,comdat
.Lfunc_end151:
	.size	_ZN7rocprim17ROCPRIM_400000_NS6detail17trampoline_kernelINS0_14default_configENS1_32segmented_reduce_config_selectorIdEEZNS1_21segmented_reduce_implIS3_PKdPdPKldN6hipcub16HIPCUB_304000_NS6detail27convert_result_type_wrapperIS8_S9_N2at6native12_GLOBAL__N_19CustomMaxEEEEE10hipError_tPvRmT0_T1_jT2_SQ_T4_T3_P12ihipStream_tbEUlT_E_NS1_11comp_targetILNS1_3genE9ELNS1_11target_archE1100ELNS1_3gpuE3ELNS1_3repE0EEENS1_30default_config_static_selectorELNS0_4arch9wavefront6targetE1EEEvSP_, .Lfunc_end151-_ZN7rocprim17ROCPRIM_400000_NS6detail17trampoline_kernelINS0_14default_configENS1_32segmented_reduce_config_selectorIdEEZNS1_21segmented_reduce_implIS3_PKdPdPKldN6hipcub16HIPCUB_304000_NS6detail27convert_result_type_wrapperIS8_S9_N2at6native12_GLOBAL__N_19CustomMaxEEEEE10hipError_tPvRmT0_T1_jT2_SQ_T4_T3_P12ihipStream_tbEUlT_E_NS1_11comp_targetILNS1_3genE9ELNS1_11target_archE1100ELNS1_3gpuE3ELNS1_3repE0EEENS1_30default_config_static_selectorELNS0_4arch9wavefront6targetE1EEEvSP_
                                        ; -- End function
	.set _ZN7rocprim17ROCPRIM_400000_NS6detail17trampoline_kernelINS0_14default_configENS1_32segmented_reduce_config_selectorIdEEZNS1_21segmented_reduce_implIS3_PKdPdPKldN6hipcub16HIPCUB_304000_NS6detail27convert_result_type_wrapperIS8_S9_N2at6native12_GLOBAL__N_19CustomMaxEEEEE10hipError_tPvRmT0_T1_jT2_SQ_T4_T3_P12ihipStream_tbEUlT_E_NS1_11comp_targetILNS1_3genE9ELNS1_11target_archE1100ELNS1_3gpuE3ELNS1_3repE0EEENS1_30default_config_static_selectorELNS0_4arch9wavefront6targetE1EEEvSP_.num_vgpr, 0
	.set _ZN7rocprim17ROCPRIM_400000_NS6detail17trampoline_kernelINS0_14default_configENS1_32segmented_reduce_config_selectorIdEEZNS1_21segmented_reduce_implIS3_PKdPdPKldN6hipcub16HIPCUB_304000_NS6detail27convert_result_type_wrapperIS8_S9_N2at6native12_GLOBAL__N_19CustomMaxEEEEE10hipError_tPvRmT0_T1_jT2_SQ_T4_T3_P12ihipStream_tbEUlT_E_NS1_11comp_targetILNS1_3genE9ELNS1_11target_archE1100ELNS1_3gpuE3ELNS1_3repE0EEENS1_30default_config_static_selectorELNS0_4arch9wavefront6targetE1EEEvSP_.num_agpr, 0
	.set _ZN7rocprim17ROCPRIM_400000_NS6detail17trampoline_kernelINS0_14default_configENS1_32segmented_reduce_config_selectorIdEEZNS1_21segmented_reduce_implIS3_PKdPdPKldN6hipcub16HIPCUB_304000_NS6detail27convert_result_type_wrapperIS8_S9_N2at6native12_GLOBAL__N_19CustomMaxEEEEE10hipError_tPvRmT0_T1_jT2_SQ_T4_T3_P12ihipStream_tbEUlT_E_NS1_11comp_targetILNS1_3genE9ELNS1_11target_archE1100ELNS1_3gpuE3ELNS1_3repE0EEENS1_30default_config_static_selectorELNS0_4arch9wavefront6targetE1EEEvSP_.numbered_sgpr, 0
	.set _ZN7rocprim17ROCPRIM_400000_NS6detail17trampoline_kernelINS0_14default_configENS1_32segmented_reduce_config_selectorIdEEZNS1_21segmented_reduce_implIS3_PKdPdPKldN6hipcub16HIPCUB_304000_NS6detail27convert_result_type_wrapperIS8_S9_N2at6native12_GLOBAL__N_19CustomMaxEEEEE10hipError_tPvRmT0_T1_jT2_SQ_T4_T3_P12ihipStream_tbEUlT_E_NS1_11comp_targetILNS1_3genE9ELNS1_11target_archE1100ELNS1_3gpuE3ELNS1_3repE0EEENS1_30default_config_static_selectorELNS0_4arch9wavefront6targetE1EEEvSP_.num_named_barrier, 0
	.set _ZN7rocprim17ROCPRIM_400000_NS6detail17trampoline_kernelINS0_14default_configENS1_32segmented_reduce_config_selectorIdEEZNS1_21segmented_reduce_implIS3_PKdPdPKldN6hipcub16HIPCUB_304000_NS6detail27convert_result_type_wrapperIS8_S9_N2at6native12_GLOBAL__N_19CustomMaxEEEEE10hipError_tPvRmT0_T1_jT2_SQ_T4_T3_P12ihipStream_tbEUlT_E_NS1_11comp_targetILNS1_3genE9ELNS1_11target_archE1100ELNS1_3gpuE3ELNS1_3repE0EEENS1_30default_config_static_selectorELNS0_4arch9wavefront6targetE1EEEvSP_.private_seg_size, 0
	.set _ZN7rocprim17ROCPRIM_400000_NS6detail17trampoline_kernelINS0_14default_configENS1_32segmented_reduce_config_selectorIdEEZNS1_21segmented_reduce_implIS3_PKdPdPKldN6hipcub16HIPCUB_304000_NS6detail27convert_result_type_wrapperIS8_S9_N2at6native12_GLOBAL__N_19CustomMaxEEEEE10hipError_tPvRmT0_T1_jT2_SQ_T4_T3_P12ihipStream_tbEUlT_E_NS1_11comp_targetILNS1_3genE9ELNS1_11target_archE1100ELNS1_3gpuE3ELNS1_3repE0EEENS1_30default_config_static_selectorELNS0_4arch9wavefront6targetE1EEEvSP_.uses_vcc, 0
	.set _ZN7rocprim17ROCPRIM_400000_NS6detail17trampoline_kernelINS0_14default_configENS1_32segmented_reduce_config_selectorIdEEZNS1_21segmented_reduce_implIS3_PKdPdPKldN6hipcub16HIPCUB_304000_NS6detail27convert_result_type_wrapperIS8_S9_N2at6native12_GLOBAL__N_19CustomMaxEEEEE10hipError_tPvRmT0_T1_jT2_SQ_T4_T3_P12ihipStream_tbEUlT_E_NS1_11comp_targetILNS1_3genE9ELNS1_11target_archE1100ELNS1_3gpuE3ELNS1_3repE0EEENS1_30default_config_static_selectorELNS0_4arch9wavefront6targetE1EEEvSP_.uses_flat_scratch, 0
	.set _ZN7rocprim17ROCPRIM_400000_NS6detail17trampoline_kernelINS0_14default_configENS1_32segmented_reduce_config_selectorIdEEZNS1_21segmented_reduce_implIS3_PKdPdPKldN6hipcub16HIPCUB_304000_NS6detail27convert_result_type_wrapperIS8_S9_N2at6native12_GLOBAL__N_19CustomMaxEEEEE10hipError_tPvRmT0_T1_jT2_SQ_T4_T3_P12ihipStream_tbEUlT_E_NS1_11comp_targetILNS1_3genE9ELNS1_11target_archE1100ELNS1_3gpuE3ELNS1_3repE0EEENS1_30default_config_static_selectorELNS0_4arch9wavefront6targetE1EEEvSP_.has_dyn_sized_stack, 0
	.set _ZN7rocprim17ROCPRIM_400000_NS6detail17trampoline_kernelINS0_14default_configENS1_32segmented_reduce_config_selectorIdEEZNS1_21segmented_reduce_implIS3_PKdPdPKldN6hipcub16HIPCUB_304000_NS6detail27convert_result_type_wrapperIS8_S9_N2at6native12_GLOBAL__N_19CustomMaxEEEEE10hipError_tPvRmT0_T1_jT2_SQ_T4_T3_P12ihipStream_tbEUlT_E_NS1_11comp_targetILNS1_3genE9ELNS1_11target_archE1100ELNS1_3gpuE3ELNS1_3repE0EEENS1_30default_config_static_selectorELNS0_4arch9wavefront6targetE1EEEvSP_.has_recursion, 0
	.set _ZN7rocprim17ROCPRIM_400000_NS6detail17trampoline_kernelINS0_14default_configENS1_32segmented_reduce_config_selectorIdEEZNS1_21segmented_reduce_implIS3_PKdPdPKldN6hipcub16HIPCUB_304000_NS6detail27convert_result_type_wrapperIS8_S9_N2at6native12_GLOBAL__N_19CustomMaxEEEEE10hipError_tPvRmT0_T1_jT2_SQ_T4_T3_P12ihipStream_tbEUlT_E_NS1_11comp_targetILNS1_3genE9ELNS1_11target_archE1100ELNS1_3gpuE3ELNS1_3repE0EEENS1_30default_config_static_selectorELNS0_4arch9wavefront6targetE1EEEvSP_.has_indirect_call, 0
	.section	.AMDGPU.csdata,"",@progbits
; Kernel info:
; codeLenInByte = 0
; TotalNumSgprs: 4
; NumVgprs: 0
; ScratchSize: 0
; MemoryBound: 0
; FloatMode: 240
; IeeeMode: 1
; LDSByteSize: 0 bytes/workgroup (compile time only)
; SGPRBlocks: 0
; VGPRBlocks: 0
; NumSGPRsForWavesPerEU: 4
; NumVGPRsForWavesPerEU: 1
; Occupancy: 10
; WaveLimiterHint : 0
; COMPUTE_PGM_RSRC2:SCRATCH_EN: 0
; COMPUTE_PGM_RSRC2:USER_SGPR: 6
; COMPUTE_PGM_RSRC2:TRAP_HANDLER: 0
; COMPUTE_PGM_RSRC2:TGID_X_EN: 1
; COMPUTE_PGM_RSRC2:TGID_Y_EN: 0
; COMPUTE_PGM_RSRC2:TGID_Z_EN: 0
; COMPUTE_PGM_RSRC2:TIDIG_COMP_CNT: 0
	.section	.text._ZN7rocprim17ROCPRIM_400000_NS6detail17trampoline_kernelINS0_14default_configENS1_32segmented_reduce_config_selectorIdEEZNS1_21segmented_reduce_implIS3_PKdPdPKldN6hipcub16HIPCUB_304000_NS6detail27convert_result_type_wrapperIS8_S9_N2at6native12_GLOBAL__N_19CustomMaxEEEEE10hipError_tPvRmT0_T1_jT2_SQ_T4_T3_P12ihipStream_tbEUlT_E_NS1_11comp_targetILNS1_3genE8ELNS1_11target_archE1030ELNS1_3gpuE2ELNS1_3repE0EEENS1_30default_config_static_selectorELNS0_4arch9wavefront6targetE1EEEvSP_,"axG",@progbits,_ZN7rocprim17ROCPRIM_400000_NS6detail17trampoline_kernelINS0_14default_configENS1_32segmented_reduce_config_selectorIdEEZNS1_21segmented_reduce_implIS3_PKdPdPKldN6hipcub16HIPCUB_304000_NS6detail27convert_result_type_wrapperIS8_S9_N2at6native12_GLOBAL__N_19CustomMaxEEEEE10hipError_tPvRmT0_T1_jT2_SQ_T4_T3_P12ihipStream_tbEUlT_E_NS1_11comp_targetILNS1_3genE8ELNS1_11target_archE1030ELNS1_3gpuE2ELNS1_3repE0EEENS1_30default_config_static_selectorELNS0_4arch9wavefront6targetE1EEEvSP_,comdat
	.globl	_ZN7rocprim17ROCPRIM_400000_NS6detail17trampoline_kernelINS0_14default_configENS1_32segmented_reduce_config_selectorIdEEZNS1_21segmented_reduce_implIS3_PKdPdPKldN6hipcub16HIPCUB_304000_NS6detail27convert_result_type_wrapperIS8_S9_N2at6native12_GLOBAL__N_19CustomMaxEEEEE10hipError_tPvRmT0_T1_jT2_SQ_T4_T3_P12ihipStream_tbEUlT_E_NS1_11comp_targetILNS1_3genE8ELNS1_11target_archE1030ELNS1_3gpuE2ELNS1_3repE0EEENS1_30default_config_static_selectorELNS0_4arch9wavefront6targetE1EEEvSP_ ; -- Begin function _ZN7rocprim17ROCPRIM_400000_NS6detail17trampoline_kernelINS0_14default_configENS1_32segmented_reduce_config_selectorIdEEZNS1_21segmented_reduce_implIS3_PKdPdPKldN6hipcub16HIPCUB_304000_NS6detail27convert_result_type_wrapperIS8_S9_N2at6native12_GLOBAL__N_19CustomMaxEEEEE10hipError_tPvRmT0_T1_jT2_SQ_T4_T3_P12ihipStream_tbEUlT_E_NS1_11comp_targetILNS1_3genE8ELNS1_11target_archE1030ELNS1_3gpuE2ELNS1_3repE0EEENS1_30default_config_static_selectorELNS0_4arch9wavefront6targetE1EEEvSP_
	.p2align	8
	.type	_ZN7rocprim17ROCPRIM_400000_NS6detail17trampoline_kernelINS0_14default_configENS1_32segmented_reduce_config_selectorIdEEZNS1_21segmented_reduce_implIS3_PKdPdPKldN6hipcub16HIPCUB_304000_NS6detail27convert_result_type_wrapperIS8_S9_N2at6native12_GLOBAL__N_19CustomMaxEEEEE10hipError_tPvRmT0_T1_jT2_SQ_T4_T3_P12ihipStream_tbEUlT_E_NS1_11comp_targetILNS1_3genE8ELNS1_11target_archE1030ELNS1_3gpuE2ELNS1_3repE0EEENS1_30default_config_static_selectorELNS0_4arch9wavefront6targetE1EEEvSP_,@function
_ZN7rocprim17ROCPRIM_400000_NS6detail17trampoline_kernelINS0_14default_configENS1_32segmented_reduce_config_selectorIdEEZNS1_21segmented_reduce_implIS3_PKdPdPKldN6hipcub16HIPCUB_304000_NS6detail27convert_result_type_wrapperIS8_S9_N2at6native12_GLOBAL__N_19CustomMaxEEEEE10hipError_tPvRmT0_T1_jT2_SQ_T4_T3_P12ihipStream_tbEUlT_E_NS1_11comp_targetILNS1_3genE8ELNS1_11target_archE1030ELNS1_3gpuE2ELNS1_3repE0EEENS1_30default_config_static_selectorELNS0_4arch9wavefront6targetE1EEEvSP_: ; @_ZN7rocprim17ROCPRIM_400000_NS6detail17trampoline_kernelINS0_14default_configENS1_32segmented_reduce_config_selectorIdEEZNS1_21segmented_reduce_implIS3_PKdPdPKldN6hipcub16HIPCUB_304000_NS6detail27convert_result_type_wrapperIS8_S9_N2at6native12_GLOBAL__N_19CustomMaxEEEEE10hipError_tPvRmT0_T1_jT2_SQ_T4_T3_P12ihipStream_tbEUlT_E_NS1_11comp_targetILNS1_3genE8ELNS1_11target_archE1030ELNS1_3gpuE2ELNS1_3repE0EEENS1_30default_config_static_selectorELNS0_4arch9wavefront6targetE1EEEvSP_
; %bb.0:
	.section	.rodata,"a",@progbits
	.p2align	6, 0x0
	.amdhsa_kernel _ZN7rocprim17ROCPRIM_400000_NS6detail17trampoline_kernelINS0_14default_configENS1_32segmented_reduce_config_selectorIdEEZNS1_21segmented_reduce_implIS3_PKdPdPKldN6hipcub16HIPCUB_304000_NS6detail27convert_result_type_wrapperIS8_S9_N2at6native12_GLOBAL__N_19CustomMaxEEEEE10hipError_tPvRmT0_T1_jT2_SQ_T4_T3_P12ihipStream_tbEUlT_E_NS1_11comp_targetILNS1_3genE8ELNS1_11target_archE1030ELNS1_3gpuE2ELNS1_3repE0EEENS1_30default_config_static_selectorELNS0_4arch9wavefront6targetE1EEEvSP_
		.amdhsa_group_segment_fixed_size 0
		.amdhsa_private_segment_fixed_size 0
		.amdhsa_kernarg_size 56
		.amdhsa_user_sgpr_count 6
		.amdhsa_user_sgpr_private_segment_buffer 1
		.amdhsa_user_sgpr_dispatch_ptr 0
		.amdhsa_user_sgpr_queue_ptr 0
		.amdhsa_user_sgpr_kernarg_segment_ptr 1
		.amdhsa_user_sgpr_dispatch_id 0
		.amdhsa_user_sgpr_flat_scratch_init 0
		.amdhsa_user_sgpr_private_segment_size 0
		.amdhsa_uses_dynamic_stack 0
		.amdhsa_system_sgpr_private_segment_wavefront_offset 0
		.amdhsa_system_sgpr_workgroup_id_x 1
		.amdhsa_system_sgpr_workgroup_id_y 0
		.amdhsa_system_sgpr_workgroup_id_z 0
		.amdhsa_system_sgpr_workgroup_info 0
		.amdhsa_system_vgpr_workitem_id 0
		.amdhsa_next_free_vgpr 1
		.amdhsa_next_free_sgpr 0
		.amdhsa_reserve_vcc 0
		.amdhsa_reserve_flat_scratch 0
		.amdhsa_float_round_mode_32 0
		.amdhsa_float_round_mode_16_64 0
		.amdhsa_float_denorm_mode_32 3
		.amdhsa_float_denorm_mode_16_64 3
		.amdhsa_dx10_clamp 1
		.amdhsa_ieee_mode 1
		.amdhsa_fp16_overflow 0
		.amdhsa_exception_fp_ieee_invalid_op 0
		.amdhsa_exception_fp_denorm_src 0
		.amdhsa_exception_fp_ieee_div_zero 0
		.amdhsa_exception_fp_ieee_overflow 0
		.amdhsa_exception_fp_ieee_underflow 0
		.amdhsa_exception_fp_ieee_inexact 0
		.amdhsa_exception_int_div_zero 0
	.end_amdhsa_kernel
	.section	.text._ZN7rocprim17ROCPRIM_400000_NS6detail17trampoline_kernelINS0_14default_configENS1_32segmented_reduce_config_selectorIdEEZNS1_21segmented_reduce_implIS3_PKdPdPKldN6hipcub16HIPCUB_304000_NS6detail27convert_result_type_wrapperIS8_S9_N2at6native12_GLOBAL__N_19CustomMaxEEEEE10hipError_tPvRmT0_T1_jT2_SQ_T4_T3_P12ihipStream_tbEUlT_E_NS1_11comp_targetILNS1_3genE8ELNS1_11target_archE1030ELNS1_3gpuE2ELNS1_3repE0EEENS1_30default_config_static_selectorELNS0_4arch9wavefront6targetE1EEEvSP_,"axG",@progbits,_ZN7rocprim17ROCPRIM_400000_NS6detail17trampoline_kernelINS0_14default_configENS1_32segmented_reduce_config_selectorIdEEZNS1_21segmented_reduce_implIS3_PKdPdPKldN6hipcub16HIPCUB_304000_NS6detail27convert_result_type_wrapperIS8_S9_N2at6native12_GLOBAL__N_19CustomMaxEEEEE10hipError_tPvRmT0_T1_jT2_SQ_T4_T3_P12ihipStream_tbEUlT_E_NS1_11comp_targetILNS1_3genE8ELNS1_11target_archE1030ELNS1_3gpuE2ELNS1_3repE0EEENS1_30default_config_static_selectorELNS0_4arch9wavefront6targetE1EEEvSP_,comdat
.Lfunc_end152:
	.size	_ZN7rocprim17ROCPRIM_400000_NS6detail17trampoline_kernelINS0_14default_configENS1_32segmented_reduce_config_selectorIdEEZNS1_21segmented_reduce_implIS3_PKdPdPKldN6hipcub16HIPCUB_304000_NS6detail27convert_result_type_wrapperIS8_S9_N2at6native12_GLOBAL__N_19CustomMaxEEEEE10hipError_tPvRmT0_T1_jT2_SQ_T4_T3_P12ihipStream_tbEUlT_E_NS1_11comp_targetILNS1_3genE8ELNS1_11target_archE1030ELNS1_3gpuE2ELNS1_3repE0EEENS1_30default_config_static_selectorELNS0_4arch9wavefront6targetE1EEEvSP_, .Lfunc_end152-_ZN7rocprim17ROCPRIM_400000_NS6detail17trampoline_kernelINS0_14default_configENS1_32segmented_reduce_config_selectorIdEEZNS1_21segmented_reduce_implIS3_PKdPdPKldN6hipcub16HIPCUB_304000_NS6detail27convert_result_type_wrapperIS8_S9_N2at6native12_GLOBAL__N_19CustomMaxEEEEE10hipError_tPvRmT0_T1_jT2_SQ_T4_T3_P12ihipStream_tbEUlT_E_NS1_11comp_targetILNS1_3genE8ELNS1_11target_archE1030ELNS1_3gpuE2ELNS1_3repE0EEENS1_30default_config_static_selectorELNS0_4arch9wavefront6targetE1EEEvSP_
                                        ; -- End function
	.set _ZN7rocprim17ROCPRIM_400000_NS6detail17trampoline_kernelINS0_14default_configENS1_32segmented_reduce_config_selectorIdEEZNS1_21segmented_reduce_implIS3_PKdPdPKldN6hipcub16HIPCUB_304000_NS6detail27convert_result_type_wrapperIS8_S9_N2at6native12_GLOBAL__N_19CustomMaxEEEEE10hipError_tPvRmT0_T1_jT2_SQ_T4_T3_P12ihipStream_tbEUlT_E_NS1_11comp_targetILNS1_3genE8ELNS1_11target_archE1030ELNS1_3gpuE2ELNS1_3repE0EEENS1_30default_config_static_selectorELNS0_4arch9wavefront6targetE1EEEvSP_.num_vgpr, 0
	.set _ZN7rocprim17ROCPRIM_400000_NS6detail17trampoline_kernelINS0_14default_configENS1_32segmented_reduce_config_selectorIdEEZNS1_21segmented_reduce_implIS3_PKdPdPKldN6hipcub16HIPCUB_304000_NS6detail27convert_result_type_wrapperIS8_S9_N2at6native12_GLOBAL__N_19CustomMaxEEEEE10hipError_tPvRmT0_T1_jT2_SQ_T4_T3_P12ihipStream_tbEUlT_E_NS1_11comp_targetILNS1_3genE8ELNS1_11target_archE1030ELNS1_3gpuE2ELNS1_3repE0EEENS1_30default_config_static_selectorELNS0_4arch9wavefront6targetE1EEEvSP_.num_agpr, 0
	.set _ZN7rocprim17ROCPRIM_400000_NS6detail17trampoline_kernelINS0_14default_configENS1_32segmented_reduce_config_selectorIdEEZNS1_21segmented_reduce_implIS3_PKdPdPKldN6hipcub16HIPCUB_304000_NS6detail27convert_result_type_wrapperIS8_S9_N2at6native12_GLOBAL__N_19CustomMaxEEEEE10hipError_tPvRmT0_T1_jT2_SQ_T4_T3_P12ihipStream_tbEUlT_E_NS1_11comp_targetILNS1_3genE8ELNS1_11target_archE1030ELNS1_3gpuE2ELNS1_3repE0EEENS1_30default_config_static_selectorELNS0_4arch9wavefront6targetE1EEEvSP_.numbered_sgpr, 0
	.set _ZN7rocprim17ROCPRIM_400000_NS6detail17trampoline_kernelINS0_14default_configENS1_32segmented_reduce_config_selectorIdEEZNS1_21segmented_reduce_implIS3_PKdPdPKldN6hipcub16HIPCUB_304000_NS6detail27convert_result_type_wrapperIS8_S9_N2at6native12_GLOBAL__N_19CustomMaxEEEEE10hipError_tPvRmT0_T1_jT2_SQ_T4_T3_P12ihipStream_tbEUlT_E_NS1_11comp_targetILNS1_3genE8ELNS1_11target_archE1030ELNS1_3gpuE2ELNS1_3repE0EEENS1_30default_config_static_selectorELNS0_4arch9wavefront6targetE1EEEvSP_.num_named_barrier, 0
	.set _ZN7rocprim17ROCPRIM_400000_NS6detail17trampoline_kernelINS0_14default_configENS1_32segmented_reduce_config_selectorIdEEZNS1_21segmented_reduce_implIS3_PKdPdPKldN6hipcub16HIPCUB_304000_NS6detail27convert_result_type_wrapperIS8_S9_N2at6native12_GLOBAL__N_19CustomMaxEEEEE10hipError_tPvRmT0_T1_jT2_SQ_T4_T3_P12ihipStream_tbEUlT_E_NS1_11comp_targetILNS1_3genE8ELNS1_11target_archE1030ELNS1_3gpuE2ELNS1_3repE0EEENS1_30default_config_static_selectorELNS0_4arch9wavefront6targetE1EEEvSP_.private_seg_size, 0
	.set _ZN7rocprim17ROCPRIM_400000_NS6detail17trampoline_kernelINS0_14default_configENS1_32segmented_reduce_config_selectorIdEEZNS1_21segmented_reduce_implIS3_PKdPdPKldN6hipcub16HIPCUB_304000_NS6detail27convert_result_type_wrapperIS8_S9_N2at6native12_GLOBAL__N_19CustomMaxEEEEE10hipError_tPvRmT0_T1_jT2_SQ_T4_T3_P12ihipStream_tbEUlT_E_NS1_11comp_targetILNS1_3genE8ELNS1_11target_archE1030ELNS1_3gpuE2ELNS1_3repE0EEENS1_30default_config_static_selectorELNS0_4arch9wavefront6targetE1EEEvSP_.uses_vcc, 0
	.set _ZN7rocprim17ROCPRIM_400000_NS6detail17trampoline_kernelINS0_14default_configENS1_32segmented_reduce_config_selectorIdEEZNS1_21segmented_reduce_implIS3_PKdPdPKldN6hipcub16HIPCUB_304000_NS6detail27convert_result_type_wrapperIS8_S9_N2at6native12_GLOBAL__N_19CustomMaxEEEEE10hipError_tPvRmT0_T1_jT2_SQ_T4_T3_P12ihipStream_tbEUlT_E_NS1_11comp_targetILNS1_3genE8ELNS1_11target_archE1030ELNS1_3gpuE2ELNS1_3repE0EEENS1_30default_config_static_selectorELNS0_4arch9wavefront6targetE1EEEvSP_.uses_flat_scratch, 0
	.set _ZN7rocprim17ROCPRIM_400000_NS6detail17trampoline_kernelINS0_14default_configENS1_32segmented_reduce_config_selectorIdEEZNS1_21segmented_reduce_implIS3_PKdPdPKldN6hipcub16HIPCUB_304000_NS6detail27convert_result_type_wrapperIS8_S9_N2at6native12_GLOBAL__N_19CustomMaxEEEEE10hipError_tPvRmT0_T1_jT2_SQ_T4_T3_P12ihipStream_tbEUlT_E_NS1_11comp_targetILNS1_3genE8ELNS1_11target_archE1030ELNS1_3gpuE2ELNS1_3repE0EEENS1_30default_config_static_selectorELNS0_4arch9wavefront6targetE1EEEvSP_.has_dyn_sized_stack, 0
	.set _ZN7rocprim17ROCPRIM_400000_NS6detail17trampoline_kernelINS0_14default_configENS1_32segmented_reduce_config_selectorIdEEZNS1_21segmented_reduce_implIS3_PKdPdPKldN6hipcub16HIPCUB_304000_NS6detail27convert_result_type_wrapperIS8_S9_N2at6native12_GLOBAL__N_19CustomMaxEEEEE10hipError_tPvRmT0_T1_jT2_SQ_T4_T3_P12ihipStream_tbEUlT_E_NS1_11comp_targetILNS1_3genE8ELNS1_11target_archE1030ELNS1_3gpuE2ELNS1_3repE0EEENS1_30default_config_static_selectorELNS0_4arch9wavefront6targetE1EEEvSP_.has_recursion, 0
	.set _ZN7rocprim17ROCPRIM_400000_NS6detail17trampoline_kernelINS0_14default_configENS1_32segmented_reduce_config_selectorIdEEZNS1_21segmented_reduce_implIS3_PKdPdPKldN6hipcub16HIPCUB_304000_NS6detail27convert_result_type_wrapperIS8_S9_N2at6native12_GLOBAL__N_19CustomMaxEEEEE10hipError_tPvRmT0_T1_jT2_SQ_T4_T3_P12ihipStream_tbEUlT_E_NS1_11comp_targetILNS1_3genE8ELNS1_11target_archE1030ELNS1_3gpuE2ELNS1_3repE0EEENS1_30default_config_static_selectorELNS0_4arch9wavefront6targetE1EEEvSP_.has_indirect_call, 0
	.section	.AMDGPU.csdata,"",@progbits
; Kernel info:
; codeLenInByte = 0
; TotalNumSgprs: 4
; NumVgprs: 0
; ScratchSize: 0
; MemoryBound: 0
; FloatMode: 240
; IeeeMode: 1
; LDSByteSize: 0 bytes/workgroup (compile time only)
; SGPRBlocks: 0
; VGPRBlocks: 0
; NumSGPRsForWavesPerEU: 4
; NumVGPRsForWavesPerEU: 1
; Occupancy: 10
; WaveLimiterHint : 0
; COMPUTE_PGM_RSRC2:SCRATCH_EN: 0
; COMPUTE_PGM_RSRC2:USER_SGPR: 6
; COMPUTE_PGM_RSRC2:TRAP_HANDLER: 0
; COMPUTE_PGM_RSRC2:TGID_X_EN: 1
; COMPUTE_PGM_RSRC2:TGID_Y_EN: 0
; COMPUTE_PGM_RSRC2:TGID_Z_EN: 0
; COMPUTE_PGM_RSRC2:TIDIG_COMP_CNT: 0
	.section	.text._ZN7rocprim17ROCPRIM_400000_NS6detail17trampoline_kernelINS0_14default_configENS1_32segmented_reduce_config_selectorIdEEZNS1_21segmented_reduce_implIS3_PKdPdPKldN6hipcub16HIPCUB_304000_NS6detail27convert_result_type_wrapperIS8_S9_N2at6native12_GLOBAL__N_19CustomSumEEEEE10hipError_tPvRmT0_T1_jT2_SQ_T4_T3_P12ihipStream_tbEUlT_E_NS1_11comp_targetILNS1_3genE0ELNS1_11target_archE4294967295ELNS1_3gpuE0ELNS1_3repE0EEENS1_30default_config_static_selectorELNS0_4arch9wavefront6targetE1EEEvSP_,"axG",@progbits,_ZN7rocprim17ROCPRIM_400000_NS6detail17trampoline_kernelINS0_14default_configENS1_32segmented_reduce_config_selectorIdEEZNS1_21segmented_reduce_implIS3_PKdPdPKldN6hipcub16HIPCUB_304000_NS6detail27convert_result_type_wrapperIS8_S9_N2at6native12_GLOBAL__N_19CustomSumEEEEE10hipError_tPvRmT0_T1_jT2_SQ_T4_T3_P12ihipStream_tbEUlT_E_NS1_11comp_targetILNS1_3genE0ELNS1_11target_archE4294967295ELNS1_3gpuE0ELNS1_3repE0EEENS1_30default_config_static_selectorELNS0_4arch9wavefront6targetE1EEEvSP_,comdat
	.globl	_ZN7rocprim17ROCPRIM_400000_NS6detail17trampoline_kernelINS0_14default_configENS1_32segmented_reduce_config_selectorIdEEZNS1_21segmented_reduce_implIS3_PKdPdPKldN6hipcub16HIPCUB_304000_NS6detail27convert_result_type_wrapperIS8_S9_N2at6native12_GLOBAL__N_19CustomSumEEEEE10hipError_tPvRmT0_T1_jT2_SQ_T4_T3_P12ihipStream_tbEUlT_E_NS1_11comp_targetILNS1_3genE0ELNS1_11target_archE4294967295ELNS1_3gpuE0ELNS1_3repE0EEENS1_30default_config_static_selectorELNS0_4arch9wavefront6targetE1EEEvSP_ ; -- Begin function _ZN7rocprim17ROCPRIM_400000_NS6detail17trampoline_kernelINS0_14default_configENS1_32segmented_reduce_config_selectorIdEEZNS1_21segmented_reduce_implIS3_PKdPdPKldN6hipcub16HIPCUB_304000_NS6detail27convert_result_type_wrapperIS8_S9_N2at6native12_GLOBAL__N_19CustomSumEEEEE10hipError_tPvRmT0_T1_jT2_SQ_T4_T3_P12ihipStream_tbEUlT_E_NS1_11comp_targetILNS1_3genE0ELNS1_11target_archE4294967295ELNS1_3gpuE0ELNS1_3repE0EEENS1_30default_config_static_selectorELNS0_4arch9wavefront6targetE1EEEvSP_
	.p2align	8
	.type	_ZN7rocprim17ROCPRIM_400000_NS6detail17trampoline_kernelINS0_14default_configENS1_32segmented_reduce_config_selectorIdEEZNS1_21segmented_reduce_implIS3_PKdPdPKldN6hipcub16HIPCUB_304000_NS6detail27convert_result_type_wrapperIS8_S9_N2at6native12_GLOBAL__N_19CustomSumEEEEE10hipError_tPvRmT0_T1_jT2_SQ_T4_T3_P12ihipStream_tbEUlT_E_NS1_11comp_targetILNS1_3genE0ELNS1_11target_archE4294967295ELNS1_3gpuE0ELNS1_3repE0EEENS1_30default_config_static_selectorELNS0_4arch9wavefront6targetE1EEEvSP_,@function
_ZN7rocprim17ROCPRIM_400000_NS6detail17trampoline_kernelINS0_14default_configENS1_32segmented_reduce_config_selectorIdEEZNS1_21segmented_reduce_implIS3_PKdPdPKldN6hipcub16HIPCUB_304000_NS6detail27convert_result_type_wrapperIS8_S9_N2at6native12_GLOBAL__N_19CustomSumEEEEE10hipError_tPvRmT0_T1_jT2_SQ_T4_T3_P12ihipStream_tbEUlT_E_NS1_11comp_targetILNS1_3genE0ELNS1_11target_archE4294967295ELNS1_3gpuE0ELNS1_3repE0EEENS1_30default_config_static_selectorELNS0_4arch9wavefront6targetE1EEEvSP_: ; @_ZN7rocprim17ROCPRIM_400000_NS6detail17trampoline_kernelINS0_14default_configENS1_32segmented_reduce_config_selectorIdEEZNS1_21segmented_reduce_implIS3_PKdPdPKldN6hipcub16HIPCUB_304000_NS6detail27convert_result_type_wrapperIS8_S9_N2at6native12_GLOBAL__N_19CustomSumEEEEE10hipError_tPvRmT0_T1_jT2_SQ_T4_T3_P12ihipStream_tbEUlT_E_NS1_11comp_targetILNS1_3genE0ELNS1_11target_archE4294967295ELNS1_3gpuE0ELNS1_3repE0EEENS1_30default_config_static_selectorELNS0_4arch9wavefront6targetE1EEEvSP_
; %bb.0:
	.section	.rodata,"a",@progbits
	.p2align	6, 0x0
	.amdhsa_kernel _ZN7rocprim17ROCPRIM_400000_NS6detail17trampoline_kernelINS0_14default_configENS1_32segmented_reduce_config_selectorIdEEZNS1_21segmented_reduce_implIS3_PKdPdPKldN6hipcub16HIPCUB_304000_NS6detail27convert_result_type_wrapperIS8_S9_N2at6native12_GLOBAL__N_19CustomSumEEEEE10hipError_tPvRmT0_T1_jT2_SQ_T4_T3_P12ihipStream_tbEUlT_E_NS1_11comp_targetILNS1_3genE0ELNS1_11target_archE4294967295ELNS1_3gpuE0ELNS1_3repE0EEENS1_30default_config_static_selectorELNS0_4arch9wavefront6targetE1EEEvSP_
		.amdhsa_group_segment_fixed_size 0
		.amdhsa_private_segment_fixed_size 0
		.amdhsa_kernarg_size 56
		.amdhsa_user_sgpr_count 6
		.amdhsa_user_sgpr_private_segment_buffer 1
		.amdhsa_user_sgpr_dispatch_ptr 0
		.amdhsa_user_sgpr_queue_ptr 0
		.amdhsa_user_sgpr_kernarg_segment_ptr 1
		.amdhsa_user_sgpr_dispatch_id 0
		.amdhsa_user_sgpr_flat_scratch_init 0
		.amdhsa_user_sgpr_private_segment_size 0
		.amdhsa_uses_dynamic_stack 0
		.amdhsa_system_sgpr_private_segment_wavefront_offset 0
		.amdhsa_system_sgpr_workgroup_id_x 1
		.amdhsa_system_sgpr_workgroup_id_y 0
		.amdhsa_system_sgpr_workgroup_id_z 0
		.amdhsa_system_sgpr_workgroup_info 0
		.amdhsa_system_vgpr_workitem_id 0
		.amdhsa_next_free_vgpr 1
		.amdhsa_next_free_sgpr 0
		.amdhsa_reserve_vcc 0
		.amdhsa_reserve_flat_scratch 0
		.amdhsa_float_round_mode_32 0
		.amdhsa_float_round_mode_16_64 0
		.amdhsa_float_denorm_mode_32 3
		.amdhsa_float_denorm_mode_16_64 3
		.amdhsa_dx10_clamp 1
		.amdhsa_ieee_mode 1
		.amdhsa_fp16_overflow 0
		.amdhsa_exception_fp_ieee_invalid_op 0
		.amdhsa_exception_fp_denorm_src 0
		.amdhsa_exception_fp_ieee_div_zero 0
		.amdhsa_exception_fp_ieee_overflow 0
		.amdhsa_exception_fp_ieee_underflow 0
		.amdhsa_exception_fp_ieee_inexact 0
		.amdhsa_exception_int_div_zero 0
	.end_amdhsa_kernel
	.section	.text._ZN7rocprim17ROCPRIM_400000_NS6detail17trampoline_kernelINS0_14default_configENS1_32segmented_reduce_config_selectorIdEEZNS1_21segmented_reduce_implIS3_PKdPdPKldN6hipcub16HIPCUB_304000_NS6detail27convert_result_type_wrapperIS8_S9_N2at6native12_GLOBAL__N_19CustomSumEEEEE10hipError_tPvRmT0_T1_jT2_SQ_T4_T3_P12ihipStream_tbEUlT_E_NS1_11comp_targetILNS1_3genE0ELNS1_11target_archE4294967295ELNS1_3gpuE0ELNS1_3repE0EEENS1_30default_config_static_selectorELNS0_4arch9wavefront6targetE1EEEvSP_,"axG",@progbits,_ZN7rocprim17ROCPRIM_400000_NS6detail17trampoline_kernelINS0_14default_configENS1_32segmented_reduce_config_selectorIdEEZNS1_21segmented_reduce_implIS3_PKdPdPKldN6hipcub16HIPCUB_304000_NS6detail27convert_result_type_wrapperIS8_S9_N2at6native12_GLOBAL__N_19CustomSumEEEEE10hipError_tPvRmT0_T1_jT2_SQ_T4_T3_P12ihipStream_tbEUlT_E_NS1_11comp_targetILNS1_3genE0ELNS1_11target_archE4294967295ELNS1_3gpuE0ELNS1_3repE0EEENS1_30default_config_static_selectorELNS0_4arch9wavefront6targetE1EEEvSP_,comdat
.Lfunc_end153:
	.size	_ZN7rocprim17ROCPRIM_400000_NS6detail17trampoline_kernelINS0_14default_configENS1_32segmented_reduce_config_selectorIdEEZNS1_21segmented_reduce_implIS3_PKdPdPKldN6hipcub16HIPCUB_304000_NS6detail27convert_result_type_wrapperIS8_S9_N2at6native12_GLOBAL__N_19CustomSumEEEEE10hipError_tPvRmT0_T1_jT2_SQ_T4_T3_P12ihipStream_tbEUlT_E_NS1_11comp_targetILNS1_3genE0ELNS1_11target_archE4294967295ELNS1_3gpuE0ELNS1_3repE0EEENS1_30default_config_static_selectorELNS0_4arch9wavefront6targetE1EEEvSP_, .Lfunc_end153-_ZN7rocprim17ROCPRIM_400000_NS6detail17trampoline_kernelINS0_14default_configENS1_32segmented_reduce_config_selectorIdEEZNS1_21segmented_reduce_implIS3_PKdPdPKldN6hipcub16HIPCUB_304000_NS6detail27convert_result_type_wrapperIS8_S9_N2at6native12_GLOBAL__N_19CustomSumEEEEE10hipError_tPvRmT0_T1_jT2_SQ_T4_T3_P12ihipStream_tbEUlT_E_NS1_11comp_targetILNS1_3genE0ELNS1_11target_archE4294967295ELNS1_3gpuE0ELNS1_3repE0EEENS1_30default_config_static_selectorELNS0_4arch9wavefront6targetE1EEEvSP_
                                        ; -- End function
	.set _ZN7rocprim17ROCPRIM_400000_NS6detail17trampoline_kernelINS0_14default_configENS1_32segmented_reduce_config_selectorIdEEZNS1_21segmented_reduce_implIS3_PKdPdPKldN6hipcub16HIPCUB_304000_NS6detail27convert_result_type_wrapperIS8_S9_N2at6native12_GLOBAL__N_19CustomSumEEEEE10hipError_tPvRmT0_T1_jT2_SQ_T4_T3_P12ihipStream_tbEUlT_E_NS1_11comp_targetILNS1_3genE0ELNS1_11target_archE4294967295ELNS1_3gpuE0ELNS1_3repE0EEENS1_30default_config_static_selectorELNS0_4arch9wavefront6targetE1EEEvSP_.num_vgpr, 0
	.set _ZN7rocprim17ROCPRIM_400000_NS6detail17trampoline_kernelINS0_14default_configENS1_32segmented_reduce_config_selectorIdEEZNS1_21segmented_reduce_implIS3_PKdPdPKldN6hipcub16HIPCUB_304000_NS6detail27convert_result_type_wrapperIS8_S9_N2at6native12_GLOBAL__N_19CustomSumEEEEE10hipError_tPvRmT0_T1_jT2_SQ_T4_T3_P12ihipStream_tbEUlT_E_NS1_11comp_targetILNS1_3genE0ELNS1_11target_archE4294967295ELNS1_3gpuE0ELNS1_3repE0EEENS1_30default_config_static_selectorELNS0_4arch9wavefront6targetE1EEEvSP_.num_agpr, 0
	.set _ZN7rocprim17ROCPRIM_400000_NS6detail17trampoline_kernelINS0_14default_configENS1_32segmented_reduce_config_selectorIdEEZNS1_21segmented_reduce_implIS3_PKdPdPKldN6hipcub16HIPCUB_304000_NS6detail27convert_result_type_wrapperIS8_S9_N2at6native12_GLOBAL__N_19CustomSumEEEEE10hipError_tPvRmT0_T1_jT2_SQ_T4_T3_P12ihipStream_tbEUlT_E_NS1_11comp_targetILNS1_3genE0ELNS1_11target_archE4294967295ELNS1_3gpuE0ELNS1_3repE0EEENS1_30default_config_static_selectorELNS0_4arch9wavefront6targetE1EEEvSP_.numbered_sgpr, 0
	.set _ZN7rocprim17ROCPRIM_400000_NS6detail17trampoline_kernelINS0_14default_configENS1_32segmented_reduce_config_selectorIdEEZNS1_21segmented_reduce_implIS3_PKdPdPKldN6hipcub16HIPCUB_304000_NS6detail27convert_result_type_wrapperIS8_S9_N2at6native12_GLOBAL__N_19CustomSumEEEEE10hipError_tPvRmT0_T1_jT2_SQ_T4_T3_P12ihipStream_tbEUlT_E_NS1_11comp_targetILNS1_3genE0ELNS1_11target_archE4294967295ELNS1_3gpuE0ELNS1_3repE0EEENS1_30default_config_static_selectorELNS0_4arch9wavefront6targetE1EEEvSP_.num_named_barrier, 0
	.set _ZN7rocprim17ROCPRIM_400000_NS6detail17trampoline_kernelINS0_14default_configENS1_32segmented_reduce_config_selectorIdEEZNS1_21segmented_reduce_implIS3_PKdPdPKldN6hipcub16HIPCUB_304000_NS6detail27convert_result_type_wrapperIS8_S9_N2at6native12_GLOBAL__N_19CustomSumEEEEE10hipError_tPvRmT0_T1_jT2_SQ_T4_T3_P12ihipStream_tbEUlT_E_NS1_11comp_targetILNS1_3genE0ELNS1_11target_archE4294967295ELNS1_3gpuE0ELNS1_3repE0EEENS1_30default_config_static_selectorELNS0_4arch9wavefront6targetE1EEEvSP_.private_seg_size, 0
	.set _ZN7rocprim17ROCPRIM_400000_NS6detail17trampoline_kernelINS0_14default_configENS1_32segmented_reduce_config_selectorIdEEZNS1_21segmented_reduce_implIS3_PKdPdPKldN6hipcub16HIPCUB_304000_NS6detail27convert_result_type_wrapperIS8_S9_N2at6native12_GLOBAL__N_19CustomSumEEEEE10hipError_tPvRmT0_T1_jT2_SQ_T4_T3_P12ihipStream_tbEUlT_E_NS1_11comp_targetILNS1_3genE0ELNS1_11target_archE4294967295ELNS1_3gpuE0ELNS1_3repE0EEENS1_30default_config_static_selectorELNS0_4arch9wavefront6targetE1EEEvSP_.uses_vcc, 0
	.set _ZN7rocprim17ROCPRIM_400000_NS6detail17trampoline_kernelINS0_14default_configENS1_32segmented_reduce_config_selectorIdEEZNS1_21segmented_reduce_implIS3_PKdPdPKldN6hipcub16HIPCUB_304000_NS6detail27convert_result_type_wrapperIS8_S9_N2at6native12_GLOBAL__N_19CustomSumEEEEE10hipError_tPvRmT0_T1_jT2_SQ_T4_T3_P12ihipStream_tbEUlT_E_NS1_11comp_targetILNS1_3genE0ELNS1_11target_archE4294967295ELNS1_3gpuE0ELNS1_3repE0EEENS1_30default_config_static_selectorELNS0_4arch9wavefront6targetE1EEEvSP_.uses_flat_scratch, 0
	.set _ZN7rocprim17ROCPRIM_400000_NS6detail17trampoline_kernelINS0_14default_configENS1_32segmented_reduce_config_selectorIdEEZNS1_21segmented_reduce_implIS3_PKdPdPKldN6hipcub16HIPCUB_304000_NS6detail27convert_result_type_wrapperIS8_S9_N2at6native12_GLOBAL__N_19CustomSumEEEEE10hipError_tPvRmT0_T1_jT2_SQ_T4_T3_P12ihipStream_tbEUlT_E_NS1_11comp_targetILNS1_3genE0ELNS1_11target_archE4294967295ELNS1_3gpuE0ELNS1_3repE0EEENS1_30default_config_static_selectorELNS0_4arch9wavefront6targetE1EEEvSP_.has_dyn_sized_stack, 0
	.set _ZN7rocprim17ROCPRIM_400000_NS6detail17trampoline_kernelINS0_14default_configENS1_32segmented_reduce_config_selectorIdEEZNS1_21segmented_reduce_implIS3_PKdPdPKldN6hipcub16HIPCUB_304000_NS6detail27convert_result_type_wrapperIS8_S9_N2at6native12_GLOBAL__N_19CustomSumEEEEE10hipError_tPvRmT0_T1_jT2_SQ_T4_T3_P12ihipStream_tbEUlT_E_NS1_11comp_targetILNS1_3genE0ELNS1_11target_archE4294967295ELNS1_3gpuE0ELNS1_3repE0EEENS1_30default_config_static_selectorELNS0_4arch9wavefront6targetE1EEEvSP_.has_recursion, 0
	.set _ZN7rocprim17ROCPRIM_400000_NS6detail17trampoline_kernelINS0_14default_configENS1_32segmented_reduce_config_selectorIdEEZNS1_21segmented_reduce_implIS3_PKdPdPKldN6hipcub16HIPCUB_304000_NS6detail27convert_result_type_wrapperIS8_S9_N2at6native12_GLOBAL__N_19CustomSumEEEEE10hipError_tPvRmT0_T1_jT2_SQ_T4_T3_P12ihipStream_tbEUlT_E_NS1_11comp_targetILNS1_3genE0ELNS1_11target_archE4294967295ELNS1_3gpuE0ELNS1_3repE0EEENS1_30default_config_static_selectorELNS0_4arch9wavefront6targetE1EEEvSP_.has_indirect_call, 0
	.section	.AMDGPU.csdata,"",@progbits
; Kernel info:
; codeLenInByte = 0
; TotalNumSgprs: 4
; NumVgprs: 0
; ScratchSize: 0
; MemoryBound: 0
; FloatMode: 240
; IeeeMode: 1
; LDSByteSize: 0 bytes/workgroup (compile time only)
; SGPRBlocks: 0
; VGPRBlocks: 0
; NumSGPRsForWavesPerEU: 4
; NumVGPRsForWavesPerEU: 1
; Occupancy: 10
; WaveLimiterHint : 0
; COMPUTE_PGM_RSRC2:SCRATCH_EN: 0
; COMPUTE_PGM_RSRC2:USER_SGPR: 6
; COMPUTE_PGM_RSRC2:TRAP_HANDLER: 0
; COMPUTE_PGM_RSRC2:TGID_X_EN: 1
; COMPUTE_PGM_RSRC2:TGID_Y_EN: 0
; COMPUTE_PGM_RSRC2:TGID_Z_EN: 0
; COMPUTE_PGM_RSRC2:TIDIG_COMP_CNT: 0
	.section	.text._ZN7rocprim17ROCPRIM_400000_NS6detail17trampoline_kernelINS0_14default_configENS1_32segmented_reduce_config_selectorIdEEZNS1_21segmented_reduce_implIS3_PKdPdPKldN6hipcub16HIPCUB_304000_NS6detail27convert_result_type_wrapperIS8_S9_N2at6native12_GLOBAL__N_19CustomSumEEEEE10hipError_tPvRmT0_T1_jT2_SQ_T4_T3_P12ihipStream_tbEUlT_E_NS1_11comp_targetILNS1_3genE5ELNS1_11target_archE942ELNS1_3gpuE9ELNS1_3repE0EEENS1_30default_config_static_selectorELNS0_4arch9wavefront6targetE1EEEvSP_,"axG",@progbits,_ZN7rocprim17ROCPRIM_400000_NS6detail17trampoline_kernelINS0_14default_configENS1_32segmented_reduce_config_selectorIdEEZNS1_21segmented_reduce_implIS3_PKdPdPKldN6hipcub16HIPCUB_304000_NS6detail27convert_result_type_wrapperIS8_S9_N2at6native12_GLOBAL__N_19CustomSumEEEEE10hipError_tPvRmT0_T1_jT2_SQ_T4_T3_P12ihipStream_tbEUlT_E_NS1_11comp_targetILNS1_3genE5ELNS1_11target_archE942ELNS1_3gpuE9ELNS1_3repE0EEENS1_30default_config_static_selectorELNS0_4arch9wavefront6targetE1EEEvSP_,comdat
	.globl	_ZN7rocprim17ROCPRIM_400000_NS6detail17trampoline_kernelINS0_14default_configENS1_32segmented_reduce_config_selectorIdEEZNS1_21segmented_reduce_implIS3_PKdPdPKldN6hipcub16HIPCUB_304000_NS6detail27convert_result_type_wrapperIS8_S9_N2at6native12_GLOBAL__N_19CustomSumEEEEE10hipError_tPvRmT0_T1_jT2_SQ_T4_T3_P12ihipStream_tbEUlT_E_NS1_11comp_targetILNS1_3genE5ELNS1_11target_archE942ELNS1_3gpuE9ELNS1_3repE0EEENS1_30default_config_static_selectorELNS0_4arch9wavefront6targetE1EEEvSP_ ; -- Begin function _ZN7rocprim17ROCPRIM_400000_NS6detail17trampoline_kernelINS0_14default_configENS1_32segmented_reduce_config_selectorIdEEZNS1_21segmented_reduce_implIS3_PKdPdPKldN6hipcub16HIPCUB_304000_NS6detail27convert_result_type_wrapperIS8_S9_N2at6native12_GLOBAL__N_19CustomSumEEEEE10hipError_tPvRmT0_T1_jT2_SQ_T4_T3_P12ihipStream_tbEUlT_E_NS1_11comp_targetILNS1_3genE5ELNS1_11target_archE942ELNS1_3gpuE9ELNS1_3repE0EEENS1_30default_config_static_selectorELNS0_4arch9wavefront6targetE1EEEvSP_
	.p2align	8
	.type	_ZN7rocprim17ROCPRIM_400000_NS6detail17trampoline_kernelINS0_14default_configENS1_32segmented_reduce_config_selectorIdEEZNS1_21segmented_reduce_implIS3_PKdPdPKldN6hipcub16HIPCUB_304000_NS6detail27convert_result_type_wrapperIS8_S9_N2at6native12_GLOBAL__N_19CustomSumEEEEE10hipError_tPvRmT0_T1_jT2_SQ_T4_T3_P12ihipStream_tbEUlT_E_NS1_11comp_targetILNS1_3genE5ELNS1_11target_archE942ELNS1_3gpuE9ELNS1_3repE0EEENS1_30default_config_static_selectorELNS0_4arch9wavefront6targetE1EEEvSP_,@function
_ZN7rocprim17ROCPRIM_400000_NS6detail17trampoline_kernelINS0_14default_configENS1_32segmented_reduce_config_selectorIdEEZNS1_21segmented_reduce_implIS3_PKdPdPKldN6hipcub16HIPCUB_304000_NS6detail27convert_result_type_wrapperIS8_S9_N2at6native12_GLOBAL__N_19CustomSumEEEEE10hipError_tPvRmT0_T1_jT2_SQ_T4_T3_P12ihipStream_tbEUlT_E_NS1_11comp_targetILNS1_3genE5ELNS1_11target_archE942ELNS1_3gpuE9ELNS1_3repE0EEENS1_30default_config_static_selectorELNS0_4arch9wavefront6targetE1EEEvSP_: ; @_ZN7rocprim17ROCPRIM_400000_NS6detail17trampoline_kernelINS0_14default_configENS1_32segmented_reduce_config_selectorIdEEZNS1_21segmented_reduce_implIS3_PKdPdPKldN6hipcub16HIPCUB_304000_NS6detail27convert_result_type_wrapperIS8_S9_N2at6native12_GLOBAL__N_19CustomSumEEEEE10hipError_tPvRmT0_T1_jT2_SQ_T4_T3_P12ihipStream_tbEUlT_E_NS1_11comp_targetILNS1_3genE5ELNS1_11target_archE942ELNS1_3gpuE9ELNS1_3repE0EEENS1_30default_config_static_selectorELNS0_4arch9wavefront6targetE1EEEvSP_
; %bb.0:
	.section	.rodata,"a",@progbits
	.p2align	6, 0x0
	.amdhsa_kernel _ZN7rocprim17ROCPRIM_400000_NS6detail17trampoline_kernelINS0_14default_configENS1_32segmented_reduce_config_selectorIdEEZNS1_21segmented_reduce_implIS3_PKdPdPKldN6hipcub16HIPCUB_304000_NS6detail27convert_result_type_wrapperIS8_S9_N2at6native12_GLOBAL__N_19CustomSumEEEEE10hipError_tPvRmT0_T1_jT2_SQ_T4_T3_P12ihipStream_tbEUlT_E_NS1_11comp_targetILNS1_3genE5ELNS1_11target_archE942ELNS1_3gpuE9ELNS1_3repE0EEENS1_30default_config_static_selectorELNS0_4arch9wavefront6targetE1EEEvSP_
		.amdhsa_group_segment_fixed_size 0
		.amdhsa_private_segment_fixed_size 0
		.amdhsa_kernarg_size 56
		.amdhsa_user_sgpr_count 6
		.amdhsa_user_sgpr_private_segment_buffer 1
		.amdhsa_user_sgpr_dispatch_ptr 0
		.amdhsa_user_sgpr_queue_ptr 0
		.amdhsa_user_sgpr_kernarg_segment_ptr 1
		.amdhsa_user_sgpr_dispatch_id 0
		.amdhsa_user_sgpr_flat_scratch_init 0
		.amdhsa_user_sgpr_private_segment_size 0
		.amdhsa_uses_dynamic_stack 0
		.amdhsa_system_sgpr_private_segment_wavefront_offset 0
		.amdhsa_system_sgpr_workgroup_id_x 1
		.amdhsa_system_sgpr_workgroup_id_y 0
		.amdhsa_system_sgpr_workgroup_id_z 0
		.amdhsa_system_sgpr_workgroup_info 0
		.amdhsa_system_vgpr_workitem_id 0
		.amdhsa_next_free_vgpr 1
		.amdhsa_next_free_sgpr 0
		.amdhsa_reserve_vcc 0
		.amdhsa_reserve_flat_scratch 0
		.amdhsa_float_round_mode_32 0
		.amdhsa_float_round_mode_16_64 0
		.amdhsa_float_denorm_mode_32 3
		.amdhsa_float_denorm_mode_16_64 3
		.amdhsa_dx10_clamp 1
		.amdhsa_ieee_mode 1
		.amdhsa_fp16_overflow 0
		.amdhsa_exception_fp_ieee_invalid_op 0
		.amdhsa_exception_fp_denorm_src 0
		.amdhsa_exception_fp_ieee_div_zero 0
		.amdhsa_exception_fp_ieee_overflow 0
		.amdhsa_exception_fp_ieee_underflow 0
		.amdhsa_exception_fp_ieee_inexact 0
		.amdhsa_exception_int_div_zero 0
	.end_amdhsa_kernel
	.section	.text._ZN7rocprim17ROCPRIM_400000_NS6detail17trampoline_kernelINS0_14default_configENS1_32segmented_reduce_config_selectorIdEEZNS1_21segmented_reduce_implIS3_PKdPdPKldN6hipcub16HIPCUB_304000_NS6detail27convert_result_type_wrapperIS8_S9_N2at6native12_GLOBAL__N_19CustomSumEEEEE10hipError_tPvRmT0_T1_jT2_SQ_T4_T3_P12ihipStream_tbEUlT_E_NS1_11comp_targetILNS1_3genE5ELNS1_11target_archE942ELNS1_3gpuE9ELNS1_3repE0EEENS1_30default_config_static_selectorELNS0_4arch9wavefront6targetE1EEEvSP_,"axG",@progbits,_ZN7rocprim17ROCPRIM_400000_NS6detail17trampoline_kernelINS0_14default_configENS1_32segmented_reduce_config_selectorIdEEZNS1_21segmented_reduce_implIS3_PKdPdPKldN6hipcub16HIPCUB_304000_NS6detail27convert_result_type_wrapperIS8_S9_N2at6native12_GLOBAL__N_19CustomSumEEEEE10hipError_tPvRmT0_T1_jT2_SQ_T4_T3_P12ihipStream_tbEUlT_E_NS1_11comp_targetILNS1_3genE5ELNS1_11target_archE942ELNS1_3gpuE9ELNS1_3repE0EEENS1_30default_config_static_selectorELNS0_4arch9wavefront6targetE1EEEvSP_,comdat
.Lfunc_end154:
	.size	_ZN7rocprim17ROCPRIM_400000_NS6detail17trampoline_kernelINS0_14default_configENS1_32segmented_reduce_config_selectorIdEEZNS1_21segmented_reduce_implIS3_PKdPdPKldN6hipcub16HIPCUB_304000_NS6detail27convert_result_type_wrapperIS8_S9_N2at6native12_GLOBAL__N_19CustomSumEEEEE10hipError_tPvRmT0_T1_jT2_SQ_T4_T3_P12ihipStream_tbEUlT_E_NS1_11comp_targetILNS1_3genE5ELNS1_11target_archE942ELNS1_3gpuE9ELNS1_3repE0EEENS1_30default_config_static_selectorELNS0_4arch9wavefront6targetE1EEEvSP_, .Lfunc_end154-_ZN7rocprim17ROCPRIM_400000_NS6detail17trampoline_kernelINS0_14default_configENS1_32segmented_reduce_config_selectorIdEEZNS1_21segmented_reduce_implIS3_PKdPdPKldN6hipcub16HIPCUB_304000_NS6detail27convert_result_type_wrapperIS8_S9_N2at6native12_GLOBAL__N_19CustomSumEEEEE10hipError_tPvRmT0_T1_jT2_SQ_T4_T3_P12ihipStream_tbEUlT_E_NS1_11comp_targetILNS1_3genE5ELNS1_11target_archE942ELNS1_3gpuE9ELNS1_3repE0EEENS1_30default_config_static_selectorELNS0_4arch9wavefront6targetE1EEEvSP_
                                        ; -- End function
	.set _ZN7rocprim17ROCPRIM_400000_NS6detail17trampoline_kernelINS0_14default_configENS1_32segmented_reduce_config_selectorIdEEZNS1_21segmented_reduce_implIS3_PKdPdPKldN6hipcub16HIPCUB_304000_NS6detail27convert_result_type_wrapperIS8_S9_N2at6native12_GLOBAL__N_19CustomSumEEEEE10hipError_tPvRmT0_T1_jT2_SQ_T4_T3_P12ihipStream_tbEUlT_E_NS1_11comp_targetILNS1_3genE5ELNS1_11target_archE942ELNS1_3gpuE9ELNS1_3repE0EEENS1_30default_config_static_selectorELNS0_4arch9wavefront6targetE1EEEvSP_.num_vgpr, 0
	.set _ZN7rocprim17ROCPRIM_400000_NS6detail17trampoline_kernelINS0_14default_configENS1_32segmented_reduce_config_selectorIdEEZNS1_21segmented_reduce_implIS3_PKdPdPKldN6hipcub16HIPCUB_304000_NS6detail27convert_result_type_wrapperIS8_S9_N2at6native12_GLOBAL__N_19CustomSumEEEEE10hipError_tPvRmT0_T1_jT2_SQ_T4_T3_P12ihipStream_tbEUlT_E_NS1_11comp_targetILNS1_3genE5ELNS1_11target_archE942ELNS1_3gpuE9ELNS1_3repE0EEENS1_30default_config_static_selectorELNS0_4arch9wavefront6targetE1EEEvSP_.num_agpr, 0
	.set _ZN7rocprim17ROCPRIM_400000_NS6detail17trampoline_kernelINS0_14default_configENS1_32segmented_reduce_config_selectorIdEEZNS1_21segmented_reduce_implIS3_PKdPdPKldN6hipcub16HIPCUB_304000_NS6detail27convert_result_type_wrapperIS8_S9_N2at6native12_GLOBAL__N_19CustomSumEEEEE10hipError_tPvRmT0_T1_jT2_SQ_T4_T3_P12ihipStream_tbEUlT_E_NS1_11comp_targetILNS1_3genE5ELNS1_11target_archE942ELNS1_3gpuE9ELNS1_3repE0EEENS1_30default_config_static_selectorELNS0_4arch9wavefront6targetE1EEEvSP_.numbered_sgpr, 0
	.set _ZN7rocprim17ROCPRIM_400000_NS6detail17trampoline_kernelINS0_14default_configENS1_32segmented_reduce_config_selectorIdEEZNS1_21segmented_reduce_implIS3_PKdPdPKldN6hipcub16HIPCUB_304000_NS6detail27convert_result_type_wrapperIS8_S9_N2at6native12_GLOBAL__N_19CustomSumEEEEE10hipError_tPvRmT0_T1_jT2_SQ_T4_T3_P12ihipStream_tbEUlT_E_NS1_11comp_targetILNS1_3genE5ELNS1_11target_archE942ELNS1_3gpuE9ELNS1_3repE0EEENS1_30default_config_static_selectorELNS0_4arch9wavefront6targetE1EEEvSP_.num_named_barrier, 0
	.set _ZN7rocprim17ROCPRIM_400000_NS6detail17trampoline_kernelINS0_14default_configENS1_32segmented_reduce_config_selectorIdEEZNS1_21segmented_reduce_implIS3_PKdPdPKldN6hipcub16HIPCUB_304000_NS6detail27convert_result_type_wrapperIS8_S9_N2at6native12_GLOBAL__N_19CustomSumEEEEE10hipError_tPvRmT0_T1_jT2_SQ_T4_T3_P12ihipStream_tbEUlT_E_NS1_11comp_targetILNS1_3genE5ELNS1_11target_archE942ELNS1_3gpuE9ELNS1_3repE0EEENS1_30default_config_static_selectorELNS0_4arch9wavefront6targetE1EEEvSP_.private_seg_size, 0
	.set _ZN7rocprim17ROCPRIM_400000_NS6detail17trampoline_kernelINS0_14default_configENS1_32segmented_reduce_config_selectorIdEEZNS1_21segmented_reduce_implIS3_PKdPdPKldN6hipcub16HIPCUB_304000_NS6detail27convert_result_type_wrapperIS8_S9_N2at6native12_GLOBAL__N_19CustomSumEEEEE10hipError_tPvRmT0_T1_jT2_SQ_T4_T3_P12ihipStream_tbEUlT_E_NS1_11comp_targetILNS1_3genE5ELNS1_11target_archE942ELNS1_3gpuE9ELNS1_3repE0EEENS1_30default_config_static_selectorELNS0_4arch9wavefront6targetE1EEEvSP_.uses_vcc, 0
	.set _ZN7rocprim17ROCPRIM_400000_NS6detail17trampoline_kernelINS0_14default_configENS1_32segmented_reduce_config_selectorIdEEZNS1_21segmented_reduce_implIS3_PKdPdPKldN6hipcub16HIPCUB_304000_NS6detail27convert_result_type_wrapperIS8_S9_N2at6native12_GLOBAL__N_19CustomSumEEEEE10hipError_tPvRmT0_T1_jT2_SQ_T4_T3_P12ihipStream_tbEUlT_E_NS1_11comp_targetILNS1_3genE5ELNS1_11target_archE942ELNS1_3gpuE9ELNS1_3repE0EEENS1_30default_config_static_selectorELNS0_4arch9wavefront6targetE1EEEvSP_.uses_flat_scratch, 0
	.set _ZN7rocprim17ROCPRIM_400000_NS6detail17trampoline_kernelINS0_14default_configENS1_32segmented_reduce_config_selectorIdEEZNS1_21segmented_reduce_implIS3_PKdPdPKldN6hipcub16HIPCUB_304000_NS6detail27convert_result_type_wrapperIS8_S9_N2at6native12_GLOBAL__N_19CustomSumEEEEE10hipError_tPvRmT0_T1_jT2_SQ_T4_T3_P12ihipStream_tbEUlT_E_NS1_11comp_targetILNS1_3genE5ELNS1_11target_archE942ELNS1_3gpuE9ELNS1_3repE0EEENS1_30default_config_static_selectorELNS0_4arch9wavefront6targetE1EEEvSP_.has_dyn_sized_stack, 0
	.set _ZN7rocprim17ROCPRIM_400000_NS6detail17trampoline_kernelINS0_14default_configENS1_32segmented_reduce_config_selectorIdEEZNS1_21segmented_reduce_implIS3_PKdPdPKldN6hipcub16HIPCUB_304000_NS6detail27convert_result_type_wrapperIS8_S9_N2at6native12_GLOBAL__N_19CustomSumEEEEE10hipError_tPvRmT0_T1_jT2_SQ_T4_T3_P12ihipStream_tbEUlT_E_NS1_11comp_targetILNS1_3genE5ELNS1_11target_archE942ELNS1_3gpuE9ELNS1_3repE0EEENS1_30default_config_static_selectorELNS0_4arch9wavefront6targetE1EEEvSP_.has_recursion, 0
	.set _ZN7rocprim17ROCPRIM_400000_NS6detail17trampoline_kernelINS0_14default_configENS1_32segmented_reduce_config_selectorIdEEZNS1_21segmented_reduce_implIS3_PKdPdPKldN6hipcub16HIPCUB_304000_NS6detail27convert_result_type_wrapperIS8_S9_N2at6native12_GLOBAL__N_19CustomSumEEEEE10hipError_tPvRmT0_T1_jT2_SQ_T4_T3_P12ihipStream_tbEUlT_E_NS1_11comp_targetILNS1_3genE5ELNS1_11target_archE942ELNS1_3gpuE9ELNS1_3repE0EEENS1_30default_config_static_selectorELNS0_4arch9wavefront6targetE1EEEvSP_.has_indirect_call, 0
	.section	.AMDGPU.csdata,"",@progbits
; Kernel info:
; codeLenInByte = 0
; TotalNumSgprs: 4
; NumVgprs: 0
; ScratchSize: 0
; MemoryBound: 0
; FloatMode: 240
; IeeeMode: 1
; LDSByteSize: 0 bytes/workgroup (compile time only)
; SGPRBlocks: 0
; VGPRBlocks: 0
; NumSGPRsForWavesPerEU: 4
; NumVGPRsForWavesPerEU: 1
; Occupancy: 10
; WaveLimiterHint : 0
; COMPUTE_PGM_RSRC2:SCRATCH_EN: 0
; COMPUTE_PGM_RSRC2:USER_SGPR: 6
; COMPUTE_PGM_RSRC2:TRAP_HANDLER: 0
; COMPUTE_PGM_RSRC2:TGID_X_EN: 1
; COMPUTE_PGM_RSRC2:TGID_Y_EN: 0
; COMPUTE_PGM_RSRC2:TGID_Z_EN: 0
; COMPUTE_PGM_RSRC2:TIDIG_COMP_CNT: 0
	.section	.text._ZN7rocprim17ROCPRIM_400000_NS6detail17trampoline_kernelINS0_14default_configENS1_32segmented_reduce_config_selectorIdEEZNS1_21segmented_reduce_implIS3_PKdPdPKldN6hipcub16HIPCUB_304000_NS6detail27convert_result_type_wrapperIS8_S9_N2at6native12_GLOBAL__N_19CustomSumEEEEE10hipError_tPvRmT0_T1_jT2_SQ_T4_T3_P12ihipStream_tbEUlT_E_NS1_11comp_targetILNS1_3genE10ELNS1_11target_archE1201ELNS1_3gpuE5ELNS1_3repE0EEENS1_30default_config_static_selectorELNS0_4arch9wavefront6targetE1EEEvSP_,"axG",@progbits,_ZN7rocprim17ROCPRIM_400000_NS6detail17trampoline_kernelINS0_14default_configENS1_32segmented_reduce_config_selectorIdEEZNS1_21segmented_reduce_implIS3_PKdPdPKldN6hipcub16HIPCUB_304000_NS6detail27convert_result_type_wrapperIS8_S9_N2at6native12_GLOBAL__N_19CustomSumEEEEE10hipError_tPvRmT0_T1_jT2_SQ_T4_T3_P12ihipStream_tbEUlT_E_NS1_11comp_targetILNS1_3genE10ELNS1_11target_archE1201ELNS1_3gpuE5ELNS1_3repE0EEENS1_30default_config_static_selectorELNS0_4arch9wavefront6targetE1EEEvSP_,comdat
	.globl	_ZN7rocprim17ROCPRIM_400000_NS6detail17trampoline_kernelINS0_14default_configENS1_32segmented_reduce_config_selectorIdEEZNS1_21segmented_reduce_implIS3_PKdPdPKldN6hipcub16HIPCUB_304000_NS6detail27convert_result_type_wrapperIS8_S9_N2at6native12_GLOBAL__N_19CustomSumEEEEE10hipError_tPvRmT0_T1_jT2_SQ_T4_T3_P12ihipStream_tbEUlT_E_NS1_11comp_targetILNS1_3genE10ELNS1_11target_archE1201ELNS1_3gpuE5ELNS1_3repE0EEENS1_30default_config_static_selectorELNS0_4arch9wavefront6targetE1EEEvSP_ ; -- Begin function _ZN7rocprim17ROCPRIM_400000_NS6detail17trampoline_kernelINS0_14default_configENS1_32segmented_reduce_config_selectorIdEEZNS1_21segmented_reduce_implIS3_PKdPdPKldN6hipcub16HIPCUB_304000_NS6detail27convert_result_type_wrapperIS8_S9_N2at6native12_GLOBAL__N_19CustomSumEEEEE10hipError_tPvRmT0_T1_jT2_SQ_T4_T3_P12ihipStream_tbEUlT_E_NS1_11comp_targetILNS1_3genE10ELNS1_11target_archE1201ELNS1_3gpuE5ELNS1_3repE0EEENS1_30default_config_static_selectorELNS0_4arch9wavefront6targetE1EEEvSP_
	.p2align	8
	.type	_ZN7rocprim17ROCPRIM_400000_NS6detail17trampoline_kernelINS0_14default_configENS1_32segmented_reduce_config_selectorIdEEZNS1_21segmented_reduce_implIS3_PKdPdPKldN6hipcub16HIPCUB_304000_NS6detail27convert_result_type_wrapperIS8_S9_N2at6native12_GLOBAL__N_19CustomSumEEEEE10hipError_tPvRmT0_T1_jT2_SQ_T4_T3_P12ihipStream_tbEUlT_E_NS1_11comp_targetILNS1_3genE10ELNS1_11target_archE1201ELNS1_3gpuE5ELNS1_3repE0EEENS1_30default_config_static_selectorELNS0_4arch9wavefront6targetE1EEEvSP_,@function
_ZN7rocprim17ROCPRIM_400000_NS6detail17trampoline_kernelINS0_14default_configENS1_32segmented_reduce_config_selectorIdEEZNS1_21segmented_reduce_implIS3_PKdPdPKldN6hipcub16HIPCUB_304000_NS6detail27convert_result_type_wrapperIS8_S9_N2at6native12_GLOBAL__N_19CustomSumEEEEE10hipError_tPvRmT0_T1_jT2_SQ_T4_T3_P12ihipStream_tbEUlT_E_NS1_11comp_targetILNS1_3genE10ELNS1_11target_archE1201ELNS1_3gpuE5ELNS1_3repE0EEENS1_30default_config_static_selectorELNS0_4arch9wavefront6targetE1EEEvSP_: ; @_ZN7rocprim17ROCPRIM_400000_NS6detail17trampoline_kernelINS0_14default_configENS1_32segmented_reduce_config_selectorIdEEZNS1_21segmented_reduce_implIS3_PKdPdPKldN6hipcub16HIPCUB_304000_NS6detail27convert_result_type_wrapperIS8_S9_N2at6native12_GLOBAL__N_19CustomSumEEEEE10hipError_tPvRmT0_T1_jT2_SQ_T4_T3_P12ihipStream_tbEUlT_E_NS1_11comp_targetILNS1_3genE10ELNS1_11target_archE1201ELNS1_3gpuE5ELNS1_3repE0EEENS1_30default_config_static_selectorELNS0_4arch9wavefront6targetE1EEEvSP_
; %bb.0:
	.section	.rodata,"a",@progbits
	.p2align	6, 0x0
	.amdhsa_kernel _ZN7rocprim17ROCPRIM_400000_NS6detail17trampoline_kernelINS0_14default_configENS1_32segmented_reduce_config_selectorIdEEZNS1_21segmented_reduce_implIS3_PKdPdPKldN6hipcub16HIPCUB_304000_NS6detail27convert_result_type_wrapperIS8_S9_N2at6native12_GLOBAL__N_19CustomSumEEEEE10hipError_tPvRmT0_T1_jT2_SQ_T4_T3_P12ihipStream_tbEUlT_E_NS1_11comp_targetILNS1_3genE10ELNS1_11target_archE1201ELNS1_3gpuE5ELNS1_3repE0EEENS1_30default_config_static_selectorELNS0_4arch9wavefront6targetE1EEEvSP_
		.amdhsa_group_segment_fixed_size 0
		.amdhsa_private_segment_fixed_size 0
		.amdhsa_kernarg_size 56
		.amdhsa_user_sgpr_count 6
		.amdhsa_user_sgpr_private_segment_buffer 1
		.amdhsa_user_sgpr_dispatch_ptr 0
		.amdhsa_user_sgpr_queue_ptr 0
		.amdhsa_user_sgpr_kernarg_segment_ptr 1
		.amdhsa_user_sgpr_dispatch_id 0
		.amdhsa_user_sgpr_flat_scratch_init 0
		.amdhsa_user_sgpr_private_segment_size 0
		.amdhsa_uses_dynamic_stack 0
		.amdhsa_system_sgpr_private_segment_wavefront_offset 0
		.amdhsa_system_sgpr_workgroup_id_x 1
		.amdhsa_system_sgpr_workgroup_id_y 0
		.amdhsa_system_sgpr_workgroup_id_z 0
		.amdhsa_system_sgpr_workgroup_info 0
		.amdhsa_system_vgpr_workitem_id 0
		.amdhsa_next_free_vgpr 1
		.amdhsa_next_free_sgpr 0
		.amdhsa_reserve_vcc 0
		.amdhsa_reserve_flat_scratch 0
		.amdhsa_float_round_mode_32 0
		.amdhsa_float_round_mode_16_64 0
		.amdhsa_float_denorm_mode_32 3
		.amdhsa_float_denorm_mode_16_64 3
		.amdhsa_dx10_clamp 1
		.amdhsa_ieee_mode 1
		.amdhsa_fp16_overflow 0
		.amdhsa_exception_fp_ieee_invalid_op 0
		.amdhsa_exception_fp_denorm_src 0
		.amdhsa_exception_fp_ieee_div_zero 0
		.amdhsa_exception_fp_ieee_overflow 0
		.amdhsa_exception_fp_ieee_underflow 0
		.amdhsa_exception_fp_ieee_inexact 0
		.amdhsa_exception_int_div_zero 0
	.end_amdhsa_kernel
	.section	.text._ZN7rocprim17ROCPRIM_400000_NS6detail17trampoline_kernelINS0_14default_configENS1_32segmented_reduce_config_selectorIdEEZNS1_21segmented_reduce_implIS3_PKdPdPKldN6hipcub16HIPCUB_304000_NS6detail27convert_result_type_wrapperIS8_S9_N2at6native12_GLOBAL__N_19CustomSumEEEEE10hipError_tPvRmT0_T1_jT2_SQ_T4_T3_P12ihipStream_tbEUlT_E_NS1_11comp_targetILNS1_3genE10ELNS1_11target_archE1201ELNS1_3gpuE5ELNS1_3repE0EEENS1_30default_config_static_selectorELNS0_4arch9wavefront6targetE1EEEvSP_,"axG",@progbits,_ZN7rocprim17ROCPRIM_400000_NS6detail17trampoline_kernelINS0_14default_configENS1_32segmented_reduce_config_selectorIdEEZNS1_21segmented_reduce_implIS3_PKdPdPKldN6hipcub16HIPCUB_304000_NS6detail27convert_result_type_wrapperIS8_S9_N2at6native12_GLOBAL__N_19CustomSumEEEEE10hipError_tPvRmT0_T1_jT2_SQ_T4_T3_P12ihipStream_tbEUlT_E_NS1_11comp_targetILNS1_3genE10ELNS1_11target_archE1201ELNS1_3gpuE5ELNS1_3repE0EEENS1_30default_config_static_selectorELNS0_4arch9wavefront6targetE1EEEvSP_,comdat
.Lfunc_end155:
	.size	_ZN7rocprim17ROCPRIM_400000_NS6detail17trampoline_kernelINS0_14default_configENS1_32segmented_reduce_config_selectorIdEEZNS1_21segmented_reduce_implIS3_PKdPdPKldN6hipcub16HIPCUB_304000_NS6detail27convert_result_type_wrapperIS8_S9_N2at6native12_GLOBAL__N_19CustomSumEEEEE10hipError_tPvRmT0_T1_jT2_SQ_T4_T3_P12ihipStream_tbEUlT_E_NS1_11comp_targetILNS1_3genE10ELNS1_11target_archE1201ELNS1_3gpuE5ELNS1_3repE0EEENS1_30default_config_static_selectorELNS0_4arch9wavefront6targetE1EEEvSP_, .Lfunc_end155-_ZN7rocprim17ROCPRIM_400000_NS6detail17trampoline_kernelINS0_14default_configENS1_32segmented_reduce_config_selectorIdEEZNS1_21segmented_reduce_implIS3_PKdPdPKldN6hipcub16HIPCUB_304000_NS6detail27convert_result_type_wrapperIS8_S9_N2at6native12_GLOBAL__N_19CustomSumEEEEE10hipError_tPvRmT0_T1_jT2_SQ_T4_T3_P12ihipStream_tbEUlT_E_NS1_11comp_targetILNS1_3genE10ELNS1_11target_archE1201ELNS1_3gpuE5ELNS1_3repE0EEENS1_30default_config_static_selectorELNS0_4arch9wavefront6targetE1EEEvSP_
                                        ; -- End function
	.set _ZN7rocprim17ROCPRIM_400000_NS6detail17trampoline_kernelINS0_14default_configENS1_32segmented_reduce_config_selectorIdEEZNS1_21segmented_reduce_implIS3_PKdPdPKldN6hipcub16HIPCUB_304000_NS6detail27convert_result_type_wrapperIS8_S9_N2at6native12_GLOBAL__N_19CustomSumEEEEE10hipError_tPvRmT0_T1_jT2_SQ_T4_T3_P12ihipStream_tbEUlT_E_NS1_11comp_targetILNS1_3genE10ELNS1_11target_archE1201ELNS1_3gpuE5ELNS1_3repE0EEENS1_30default_config_static_selectorELNS0_4arch9wavefront6targetE1EEEvSP_.num_vgpr, 0
	.set _ZN7rocprim17ROCPRIM_400000_NS6detail17trampoline_kernelINS0_14default_configENS1_32segmented_reduce_config_selectorIdEEZNS1_21segmented_reduce_implIS3_PKdPdPKldN6hipcub16HIPCUB_304000_NS6detail27convert_result_type_wrapperIS8_S9_N2at6native12_GLOBAL__N_19CustomSumEEEEE10hipError_tPvRmT0_T1_jT2_SQ_T4_T3_P12ihipStream_tbEUlT_E_NS1_11comp_targetILNS1_3genE10ELNS1_11target_archE1201ELNS1_3gpuE5ELNS1_3repE0EEENS1_30default_config_static_selectorELNS0_4arch9wavefront6targetE1EEEvSP_.num_agpr, 0
	.set _ZN7rocprim17ROCPRIM_400000_NS6detail17trampoline_kernelINS0_14default_configENS1_32segmented_reduce_config_selectorIdEEZNS1_21segmented_reduce_implIS3_PKdPdPKldN6hipcub16HIPCUB_304000_NS6detail27convert_result_type_wrapperIS8_S9_N2at6native12_GLOBAL__N_19CustomSumEEEEE10hipError_tPvRmT0_T1_jT2_SQ_T4_T3_P12ihipStream_tbEUlT_E_NS1_11comp_targetILNS1_3genE10ELNS1_11target_archE1201ELNS1_3gpuE5ELNS1_3repE0EEENS1_30default_config_static_selectorELNS0_4arch9wavefront6targetE1EEEvSP_.numbered_sgpr, 0
	.set _ZN7rocprim17ROCPRIM_400000_NS6detail17trampoline_kernelINS0_14default_configENS1_32segmented_reduce_config_selectorIdEEZNS1_21segmented_reduce_implIS3_PKdPdPKldN6hipcub16HIPCUB_304000_NS6detail27convert_result_type_wrapperIS8_S9_N2at6native12_GLOBAL__N_19CustomSumEEEEE10hipError_tPvRmT0_T1_jT2_SQ_T4_T3_P12ihipStream_tbEUlT_E_NS1_11comp_targetILNS1_3genE10ELNS1_11target_archE1201ELNS1_3gpuE5ELNS1_3repE0EEENS1_30default_config_static_selectorELNS0_4arch9wavefront6targetE1EEEvSP_.num_named_barrier, 0
	.set _ZN7rocprim17ROCPRIM_400000_NS6detail17trampoline_kernelINS0_14default_configENS1_32segmented_reduce_config_selectorIdEEZNS1_21segmented_reduce_implIS3_PKdPdPKldN6hipcub16HIPCUB_304000_NS6detail27convert_result_type_wrapperIS8_S9_N2at6native12_GLOBAL__N_19CustomSumEEEEE10hipError_tPvRmT0_T1_jT2_SQ_T4_T3_P12ihipStream_tbEUlT_E_NS1_11comp_targetILNS1_3genE10ELNS1_11target_archE1201ELNS1_3gpuE5ELNS1_3repE0EEENS1_30default_config_static_selectorELNS0_4arch9wavefront6targetE1EEEvSP_.private_seg_size, 0
	.set _ZN7rocprim17ROCPRIM_400000_NS6detail17trampoline_kernelINS0_14default_configENS1_32segmented_reduce_config_selectorIdEEZNS1_21segmented_reduce_implIS3_PKdPdPKldN6hipcub16HIPCUB_304000_NS6detail27convert_result_type_wrapperIS8_S9_N2at6native12_GLOBAL__N_19CustomSumEEEEE10hipError_tPvRmT0_T1_jT2_SQ_T4_T3_P12ihipStream_tbEUlT_E_NS1_11comp_targetILNS1_3genE10ELNS1_11target_archE1201ELNS1_3gpuE5ELNS1_3repE0EEENS1_30default_config_static_selectorELNS0_4arch9wavefront6targetE1EEEvSP_.uses_vcc, 0
	.set _ZN7rocprim17ROCPRIM_400000_NS6detail17trampoline_kernelINS0_14default_configENS1_32segmented_reduce_config_selectorIdEEZNS1_21segmented_reduce_implIS3_PKdPdPKldN6hipcub16HIPCUB_304000_NS6detail27convert_result_type_wrapperIS8_S9_N2at6native12_GLOBAL__N_19CustomSumEEEEE10hipError_tPvRmT0_T1_jT2_SQ_T4_T3_P12ihipStream_tbEUlT_E_NS1_11comp_targetILNS1_3genE10ELNS1_11target_archE1201ELNS1_3gpuE5ELNS1_3repE0EEENS1_30default_config_static_selectorELNS0_4arch9wavefront6targetE1EEEvSP_.uses_flat_scratch, 0
	.set _ZN7rocprim17ROCPRIM_400000_NS6detail17trampoline_kernelINS0_14default_configENS1_32segmented_reduce_config_selectorIdEEZNS1_21segmented_reduce_implIS3_PKdPdPKldN6hipcub16HIPCUB_304000_NS6detail27convert_result_type_wrapperIS8_S9_N2at6native12_GLOBAL__N_19CustomSumEEEEE10hipError_tPvRmT0_T1_jT2_SQ_T4_T3_P12ihipStream_tbEUlT_E_NS1_11comp_targetILNS1_3genE10ELNS1_11target_archE1201ELNS1_3gpuE5ELNS1_3repE0EEENS1_30default_config_static_selectorELNS0_4arch9wavefront6targetE1EEEvSP_.has_dyn_sized_stack, 0
	.set _ZN7rocprim17ROCPRIM_400000_NS6detail17trampoline_kernelINS0_14default_configENS1_32segmented_reduce_config_selectorIdEEZNS1_21segmented_reduce_implIS3_PKdPdPKldN6hipcub16HIPCUB_304000_NS6detail27convert_result_type_wrapperIS8_S9_N2at6native12_GLOBAL__N_19CustomSumEEEEE10hipError_tPvRmT0_T1_jT2_SQ_T4_T3_P12ihipStream_tbEUlT_E_NS1_11comp_targetILNS1_3genE10ELNS1_11target_archE1201ELNS1_3gpuE5ELNS1_3repE0EEENS1_30default_config_static_selectorELNS0_4arch9wavefront6targetE1EEEvSP_.has_recursion, 0
	.set _ZN7rocprim17ROCPRIM_400000_NS6detail17trampoline_kernelINS0_14default_configENS1_32segmented_reduce_config_selectorIdEEZNS1_21segmented_reduce_implIS3_PKdPdPKldN6hipcub16HIPCUB_304000_NS6detail27convert_result_type_wrapperIS8_S9_N2at6native12_GLOBAL__N_19CustomSumEEEEE10hipError_tPvRmT0_T1_jT2_SQ_T4_T3_P12ihipStream_tbEUlT_E_NS1_11comp_targetILNS1_3genE10ELNS1_11target_archE1201ELNS1_3gpuE5ELNS1_3repE0EEENS1_30default_config_static_selectorELNS0_4arch9wavefront6targetE1EEEvSP_.has_indirect_call, 0
	.section	.AMDGPU.csdata,"",@progbits
; Kernel info:
; codeLenInByte = 0
; TotalNumSgprs: 4
; NumVgprs: 0
; ScratchSize: 0
; MemoryBound: 0
; FloatMode: 240
; IeeeMode: 1
; LDSByteSize: 0 bytes/workgroup (compile time only)
; SGPRBlocks: 0
; VGPRBlocks: 0
; NumSGPRsForWavesPerEU: 4
; NumVGPRsForWavesPerEU: 1
; Occupancy: 10
; WaveLimiterHint : 0
; COMPUTE_PGM_RSRC2:SCRATCH_EN: 0
; COMPUTE_PGM_RSRC2:USER_SGPR: 6
; COMPUTE_PGM_RSRC2:TRAP_HANDLER: 0
; COMPUTE_PGM_RSRC2:TGID_X_EN: 1
; COMPUTE_PGM_RSRC2:TGID_Y_EN: 0
; COMPUTE_PGM_RSRC2:TGID_Z_EN: 0
; COMPUTE_PGM_RSRC2:TIDIG_COMP_CNT: 0
	.section	.text._ZN7rocprim17ROCPRIM_400000_NS6detail17trampoline_kernelINS0_14default_configENS1_32segmented_reduce_config_selectorIdEEZNS1_21segmented_reduce_implIS3_PKdPdPKldN6hipcub16HIPCUB_304000_NS6detail27convert_result_type_wrapperIS8_S9_N2at6native12_GLOBAL__N_19CustomSumEEEEE10hipError_tPvRmT0_T1_jT2_SQ_T4_T3_P12ihipStream_tbEUlT_E_NS1_11comp_targetILNS1_3genE4ELNS1_11target_archE910ELNS1_3gpuE8ELNS1_3repE0EEENS1_30default_config_static_selectorELNS0_4arch9wavefront6targetE1EEEvSP_,"axG",@progbits,_ZN7rocprim17ROCPRIM_400000_NS6detail17trampoline_kernelINS0_14default_configENS1_32segmented_reduce_config_selectorIdEEZNS1_21segmented_reduce_implIS3_PKdPdPKldN6hipcub16HIPCUB_304000_NS6detail27convert_result_type_wrapperIS8_S9_N2at6native12_GLOBAL__N_19CustomSumEEEEE10hipError_tPvRmT0_T1_jT2_SQ_T4_T3_P12ihipStream_tbEUlT_E_NS1_11comp_targetILNS1_3genE4ELNS1_11target_archE910ELNS1_3gpuE8ELNS1_3repE0EEENS1_30default_config_static_selectorELNS0_4arch9wavefront6targetE1EEEvSP_,comdat
	.globl	_ZN7rocprim17ROCPRIM_400000_NS6detail17trampoline_kernelINS0_14default_configENS1_32segmented_reduce_config_selectorIdEEZNS1_21segmented_reduce_implIS3_PKdPdPKldN6hipcub16HIPCUB_304000_NS6detail27convert_result_type_wrapperIS8_S9_N2at6native12_GLOBAL__N_19CustomSumEEEEE10hipError_tPvRmT0_T1_jT2_SQ_T4_T3_P12ihipStream_tbEUlT_E_NS1_11comp_targetILNS1_3genE4ELNS1_11target_archE910ELNS1_3gpuE8ELNS1_3repE0EEENS1_30default_config_static_selectorELNS0_4arch9wavefront6targetE1EEEvSP_ ; -- Begin function _ZN7rocprim17ROCPRIM_400000_NS6detail17trampoline_kernelINS0_14default_configENS1_32segmented_reduce_config_selectorIdEEZNS1_21segmented_reduce_implIS3_PKdPdPKldN6hipcub16HIPCUB_304000_NS6detail27convert_result_type_wrapperIS8_S9_N2at6native12_GLOBAL__N_19CustomSumEEEEE10hipError_tPvRmT0_T1_jT2_SQ_T4_T3_P12ihipStream_tbEUlT_E_NS1_11comp_targetILNS1_3genE4ELNS1_11target_archE910ELNS1_3gpuE8ELNS1_3repE0EEENS1_30default_config_static_selectorELNS0_4arch9wavefront6targetE1EEEvSP_
	.p2align	8
	.type	_ZN7rocprim17ROCPRIM_400000_NS6detail17trampoline_kernelINS0_14default_configENS1_32segmented_reduce_config_selectorIdEEZNS1_21segmented_reduce_implIS3_PKdPdPKldN6hipcub16HIPCUB_304000_NS6detail27convert_result_type_wrapperIS8_S9_N2at6native12_GLOBAL__N_19CustomSumEEEEE10hipError_tPvRmT0_T1_jT2_SQ_T4_T3_P12ihipStream_tbEUlT_E_NS1_11comp_targetILNS1_3genE4ELNS1_11target_archE910ELNS1_3gpuE8ELNS1_3repE0EEENS1_30default_config_static_selectorELNS0_4arch9wavefront6targetE1EEEvSP_,@function
_ZN7rocprim17ROCPRIM_400000_NS6detail17trampoline_kernelINS0_14default_configENS1_32segmented_reduce_config_selectorIdEEZNS1_21segmented_reduce_implIS3_PKdPdPKldN6hipcub16HIPCUB_304000_NS6detail27convert_result_type_wrapperIS8_S9_N2at6native12_GLOBAL__N_19CustomSumEEEEE10hipError_tPvRmT0_T1_jT2_SQ_T4_T3_P12ihipStream_tbEUlT_E_NS1_11comp_targetILNS1_3genE4ELNS1_11target_archE910ELNS1_3gpuE8ELNS1_3repE0EEENS1_30default_config_static_selectorELNS0_4arch9wavefront6targetE1EEEvSP_: ; @_ZN7rocprim17ROCPRIM_400000_NS6detail17trampoline_kernelINS0_14default_configENS1_32segmented_reduce_config_selectorIdEEZNS1_21segmented_reduce_implIS3_PKdPdPKldN6hipcub16HIPCUB_304000_NS6detail27convert_result_type_wrapperIS8_S9_N2at6native12_GLOBAL__N_19CustomSumEEEEE10hipError_tPvRmT0_T1_jT2_SQ_T4_T3_P12ihipStream_tbEUlT_E_NS1_11comp_targetILNS1_3genE4ELNS1_11target_archE910ELNS1_3gpuE8ELNS1_3repE0EEENS1_30default_config_static_selectorELNS0_4arch9wavefront6targetE1EEEvSP_
; %bb.0:
	.section	.rodata,"a",@progbits
	.p2align	6, 0x0
	.amdhsa_kernel _ZN7rocprim17ROCPRIM_400000_NS6detail17trampoline_kernelINS0_14default_configENS1_32segmented_reduce_config_selectorIdEEZNS1_21segmented_reduce_implIS3_PKdPdPKldN6hipcub16HIPCUB_304000_NS6detail27convert_result_type_wrapperIS8_S9_N2at6native12_GLOBAL__N_19CustomSumEEEEE10hipError_tPvRmT0_T1_jT2_SQ_T4_T3_P12ihipStream_tbEUlT_E_NS1_11comp_targetILNS1_3genE4ELNS1_11target_archE910ELNS1_3gpuE8ELNS1_3repE0EEENS1_30default_config_static_selectorELNS0_4arch9wavefront6targetE1EEEvSP_
		.amdhsa_group_segment_fixed_size 0
		.amdhsa_private_segment_fixed_size 0
		.amdhsa_kernarg_size 56
		.amdhsa_user_sgpr_count 6
		.amdhsa_user_sgpr_private_segment_buffer 1
		.amdhsa_user_sgpr_dispatch_ptr 0
		.amdhsa_user_sgpr_queue_ptr 0
		.amdhsa_user_sgpr_kernarg_segment_ptr 1
		.amdhsa_user_sgpr_dispatch_id 0
		.amdhsa_user_sgpr_flat_scratch_init 0
		.amdhsa_user_sgpr_private_segment_size 0
		.amdhsa_uses_dynamic_stack 0
		.amdhsa_system_sgpr_private_segment_wavefront_offset 0
		.amdhsa_system_sgpr_workgroup_id_x 1
		.amdhsa_system_sgpr_workgroup_id_y 0
		.amdhsa_system_sgpr_workgroup_id_z 0
		.amdhsa_system_sgpr_workgroup_info 0
		.amdhsa_system_vgpr_workitem_id 0
		.amdhsa_next_free_vgpr 1
		.amdhsa_next_free_sgpr 0
		.amdhsa_reserve_vcc 0
		.amdhsa_reserve_flat_scratch 0
		.amdhsa_float_round_mode_32 0
		.amdhsa_float_round_mode_16_64 0
		.amdhsa_float_denorm_mode_32 3
		.amdhsa_float_denorm_mode_16_64 3
		.amdhsa_dx10_clamp 1
		.amdhsa_ieee_mode 1
		.amdhsa_fp16_overflow 0
		.amdhsa_exception_fp_ieee_invalid_op 0
		.amdhsa_exception_fp_denorm_src 0
		.amdhsa_exception_fp_ieee_div_zero 0
		.amdhsa_exception_fp_ieee_overflow 0
		.amdhsa_exception_fp_ieee_underflow 0
		.amdhsa_exception_fp_ieee_inexact 0
		.amdhsa_exception_int_div_zero 0
	.end_amdhsa_kernel
	.section	.text._ZN7rocprim17ROCPRIM_400000_NS6detail17trampoline_kernelINS0_14default_configENS1_32segmented_reduce_config_selectorIdEEZNS1_21segmented_reduce_implIS3_PKdPdPKldN6hipcub16HIPCUB_304000_NS6detail27convert_result_type_wrapperIS8_S9_N2at6native12_GLOBAL__N_19CustomSumEEEEE10hipError_tPvRmT0_T1_jT2_SQ_T4_T3_P12ihipStream_tbEUlT_E_NS1_11comp_targetILNS1_3genE4ELNS1_11target_archE910ELNS1_3gpuE8ELNS1_3repE0EEENS1_30default_config_static_selectorELNS0_4arch9wavefront6targetE1EEEvSP_,"axG",@progbits,_ZN7rocprim17ROCPRIM_400000_NS6detail17trampoline_kernelINS0_14default_configENS1_32segmented_reduce_config_selectorIdEEZNS1_21segmented_reduce_implIS3_PKdPdPKldN6hipcub16HIPCUB_304000_NS6detail27convert_result_type_wrapperIS8_S9_N2at6native12_GLOBAL__N_19CustomSumEEEEE10hipError_tPvRmT0_T1_jT2_SQ_T4_T3_P12ihipStream_tbEUlT_E_NS1_11comp_targetILNS1_3genE4ELNS1_11target_archE910ELNS1_3gpuE8ELNS1_3repE0EEENS1_30default_config_static_selectorELNS0_4arch9wavefront6targetE1EEEvSP_,comdat
.Lfunc_end156:
	.size	_ZN7rocprim17ROCPRIM_400000_NS6detail17trampoline_kernelINS0_14default_configENS1_32segmented_reduce_config_selectorIdEEZNS1_21segmented_reduce_implIS3_PKdPdPKldN6hipcub16HIPCUB_304000_NS6detail27convert_result_type_wrapperIS8_S9_N2at6native12_GLOBAL__N_19CustomSumEEEEE10hipError_tPvRmT0_T1_jT2_SQ_T4_T3_P12ihipStream_tbEUlT_E_NS1_11comp_targetILNS1_3genE4ELNS1_11target_archE910ELNS1_3gpuE8ELNS1_3repE0EEENS1_30default_config_static_selectorELNS0_4arch9wavefront6targetE1EEEvSP_, .Lfunc_end156-_ZN7rocprim17ROCPRIM_400000_NS6detail17trampoline_kernelINS0_14default_configENS1_32segmented_reduce_config_selectorIdEEZNS1_21segmented_reduce_implIS3_PKdPdPKldN6hipcub16HIPCUB_304000_NS6detail27convert_result_type_wrapperIS8_S9_N2at6native12_GLOBAL__N_19CustomSumEEEEE10hipError_tPvRmT0_T1_jT2_SQ_T4_T3_P12ihipStream_tbEUlT_E_NS1_11comp_targetILNS1_3genE4ELNS1_11target_archE910ELNS1_3gpuE8ELNS1_3repE0EEENS1_30default_config_static_selectorELNS0_4arch9wavefront6targetE1EEEvSP_
                                        ; -- End function
	.set _ZN7rocprim17ROCPRIM_400000_NS6detail17trampoline_kernelINS0_14default_configENS1_32segmented_reduce_config_selectorIdEEZNS1_21segmented_reduce_implIS3_PKdPdPKldN6hipcub16HIPCUB_304000_NS6detail27convert_result_type_wrapperIS8_S9_N2at6native12_GLOBAL__N_19CustomSumEEEEE10hipError_tPvRmT0_T1_jT2_SQ_T4_T3_P12ihipStream_tbEUlT_E_NS1_11comp_targetILNS1_3genE4ELNS1_11target_archE910ELNS1_3gpuE8ELNS1_3repE0EEENS1_30default_config_static_selectorELNS0_4arch9wavefront6targetE1EEEvSP_.num_vgpr, 0
	.set _ZN7rocprim17ROCPRIM_400000_NS6detail17trampoline_kernelINS0_14default_configENS1_32segmented_reduce_config_selectorIdEEZNS1_21segmented_reduce_implIS3_PKdPdPKldN6hipcub16HIPCUB_304000_NS6detail27convert_result_type_wrapperIS8_S9_N2at6native12_GLOBAL__N_19CustomSumEEEEE10hipError_tPvRmT0_T1_jT2_SQ_T4_T3_P12ihipStream_tbEUlT_E_NS1_11comp_targetILNS1_3genE4ELNS1_11target_archE910ELNS1_3gpuE8ELNS1_3repE0EEENS1_30default_config_static_selectorELNS0_4arch9wavefront6targetE1EEEvSP_.num_agpr, 0
	.set _ZN7rocprim17ROCPRIM_400000_NS6detail17trampoline_kernelINS0_14default_configENS1_32segmented_reduce_config_selectorIdEEZNS1_21segmented_reduce_implIS3_PKdPdPKldN6hipcub16HIPCUB_304000_NS6detail27convert_result_type_wrapperIS8_S9_N2at6native12_GLOBAL__N_19CustomSumEEEEE10hipError_tPvRmT0_T1_jT2_SQ_T4_T3_P12ihipStream_tbEUlT_E_NS1_11comp_targetILNS1_3genE4ELNS1_11target_archE910ELNS1_3gpuE8ELNS1_3repE0EEENS1_30default_config_static_selectorELNS0_4arch9wavefront6targetE1EEEvSP_.numbered_sgpr, 0
	.set _ZN7rocprim17ROCPRIM_400000_NS6detail17trampoline_kernelINS0_14default_configENS1_32segmented_reduce_config_selectorIdEEZNS1_21segmented_reduce_implIS3_PKdPdPKldN6hipcub16HIPCUB_304000_NS6detail27convert_result_type_wrapperIS8_S9_N2at6native12_GLOBAL__N_19CustomSumEEEEE10hipError_tPvRmT0_T1_jT2_SQ_T4_T3_P12ihipStream_tbEUlT_E_NS1_11comp_targetILNS1_3genE4ELNS1_11target_archE910ELNS1_3gpuE8ELNS1_3repE0EEENS1_30default_config_static_selectorELNS0_4arch9wavefront6targetE1EEEvSP_.num_named_barrier, 0
	.set _ZN7rocprim17ROCPRIM_400000_NS6detail17trampoline_kernelINS0_14default_configENS1_32segmented_reduce_config_selectorIdEEZNS1_21segmented_reduce_implIS3_PKdPdPKldN6hipcub16HIPCUB_304000_NS6detail27convert_result_type_wrapperIS8_S9_N2at6native12_GLOBAL__N_19CustomSumEEEEE10hipError_tPvRmT0_T1_jT2_SQ_T4_T3_P12ihipStream_tbEUlT_E_NS1_11comp_targetILNS1_3genE4ELNS1_11target_archE910ELNS1_3gpuE8ELNS1_3repE0EEENS1_30default_config_static_selectorELNS0_4arch9wavefront6targetE1EEEvSP_.private_seg_size, 0
	.set _ZN7rocprim17ROCPRIM_400000_NS6detail17trampoline_kernelINS0_14default_configENS1_32segmented_reduce_config_selectorIdEEZNS1_21segmented_reduce_implIS3_PKdPdPKldN6hipcub16HIPCUB_304000_NS6detail27convert_result_type_wrapperIS8_S9_N2at6native12_GLOBAL__N_19CustomSumEEEEE10hipError_tPvRmT0_T1_jT2_SQ_T4_T3_P12ihipStream_tbEUlT_E_NS1_11comp_targetILNS1_3genE4ELNS1_11target_archE910ELNS1_3gpuE8ELNS1_3repE0EEENS1_30default_config_static_selectorELNS0_4arch9wavefront6targetE1EEEvSP_.uses_vcc, 0
	.set _ZN7rocprim17ROCPRIM_400000_NS6detail17trampoline_kernelINS0_14default_configENS1_32segmented_reduce_config_selectorIdEEZNS1_21segmented_reduce_implIS3_PKdPdPKldN6hipcub16HIPCUB_304000_NS6detail27convert_result_type_wrapperIS8_S9_N2at6native12_GLOBAL__N_19CustomSumEEEEE10hipError_tPvRmT0_T1_jT2_SQ_T4_T3_P12ihipStream_tbEUlT_E_NS1_11comp_targetILNS1_3genE4ELNS1_11target_archE910ELNS1_3gpuE8ELNS1_3repE0EEENS1_30default_config_static_selectorELNS0_4arch9wavefront6targetE1EEEvSP_.uses_flat_scratch, 0
	.set _ZN7rocprim17ROCPRIM_400000_NS6detail17trampoline_kernelINS0_14default_configENS1_32segmented_reduce_config_selectorIdEEZNS1_21segmented_reduce_implIS3_PKdPdPKldN6hipcub16HIPCUB_304000_NS6detail27convert_result_type_wrapperIS8_S9_N2at6native12_GLOBAL__N_19CustomSumEEEEE10hipError_tPvRmT0_T1_jT2_SQ_T4_T3_P12ihipStream_tbEUlT_E_NS1_11comp_targetILNS1_3genE4ELNS1_11target_archE910ELNS1_3gpuE8ELNS1_3repE0EEENS1_30default_config_static_selectorELNS0_4arch9wavefront6targetE1EEEvSP_.has_dyn_sized_stack, 0
	.set _ZN7rocprim17ROCPRIM_400000_NS6detail17trampoline_kernelINS0_14default_configENS1_32segmented_reduce_config_selectorIdEEZNS1_21segmented_reduce_implIS3_PKdPdPKldN6hipcub16HIPCUB_304000_NS6detail27convert_result_type_wrapperIS8_S9_N2at6native12_GLOBAL__N_19CustomSumEEEEE10hipError_tPvRmT0_T1_jT2_SQ_T4_T3_P12ihipStream_tbEUlT_E_NS1_11comp_targetILNS1_3genE4ELNS1_11target_archE910ELNS1_3gpuE8ELNS1_3repE0EEENS1_30default_config_static_selectorELNS0_4arch9wavefront6targetE1EEEvSP_.has_recursion, 0
	.set _ZN7rocprim17ROCPRIM_400000_NS6detail17trampoline_kernelINS0_14default_configENS1_32segmented_reduce_config_selectorIdEEZNS1_21segmented_reduce_implIS3_PKdPdPKldN6hipcub16HIPCUB_304000_NS6detail27convert_result_type_wrapperIS8_S9_N2at6native12_GLOBAL__N_19CustomSumEEEEE10hipError_tPvRmT0_T1_jT2_SQ_T4_T3_P12ihipStream_tbEUlT_E_NS1_11comp_targetILNS1_3genE4ELNS1_11target_archE910ELNS1_3gpuE8ELNS1_3repE0EEENS1_30default_config_static_selectorELNS0_4arch9wavefront6targetE1EEEvSP_.has_indirect_call, 0
	.section	.AMDGPU.csdata,"",@progbits
; Kernel info:
; codeLenInByte = 0
; TotalNumSgprs: 4
; NumVgprs: 0
; ScratchSize: 0
; MemoryBound: 0
; FloatMode: 240
; IeeeMode: 1
; LDSByteSize: 0 bytes/workgroup (compile time only)
; SGPRBlocks: 0
; VGPRBlocks: 0
; NumSGPRsForWavesPerEU: 4
; NumVGPRsForWavesPerEU: 1
; Occupancy: 10
; WaveLimiterHint : 0
; COMPUTE_PGM_RSRC2:SCRATCH_EN: 0
; COMPUTE_PGM_RSRC2:USER_SGPR: 6
; COMPUTE_PGM_RSRC2:TRAP_HANDLER: 0
; COMPUTE_PGM_RSRC2:TGID_X_EN: 1
; COMPUTE_PGM_RSRC2:TGID_Y_EN: 0
; COMPUTE_PGM_RSRC2:TGID_Z_EN: 0
; COMPUTE_PGM_RSRC2:TIDIG_COMP_CNT: 0
	.section	.text._ZN7rocprim17ROCPRIM_400000_NS6detail17trampoline_kernelINS0_14default_configENS1_32segmented_reduce_config_selectorIdEEZNS1_21segmented_reduce_implIS3_PKdPdPKldN6hipcub16HIPCUB_304000_NS6detail27convert_result_type_wrapperIS8_S9_N2at6native12_GLOBAL__N_19CustomSumEEEEE10hipError_tPvRmT0_T1_jT2_SQ_T4_T3_P12ihipStream_tbEUlT_E_NS1_11comp_targetILNS1_3genE3ELNS1_11target_archE908ELNS1_3gpuE7ELNS1_3repE0EEENS1_30default_config_static_selectorELNS0_4arch9wavefront6targetE1EEEvSP_,"axG",@progbits,_ZN7rocprim17ROCPRIM_400000_NS6detail17trampoline_kernelINS0_14default_configENS1_32segmented_reduce_config_selectorIdEEZNS1_21segmented_reduce_implIS3_PKdPdPKldN6hipcub16HIPCUB_304000_NS6detail27convert_result_type_wrapperIS8_S9_N2at6native12_GLOBAL__N_19CustomSumEEEEE10hipError_tPvRmT0_T1_jT2_SQ_T4_T3_P12ihipStream_tbEUlT_E_NS1_11comp_targetILNS1_3genE3ELNS1_11target_archE908ELNS1_3gpuE7ELNS1_3repE0EEENS1_30default_config_static_selectorELNS0_4arch9wavefront6targetE1EEEvSP_,comdat
	.globl	_ZN7rocprim17ROCPRIM_400000_NS6detail17trampoline_kernelINS0_14default_configENS1_32segmented_reduce_config_selectorIdEEZNS1_21segmented_reduce_implIS3_PKdPdPKldN6hipcub16HIPCUB_304000_NS6detail27convert_result_type_wrapperIS8_S9_N2at6native12_GLOBAL__N_19CustomSumEEEEE10hipError_tPvRmT0_T1_jT2_SQ_T4_T3_P12ihipStream_tbEUlT_E_NS1_11comp_targetILNS1_3genE3ELNS1_11target_archE908ELNS1_3gpuE7ELNS1_3repE0EEENS1_30default_config_static_selectorELNS0_4arch9wavefront6targetE1EEEvSP_ ; -- Begin function _ZN7rocprim17ROCPRIM_400000_NS6detail17trampoline_kernelINS0_14default_configENS1_32segmented_reduce_config_selectorIdEEZNS1_21segmented_reduce_implIS3_PKdPdPKldN6hipcub16HIPCUB_304000_NS6detail27convert_result_type_wrapperIS8_S9_N2at6native12_GLOBAL__N_19CustomSumEEEEE10hipError_tPvRmT0_T1_jT2_SQ_T4_T3_P12ihipStream_tbEUlT_E_NS1_11comp_targetILNS1_3genE3ELNS1_11target_archE908ELNS1_3gpuE7ELNS1_3repE0EEENS1_30default_config_static_selectorELNS0_4arch9wavefront6targetE1EEEvSP_
	.p2align	8
	.type	_ZN7rocprim17ROCPRIM_400000_NS6detail17trampoline_kernelINS0_14default_configENS1_32segmented_reduce_config_selectorIdEEZNS1_21segmented_reduce_implIS3_PKdPdPKldN6hipcub16HIPCUB_304000_NS6detail27convert_result_type_wrapperIS8_S9_N2at6native12_GLOBAL__N_19CustomSumEEEEE10hipError_tPvRmT0_T1_jT2_SQ_T4_T3_P12ihipStream_tbEUlT_E_NS1_11comp_targetILNS1_3genE3ELNS1_11target_archE908ELNS1_3gpuE7ELNS1_3repE0EEENS1_30default_config_static_selectorELNS0_4arch9wavefront6targetE1EEEvSP_,@function
_ZN7rocprim17ROCPRIM_400000_NS6detail17trampoline_kernelINS0_14default_configENS1_32segmented_reduce_config_selectorIdEEZNS1_21segmented_reduce_implIS3_PKdPdPKldN6hipcub16HIPCUB_304000_NS6detail27convert_result_type_wrapperIS8_S9_N2at6native12_GLOBAL__N_19CustomSumEEEEE10hipError_tPvRmT0_T1_jT2_SQ_T4_T3_P12ihipStream_tbEUlT_E_NS1_11comp_targetILNS1_3genE3ELNS1_11target_archE908ELNS1_3gpuE7ELNS1_3repE0EEENS1_30default_config_static_selectorELNS0_4arch9wavefront6targetE1EEEvSP_: ; @_ZN7rocprim17ROCPRIM_400000_NS6detail17trampoline_kernelINS0_14default_configENS1_32segmented_reduce_config_selectorIdEEZNS1_21segmented_reduce_implIS3_PKdPdPKldN6hipcub16HIPCUB_304000_NS6detail27convert_result_type_wrapperIS8_S9_N2at6native12_GLOBAL__N_19CustomSumEEEEE10hipError_tPvRmT0_T1_jT2_SQ_T4_T3_P12ihipStream_tbEUlT_E_NS1_11comp_targetILNS1_3genE3ELNS1_11target_archE908ELNS1_3gpuE7ELNS1_3repE0EEENS1_30default_config_static_selectorELNS0_4arch9wavefront6targetE1EEEvSP_
; %bb.0:
	.section	.rodata,"a",@progbits
	.p2align	6, 0x0
	.amdhsa_kernel _ZN7rocprim17ROCPRIM_400000_NS6detail17trampoline_kernelINS0_14default_configENS1_32segmented_reduce_config_selectorIdEEZNS1_21segmented_reduce_implIS3_PKdPdPKldN6hipcub16HIPCUB_304000_NS6detail27convert_result_type_wrapperIS8_S9_N2at6native12_GLOBAL__N_19CustomSumEEEEE10hipError_tPvRmT0_T1_jT2_SQ_T4_T3_P12ihipStream_tbEUlT_E_NS1_11comp_targetILNS1_3genE3ELNS1_11target_archE908ELNS1_3gpuE7ELNS1_3repE0EEENS1_30default_config_static_selectorELNS0_4arch9wavefront6targetE1EEEvSP_
		.amdhsa_group_segment_fixed_size 0
		.amdhsa_private_segment_fixed_size 0
		.amdhsa_kernarg_size 56
		.amdhsa_user_sgpr_count 6
		.amdhsa_user_sgpr_private_segment_buffer 1
		.amdhsa_user_sgpr_dispatch_ptr 0
		.amdhsa_user_sgpr_queue_ptr 0
		.amdhsa_user_sgpr_kernarg_segment_ptr 1
		.amdhsa_user_sgpr_dispatch_id 0
		.amdhsa_user_sgpr_flat_scratch_init 0
		.amdhsa_user_sgpr_private_segment_size 0
		.amdhsa_uses_dynamic_stack 0
		.amdhsa_system_sgpr_private_segment_wavefront_offset 0
		.amdhsa_system_sgpr_workgroup_id_x 1
		.amdhsa_system_sgpr_workgroup_id_y 0
		.amdhsa_system_sgpr_workgroup_id_z 0
		.amdhsa_system_sgpr_workgroup_info 0
		.amdhsa_system_vgpr_workitem_id 0
		.amdhsa_next_free_vgpr 1
		.amdhsa_next_free_sgpr 0
		.amdhsa_reserve_vcc 0
		.amdhsa_reserve_flat_scratch 0
		.amdhsa_float_round_mode_32 0
		.amdhsa_float_round_mode_16_64 0
		.amdhsa_float_denorm_mode_32 3
		.amdhsa_float_denorm_mode_16_64 3
		.amdhsa_dx10_clamp 1
		.amdhsa_ieee_mode 1
		.amdhsa_fp16_overflow 0
		.amdhsa_exception_fp_ieee_invalid_op 0
		.amdhsa_exception_fp_denorm_src 0
		.amdhsa_exception_fp_ieee_div_zero 0
		.amdhsa_exception_fp_ieee_overflow 0
		.amdhsa_exception_fp_ieee_underflow 0
		.amdhsa_exception_fp_ieee_inexact 0
		.amdhsa_exception_int_div_zero 0
	.end_amdhsa_kernel
	.section	.text._ZN7rocprim17ROCPRIM_400000_NS6detail17trampoline_kernelINS0_14default_configENS1_32segmented_reduce_config_selectorIdEEZNS1_21segmented_reduce_implIS3_PKdPdPKldN6hipcub16HIPCUB_304000_NS6detail27convert_result_type_wrapperIS8_S9_N2at6native12_GLOBAL__N_19CustomSumEEEEE10hipError_tPvRmT0_T1_jT2_SQ_T4_T3_P12ihipStream_tbEUlT_E_NS1_11comp_targetILNS1_3genE3ELNS1_11target_archE908ELNS1_3gpuE7ELNS1_3repE0EEENS1_30default_config_static_selectorELNS0_4arch9wavefront6targetE1EEEvSP_,"axG",@progbits,_ZN7rocprim17ROCPRIM_400000_NS6detail17trampoline_kernelINS0_14default_configENS1_32segmented_reduce_config_selectorIdEEZNS1_21segmented_reduce_implIS3_PKdPdPKldN6hipcub16HIPCUB_304000_NS6detail27convert_result_type_wrapperIS8_S9_N2at6native12_GLOBAL__N_19CustomSumEEEEE10hipError_tPvRmT0_T1_jT2_SQ_T4_T3_P12ihipStream_tbEUlT_E_NS1_11comp_targetILNS1_3genE3ELNS1_11target_archE908ELNS1_3gpuE7ELNS1_3repE0EEENS1_30default_config_static_selectorELNS0_4arch9wavefront6targetE1EEEvSP_,comdat
.Lfunc_end157:
	.size	_ZN7rocprim17ROCPRIM_400000_NS6detail17trampoline_kernelINS0_14default_configENS1_32segmented_reduce_config_selectorIdEEZNS1_21segmented_reduce_implIS3_PKdPdPKldN6hipcub16HIPCUB_304000_NS6detail27convert_result_type_wrapperIS8_S9_N2at6native12_GLOBAL__N_19CustomSumEEEEE10hipError_tPvRmT0_T1_jT2_SQ_T4_T3_P12ihipStream_tbEUlT_E_NS1_11comp_targetILNS1_3genE3ELNS1_11target_archE908ELNS1_3gpuE7ELNS1_3repE0EEENS1_30default_config_static_selectorELNS0_4arch9wavefront6targetE1EEEvSP_, .Lfunc_end157-_ZN7rocprim17ROCPRIM_400000_NS6detail17trampoline_kernelINS0_14default_configENS1_32segmented_reduce_config_selectorIdEEZNS1_21segmented_reduce_implIS3_PKdPdPKldN6hipcub16HIPCUB_304000_NS6detail27convert_result_type_wrapperIS8_S9_N2at6native12_GLOBAL__N_19CustomSumEEEEE10hipError_tPvRmT0_T1_jT2_SQ_T4_T3_P12ihipStream_tbEUlT_E_NS1_11comp_targetILNS1_3genE3ELNS1_11target_archE908ELNS1_3gpuE7ELNS1_3repE0EEENS1_30default_config_static_selectorELNS0_4arch9wavefront6targetE1EEEvSP_
                                        ; -- End function
	.set _ZN7rocprim17ROCPRIM_400000_NS6detail17trampoline_kernelINS0_14default_configENS1_32segmented_reduce_config_selectorIdEEZNS1_21segmented_reduce_implIS3_PKdPdPKldN6hipcub16HIPCUB_304000_NS6detail27convert_result_type_wrapperIS8_S9_N2at6native12_GLOBAL__N_19CustomSumEEEEE10hipError_tPvRmT0_T1_jT2_SQ_T4_T3_P12ihipStream_tbEUlT_E_NS1_11comp_targetILNS1_3genE3ELNS1_11target_archE908ELNS1_3gpuE7ELNS1_3repE0EEENS1_30default_config_static_selectorELNS0_4arch9wavefront6targetE1EEEvSP_.num_vgpr, 0
	.set _ZN7rocprim17ROCPRIM_400000_NS6detail17trampoline_kernelINS0_14default_configENS1_32segmented_reduce_config_selectorIdEEZNS1_21segmented_reduce_implIS3_PKdPdPKldN6hipcub16HIPCUB_304000_NS6detail27convert_result_type_wrapperIS8_S9_N2at6native12_GLOBAL__N_19CustomSumEEEEE10hipError_tPvRmT0_T1_jT2_SQ_T4_T3_P12ihipStream_tbEUlT_E_NS1_11comp_targetILNS1_3genE3ELNS1_11target_archE908ELNS1_3gpuE7ELNS1_3repE0EEENS1_30default_config_static_selectorELNS0_4arch9wavefront6targetE1EEEvSP_.num_agpr, 0
	.set _ZN7rocprim17ROCPRIM_400000_NS6detail17trampoline_kernelINS0_14default_configENS1_32segmented_reduce_config_selectorIdEEZNS1_21segmented_reduce_implIS3_PKdPdPKldN6hipcub16HIPCUB_304000_NS6detail27convert_result_type_wrapperIS8_S9_N2at6native12_GLOBAL__N_19CustomSumEEEEE10hipError_tPvRmT0_T1_jT2_SQ_T4_T3_P12ihipStream_tbEUlT_E_NS1_11comp_targetILNS1_3genE3ELNS1_11target_archE908ELNS1_3gpuE7ELNS1_3repE0EEENS1_30default_config_static_selectorELNS0_4arch9wavefront6targetE1EEEvSP_.numbered_sgpr, 0
	.set _ZN7rocprim17ROCPRIM_400000_NS6detail17trampoline_kernelINS0_14default_configENS1_32segmented_reduce_config_selectorIdEEZNS1_21segmented_reduce_implIS3_PKdPdPKldN6hipcub16HIPCUB_304000_NS6detail27convert_result_type_wrapperIS8_S9_N2at6native12_GLOBAL__N_19CustomSumEEEEE10hipError_tPvRmT0_T1_jT2_SQ_T4_T3_P12ihipStream_tbEUlT_E_NS1_11comp_targetILNS1_3genE3ELNS1_11target_archE908ELNS1_3gpuE7ELNS1_3repE0EEENS1_30default_config_static_selectorELNS0_4arch9wavefront6targetE1EEEvSP_.num_named_barrier, 0
	.set _ZN7rocprim17ROCPRIM_400000_NS6detail17trampoline_kernelINS0_14default_configENS1_32segmented_reduce_config_selectorIdEEZNS1_21segmented_reduce_implIS3_PKdPdPKldN6hipcub16HIPCUB_304000_NS6detail27convert_result_type_wrapperIS8_S9_N2at6native12_GLOBAL__N_19CustomSumEEEEE10hipError_tPvRmT0_T1_jT2_SQ_T4_T3_P12ihipStream_tbEUlT_E_NS1_11comp_targetILNS1_3genE3ELNS1_11target_archE908ELNS1_3gpuE7ELNS1_3repE0EEENS1_30default_config_static_selectorELNS0_4arch9wavefront6targetE1EEEvSP_.private_seg_size, 0
	.set _ZN7rocprim17ROCPRIM_400000_NS6detail17trampoline_kernelINS0_14default_configENS1_32segmented_reduce_config_selectorIdEEZNS1_21segmented_reduce_implIS3_PKdPdPKldN6hipcub16HIPCUB_304000_NS6detail27convert_result_type_wrapperIS8_S9_N2at6native12_GLOBAL__N_19CustomSumEEEEE10hipError_tPvRmT0_T1_jT2_SQ_T4_T3_P12ihipStream_tbEUlT_E_NS1_11comp_targetILNS1_3genE3ELNS1_11target_archE908ELNS1_3gpuE7ELNS1_3repE0EEENS1_30default_config_static_selectorELNS0_4arch9wavefront6targetE1EEEvSP_.uses_vcc, 0
	.set _ZN7rocprim17ROCPRIM_400000_NS6detail17trampoline_kernelINS0_14default_configENS1_32segmented_reduce_config_selectorIdEEZNS1_21segmented_reduce_implIS3_PKdPdPKldN6hipcub16HIPCUB_304000_NS6detail27convert_result_type_wrapperIS8_S9_N2at6native12_GLOBAL__N_19CustomSumEEEEE10hipError_tPvRmT0_T1_jT2_SQ_T4_T3_P12ihipStream_tbEUlT_E_NS1_11comp_targetILNS1_3genE3ELNS1_11target_archE908ELNS1_3gpuE7ELNS1_3repE0EEENS1_30default_config_static_selectorELNS0_4arch9wavefront6targetE1EEEvSP_.uses_flat_scratch, 0
	.set _ZN7rocprim17ROCPRIM_400000_NS6detail17trampoline_kernelINS0_14default_configENS1_32segmented_reduce_config_selectorIdEEZNS1_21segmented_reduce_implIS3_PKdPdPKldN6hipcub16HIPCUB_304000_NS6detail27convert_result_type_wrapperIS8_S9_N2at6native12_GLOBAL__N_19CustomSumEEEEE10hipError_tPvRmT0_T1_jT2_SQ_T4_T3_P12ihipStream_tbEUlT_E_NS1_11comp_targetILNS1_3genE3ELNS1_11target_archE908ELNS1_3gpuE7ELNS1_3repE0EEENS1_30default_config_static_selectorELNS0_4arch9wavefront6targetE1EEEvSP_.has_dyn_sized_stack, 0
	.set _ZN7rocprim17ROCPRIM_400000_NS6detail17trampoline_kernelINS0_14default_configENS1_32segmented_reduce_config_selectorIdEEZNS1_21segmented_reduce_implIS3_PKdPdPKldN6hipcub16HIPCUB_304000_NS6detail27convert_result_type_wrapperIS8_S9_N2at6native12_GLOBAL__N_19CustomSumEEEEE10hipError_tPvRmT0_T1_jT2_SQ_T4_T3_P12ihipStream_tbEUlT_E_NS1_11comp_targetILNS1_3genE3ELNS1_11target_archE908ELNS1_3gpuE7ELNS1_3repE0EEENS1_30default_config_static_selectorELNS0_4arch9wavefront6targetE1EEEvSP_.has_recursion, 0
	.set _ZN7rocprim17ROCPRIM_400000_NS6detail17trampoline_kernelINS0_14default_configENS1_32segmented_reduce_config_selectorIdEEZNS1_21segmented_reduce_implIS3_PKdPdPKldN6hipcub16HIPCUB_304000_NS6detail27convert_result_type_wrapperIS8_S9_N2at6native12_GLOBAL__N_19CustomSumEEEEE10hipError_tPvRmT0_T1_jT2_SQ_T4_T3_P12ihipStream_tbEUlT_E_NS1_11comp_targetILNS1_3genE3ELNS1_11target_archE908ELNS1_3gpuE7ELNS1_3repE0EEENS1_30default_config_static_selectorELNS0_4arch9wavefront6targetE1EEEvSP_.has_indirect_call, 0
	.section	.AMDGPU.csdata,"",@progbits
; Kernel info:
; codeLenInByte = 0
; TotalNumSgprs: 4
; NumVgprs: 0
; ScratchSize: 0
; MemoryBound: 0
; FloatMode: 240
; IeeeMode: 1
; LDSByteSize: 0 bytes/workgroup (compile time only)
; SGPRBlocks: 0
; VGPRBlocks: 0
; NumSGPRsForWavesPerEU: 4
; NumVGPRsForWavesPerEU: 1
; Occupancy: 10
; WaveLimiterHint : 0
; COMPUTE_PGM_RSRC2:SCRATCH_EN: 0
; COMPUTE_PGM_RSRC2:USER_SGPR: 6
; COMPUTE_PGM_RSRC2:TRAP_HANDLER: 0
; COMPUTE_PGM_RSRC2:TGID_X_EN: 1
; COMPUTE_PGM_RSRC2:TGID_Y_EN: 0
; COMPUTE_PGM_RSRC2:TGID_Z_EN: 0
; COMPUTE_PGM_RSRC2:TIDIG_COMP_CNT: 0
	.section	.text._ZN7rocprim17ROCPRIM_400000_NS6detail17trampoline_kernelINS0_14default_configENS1_32segmented_reduce_config_selectorIdEEZNS1_21segmented_reduce_implIS3_PKdPdPKldN6hipcub16HIPCUB_304000_NS6detail27convert_result_type_wrapperIS8_S9_N2at6native12_GLOBAL__N_19CustomSumEEEEE10hipError_tPvRmT0_T1_jT2_SQ_T4_T3_P12ihipStream_tbEUlT_E_NS1_11comp_targetILNS1_3genE2ELNS1_11target_archE906ELNS1_3gpuE6ELNS1_3repE0EEENS1_30default_config_static_selectorELNS0_4arch9wavefront6targetE1EEEvSP_,"axG",@progbits,_ZN7rocprim17ROCPRIM_400000_NS6detail17trampoline_kernelINS0_14default_configENS1_32segmented_reduce_config_selectorIdEEZNS1_21segmented_reduce_implIS3_PKdPdPKldN6hipcub16HIPCUB_304000_NS6detail27convert_result_type_wrapperIS8_S9_N2at6native12_GLOBAL__N_19CustomSumEEEEE10hipError_tPvRmT0_T1_jT2_SQ_T4_T3_P12ihipStream_tbEUlT_E_NS1_11comp_targetILNS1_3genE2ELNS1_11target_archE906ELNS1_3gpuE6ELNS1_3repE0EEENS1_30default_config_static_selectorELNS0_4arch9wavefront6targetE1EEEvSP_,comdat
	.globl	_ZN7rocprim17ROCPRIM_400000_NS6detail17trampoline_kernelINS0_14default_configENS1_32segmented_reduce_config_selectorIdEEZNS1_21segmented_reduce_implIS3_PKdPdPKldN6hipcub16HIPCUB_304000_NS6detail27convert_result_type_wrapperIS8_S9_N2at6native12_GLOBAL__N_19CustomSumEEEEE10hipError_tPvRmT0_T1_jT2_SQ_T4_T3_P12ihipStream_tbEUlT_E_NS1_11comp_targetILNS1_3genE2ELNS1_11target_archE906ELNS1_3gpuE6ELNS1_3repE0EEENS1_30default_config_static_selectorELNS0_4arch9wavefront6targetE1EEEvSP_ ; -- Begin function _ZN7rocprim17ROCPRIM_400000_NS6detail17trampoline_kernelINS0_14default_configENS1_32segmented_reduce_config_selectorIdEEZNS1_21segmented_reduce_implIS3_PKdPdPKldN6hipcub16HIPCUB_304000_NS6detail27convert_result_type_wrapperIS8_S9_N2at6native12_GLOBAL__N_19CustomSumEEEEE10hipError_tPvRmT0_T1_jT2_SQ_T4_T3_P12ihipStream_tbEUlT_E_NS1_11comp_targetILNS1_3genE2ELNS1_11target_archE906ELNS1_3gpuE6ELNS1_3repE0EEENS1_30default_config_static_selectorELNS0_4arch9wavefront6targetE1EEEvSP_
	.p2align	8
	.type	_ZN7rocprim17ROCPRIM_400000_NS6detail17trampoline_kernelINS0_14default_configENS1_32segmented_reduce_config_selectorIdEEZNS1_21segmented_reduce_implIS3_PKdPdPKldN6hipcub16HIPCUB_304000_NS6detail27convert_result_type_wrapperIS8_S9_N2at6native12_GLOBAL__N_19CustomSumEEEEE10hipError_tPvRmT0_T1_jT2_SQ_T4_T3_P12ihipStream_tbEUlT_E_NS1_11comp_targetILNS1_3genE2ELNS1_11target_archE906ELNS1_3gpuE6ELNS1_3repE0EEENS1_30default_config_static_selectorELNS0_4arch9wavefront6targetE1EEEvSP_,@function
_ZN7rocprim17ROCPRIM_400000_NS6detail17trampoline_kernelINS0_14default_configENS1_32segmented_reduce_config_selectorIdEEZNS1_21segmented_reduce_implIS3_PKdPdPKldN6hipcub16HIPCUB_304000_NS6detail27convert_result_type_wrapperIS8_S9_N2at6native12_GLOBAL__N_19CustomSumEEEEE10hipError_tPvRmT0_T1_jT2_SQ_T4_T3_P12ihipStream_tbEUlT_E_NS1_11comp_targetILNS1_3genE2ELNS1_11target_archE906ELNS1_3gpuE6ELNS1_3repE0EEENS1_30default_config_static_selectorELNS0_4arch9wavefront6targetE1EEEvSP_: ; @_ZN7rocprim17ROCPRIM_400000_NS6detail17trampoline_kernelINS0_14default_configENS1_32segmented_reduce_config_selectorIdEEZNS1_21segmented_reduce_implIS3_PKdPdPKldN6hipcub16HIPCUB_304000_NS6detail27convert_result_type_wrapperIS8_S9_N2at6native12_GLOBAL__N_19CustomSumEEEEE10hipError_tPvRmT0_T1_jT2_SQ_T4_T3_P12ihipStream_tbEUlT_E_NS1_11comp_targetILNS1_3genE2ELNS1_11target_archE906ELNS1_3gpuE6ELNS1_3repE0EEENS1_30default_config_static_selectorELNS0_4arch9wavefront6targetE1EEEvSP_
; %bb.0:
	s_load_dwordx8 s[16:23], s[4:5], 0x0
	s_load_dwordx2 s[0:1], s[4:5], 0x20
	s_load_dwordx2 s[24:25], s[4:5], 0x30
	s_mov_b32 s7, 0
	s_waitcnt lgkmcnt(0)
	s_lshl_b64 s[14:15], s[20:21], 3
	s_add_u32 s2, s22, s14
	s_addc_u32 s3, s23, s15
	s_add_u32 s4, s0, s14
	s_addc_u32 s5, s1, s15
	s_lshl_b64 s[20:21], s[6:7], 3
	s_add_u32 s0, s2, s20
	s_addc_u32 s1, s3, s21
	s_load_dwordx2 s[28:29], s[0:1], 0x0
	s_add_u32 s0, s4, s20
	s_addc_u32 s1, s5, s21
	s_load_dwordx2 s[26:27], s[0:1], 0x0
	v_cmp_eq_u32_e64 s[0:1], 0, v0
	s_waitcnt lgkmcnt(0)
	v_mov_b32_e32 v1, s28
	v_mov_b32_e32 v2, s29
	v_cmp_gt_i64_e32 vcc, s[26:27], v[1:2]
	s_cbranch_vccnz .LBB158_3
; %bb.1:
	s_and_b64 s[22:23], s[0:1], exec
	s_cbranch_execz .LBB158_4
; %bb.2:
	v_mov_b32_e32 v1, s24
	v_mov_b32_e32 v2, s25
	s_and_saveexec_b64 s[0:1], s[22:23]
	s_cbranch_execnz .LBB158_63
	s_branch .LBB158_64
.LBB158_3:
	s_mov_b64 s[22:23], 0
.LBB158_4:
	s_add_u32 s2, s28, 0x800
	v_mov_b32_e32 v1, s26
	s_addc_u32 s3, s29, 0
	v_mov_b32_e32 v2, s27
	v_cmp_le_i64_e32 vcc, s[2:3], v[1:2]
	s_cbranch_vccz .LBB158_29
; %bb.5:
	s_lshl_b64 s[0:1], s[28:29], 3
	s_add_u32 s4, s16, s0
	s_addc_u32 s5, s17, s1
	v_lshlrev_b32_e32 v21, 3, v0
	global_load_dwordx2 v[3:4], v21, s[4:5]
	global_load_dwordx2 v[1:2], v21, s[4:5] offset:2048
	v_mov_b32_e32 v5, s5
	v_add_co_u32_e32 v15, vcc, s4, v21
	v_addc_co_u32_e32 v16, vcc, 0, v5, vcc
	v_add_co_u32_e32 v9, vcc, 0x1000, v15
	v_addc_co_u32_e32 v10, vcc, 0, v16, vcc
	global_load_dwordx2 v[7:8], v[9:10], off
	global_load_dwordx2 v[5:6], v[9:10], off offset:2048
	v_add_co_u32_e32 v11, vcc, 0x2000, v15
	v_addc_co_u32_e32 v12, vcc, 0, v16, vcc
	global_load_dwordx2 v[9:10], v[11:12], off
	global_load_dwordx2 v[13:14], v[11:12], off offset:2048
	;; [unrolled: 4-line block ×3, first 2 shown]
	s_add_u32 s4, s28, 0x1000
	v_mov_b32_e32 v11, s26
	s_addc_u32 s5, s29, 0
	v_mov_b32_e32 v12, s27
	v_cmp_ge_i64_e32 vcc, s[4:5], v[11:12]
	s_and_b64 vcc, exec, vcc
	s_waitcnt vmcnt(6)
	v_add_f64 v[11:12], v[3:4], v[1:2]
	s_waitcnt vmcnt(5)
	v_add_f64 v[11:12], v[11:12], v[7:8]
	;; [unrolled: 2-line block ×7, first 2 shown]
	s_cbranch_vccnz .LBB158_8
; %bb.6:
	s_add_u32 s0, s16, s0
	s_addc_u32 s1, s17, s1
	v_mov_b32_e32 v1, s1
	v_add_co_u32_e32 v2, vcc, s0, v21
	v_addc_co_u32_e32 v1, vcc, 0, v1, vcc
	v_add_co_u32_e32 v19, vcc, 0x4000, v2
	v_addc_co_u32_e32 v20, vcc, 0, v1, vcc
.LBB158_7:                              ; =>This Inner Loop Header: Depth=1
	global_load_dwordx2 v[3:4], v[19:20], off
	global_load_dwordx2 v[1:2], v[19:20], off offset:2048
	v_add_co_u32_e32 v9, vcc, 0x1000, v19
	v_addc_co_u32_e32 v10, vcc, 0, v20, vcc
	global_load_dwordx2 v[7:8], v[9:10], off
	global_load_dwordx2 v[5:6], v[9:10], off offset:2048
	v_add_co_u32_e32 v13, vcc, 0x2000, v19
	v_addc_co_u32_e32 v14, vcc, 0, v20, vcc
	global_load_dwordx2 v[9:10], v[13:14], off
	s_mov_b64 s[0:1], s[2:3]
	global_load_dwordx2 v[13:14], v[13:14], off offset:2048
	s_add_u32 s2, s0, 0x800
	s_addc_u32 s3, s1, 0
	v_mov_b32_e32 v15, s26
	v_add_co_u32_e32 v22, vcc, 0x3000, v19
	s_add_u32 s0, s0, 0x1000
	v_mov_b32_e32 v16, s27
	v_addc_co_u32_e32 v23, vcc, 0, v20, vcc
	s_addc_u32 s1, s1, 0
	v_cmp_lt_i64_e64 s[0:1], s[0:1], v[15:16]
	global_load_dwordx2 v[17:18], v[22:23], off
	global_load_dwordx2 v[15:16], v[22:23], off offset:2048
	v_add_co_u32_e32 v19, vcc, 0x4000, v19
	v_addc_co_u32_e32 v20, vcc, 0, v20, vcc
	s_and_b64 vcc, exec, s[0:1]
	s_waitcnt vmcnt(7)
	v_add_f64 v[11:12], v[11:12], v[3:4]
	s_waitcnt vmcnt(6)
	v_add_f64 v[11:12], v[11:12], v[1:2]
	;; [unrolled: 2-line block ×8, first 2 shown]
	s_cbranch_vccnz .LBB158_7
.LBB158_8:
	s_sub_i32 s33, s26, s2
	s_lshl_b64 s[0:1], s[2:3], 3
	s_add_u32 s30, s16, s0
	s_addc_u32 s31, s17, s1
	v_cmp_gt_u32_e32 vcc, s33, v0
	s_and_saveexec_b64 s[0:1], vcc
	s_cbranch_execz .LBB158_10
; %bb.9:
	global_load_dwordx2 v[3:4], v21, s[30:31]
.LBB158_10:
	s_or_b64 exec, exec, s[0:1]
	v_or_b32_e32 v19, 0x100, v0
	v_cmp_gt_u32_e64 s[0:1], s33, v19
	s_and_saveexec_b64 s[2:3], s[0:1]
	s_cbranch_execz .LBB158_12
; %bb.11:
	global_load_dwordx2 v[1:2], v21, s[30:31] offset:2048
.LBB158_12:
	s_or_b64 exec, exec, s[2:3]
	v_or_b32_e32 v19, 0x200, v0
	v_cmp_gt_u32_e64 s[2:3], s33, v19
	s_and_saveexec_b64 s[4:5], s[2:3]
	s_cbranch_execz .LBB158_14
; %bb.13:
	v_lshlrev_b32_e32 v7, 3, v19
	global_load_dwordx2 v[7:8], v7, s[30:31]
.LBB158_14:
	s_or_b64 exec, exec, s[4:5]
	v_or_b32_e32 v19, 0x300, v0
	v_cmp_gt_u32_e64 s[4:5], s33, v19
	s_and_saveexec_b64 s[6:7], s[4:5]
	s_cbranch_execz .LBB158_16
; %bb.15:
	v_lshlrev_b32_e32 v5, 3, v19
	global_load_dwordx2 v[5:6], v5, s[30:31]
.LBB158_16:
	s_or_b64 exec, exec, s[6:7]
	v_or_b32_e32 v19, 0x400, v0
	v_cmp_gt_u32_e64 s[6:7], s33, v19
	s_and_saveexec_b64 s[8:9], s[6:7]
	s_cbranch_execz .LBB158_18
; %bb.17:
	v_lshlrev_b32_e32 v9, 3, v19
	global_load_dwordx2 v[9:10], v9, s[30:31]
.LBB158_18:
	s_or_b64 exec, exec, s[8:9]
	v_or_b32_e32 v19, 0x500, v0
	v_cmp_gt_u32_e64 s[8:9], s33, v19
	s_and_saveexec_b64 s[10:11], s[8:9]
	s_cbranch_execz .LBB158_20
; %bb.19:
	v_lshlrev_b32_e32 v13, 3, v19
	global_load_dwordx2 v[13:14], v13, s[30:31]
.LBB158_20:
	s_or_b64 exec, exec, s[10:11]
	v_or_b32_e32 v19, 0x600, v0
	v_cmp_gt_u32_e64 s[10:11], s33, v19
	s_and_saveexec_b64 s[12:13], s[10:11]
	s_cbranch_execz .LBB158_22
; %bb.21:
	v_lshlrev_b32_e32 v17, 3, v19
	global_load_dwordx2 v[17:18], v17, s[30:31]
.LBB158_22:
	s_or_b64 exec, exec, s[12:13]
	v_or_b32_e32 v19, 0x700, v0
	v_cmp_gt_u32_e64 s[12:13], s33, v19
	s_and_saveexec_b64 s[34:35], s[12:13]
	s_cbranch_execz .LBB158_24
; %bb.23:
	v_lshlrev_b32_e32 v15, 3, v19
	global_load_dwordx2 v[15:16], v15, s[30:31]
.LBB158_24:
	s_or_b64 exec, exec, s[34:35]
	s_waitcnt vmcnt(0)
	v_add_f64 v[3:4], v[11:12], v[3:4]
	v_cndmask_b32_e32 v4, v12, v4, vcc
	v_cndmask_b32_e32 v3, v11, v3, vcc
	v_add_f64 v[1:2], v[1:2], v[3:4]
	v_cndmask_b32_e64 v2, v4, v2, s[0:1]
	v_cndmask_b32_e64 v1, v3, v1, s[0:1]
	v_add_f64 v[3:4], v[7:8], v[1:2]
	v_cndmask_b32_e64 v2, v2, v4, s[2:3]
	v_cndmask_b32_e64 v1, v1, v3, s[2:3]
	;; [unrolled: 3-line block ×7, first 2 shown]
	s_nop 0
	v_mov_b32_dpp v4, v2 quad_perm:[1,0,3,2] row_mask:0xf bank_mask:0xf bound_ctrl:1
	v_mov_b32_dpp v3, v1 quad_perm:[1,0,3,2] row_mask:0xf bank_mask:0xf bound_ctrl:1
	v_add_f64 v[1:2], v[1:2], v[3:4]
	s_nop 1
	v_mov_b32_dpp v3, v1 quad_perm:[2,3,0,1] row_mask:0xf bank_mask:0xf bound_ctrl:1
	v_mov_b32_dpp v4, v2 quad_perm:[2,3,0,1] row_mask:0xf bank_mask:0xf bound_ctrl:1
	v_add_f64 v[1:2], v[1:2], v[3:4]
	s_nop 1
	v_mov_b32_dpp v3, v1 row_ror:4 row_mask:0xf bank_mask:0xf bound_ctrl:1
	v_mov_b32_dpp v4, v2 row_ror:4 row_mask:0xf bank_mask:0xf bound_ctrl:1
	v_add_f64 v[1:2], v[1:2], v[3:4]
	s_nop 1
	v_mov_b32_dpp v3, v1 row_ror:8 row_mask:0xf bank_mask:0xf bound_ctrl:1
	v_mov_b32_dpp v4, v2 row_ror:8 row_mask:0xf bank_mask:0xf bound_ctrl:1
	v_add_f64 v[1:2], v[1:2], v[3:4]
	s_nop 1
	v_mov_b32_dpp v3, v1 row_bcast:15 row_mask:0xf bank_mask:0xf bound_ctrl:1
	v_mov_b32_dpp v4, v2 row_bcast:15 row_mask:0xf bank_mask:0xf bound_ctrl:1
	v_add_f64 v[1:2], v[1:2], v[3:4]
	s_nop 1
	v_mov_b32_dpp v3, v1 row_bcast:31 row_mask:0xf bank_mask:0xf bound_ctrl:1
	v_mov_b32_dpp v4, v2 row_bcast:31 row_mask:0xf bank_mask:0xf bound_ctrl:1
	v_add_f64 v[3:4], v[1:2], v[3:4]
	v_mbcnt_lo_u32_b32 v1, -1, 0
	v_mbcnt_hi_u32_b32 v2, -1, v1
	v_lshlrev_b32_e32 v1, 2, v2
	v_or_b32_e32 v5, 0xfc, v1
	v_cmp_eq_u32_e32 vcc, 0, v2
	ds_bpermute_b32 v3, v5, v3
	ds_bpermute_b32 v4, v5, v4
	s_and_saveexec_b64 s[0:1], vcc
	s_cbranch_execz .LBB158_26
; %bb.25:
	v_lshrrev_b32_e32 v5, 3, v0
	v_and_b32_e32 v5, 24, v5
	s_waitcnt lgkmcnt(0)
	ds_write_b64 v5, v[3:4]
.LBB158_26:
	s_or_b64 exec, exec, s[0:1]
	v_cmp_gt_u32_e32 vcc, 64, v0
	s_waitcnt lgkmcnt(0)
	s_barrier
	s_and_saveexec_b64 s[0:1], vcc
	s_cbranch_execz .LBB158_28
; %bb.27:
	v_and_b32_e32 v5, 3, v2
	v_lshlrev_b32_e32 v3, 3, v5
	ds_read_b64 v[3:4], v3
	v_cmp_ne_u32_e32 vcc, 3, v5
	v_addc_co_u32_e32 v2, vcc, 0, v2, vcc
	v_lshlrev_b32_e32 v2, 2, v2
	s_waitcnt lgkmcnt(0)
	ds_bpermute_b32 v5, v2, v3
	ds_bpermute_b32 v6, v2, v4
	v_or_b32_e32 v1, 8, v1
	s_waitcnt lgkmcnt(0)
	v_add_f64 v[2:3], v[3:4], v[5:6]
	ds_bpermute_b32 v4, v1, v2
	ds_bpermute_b32 v5, v1, v3
	s_waitcnt lgkmcnt(0)
	v_add_f64 v[3:4], v[2:3], v[4:5]
.LBB158_28:
	s_or_b64 exec, exec, s[0:1]
	s_branch .LBB158_60
.LBB158_29:
                                        ; implicit-def: $vgpr3_vgpr4
	s_cbranch_execz .LBB158_60
; %bb.30:
	s_sub_i32 s8, s26, s28
	v_cmp_gt_u32_e32 vcc, s8, v0
                                        ; implicit-def: $vgpr1_vgpr2
	s_and_saveexec_b64 s[2:3], vcc
	s_cbranch_execz .LBB158_36
; %bb.31:
	v_mov_b32_e32 v1, s29
	v_add_co_u32_e32 v8, vcc, s28, v0
	v_addc_co_u32_e32 v9, vcc, 0, v1, vcc
	v_lshlrev_b64 v[4:5], 3, v[8:9]
	v_mov_b32_e32 v1, s17
	v_add_co_u32_e64 v6, s[0:1], s16, v4
	v_addc_co_u32_e64 v7, vcc, v1, v5, s[0:1]
	global_load_dwordx2 v[1:2], v[6:7], off
	v_add_co_u32_e32 v3, vcc, 0x100, v8
	v_addc_co_u32_e32 v4, vcc, 0, v9, vcc
	v_cmp_gt_i64_e32 vcc, s[26:27], v[3:4]
	s_and_saveexec_b64 s[4:5], vcc
	s_cbranch_execz .LBB158_35
; %bb.32:
	v_mov_b32_e32 v7, s17
	v_addc_co_u32_e64 v7, vcc, v7, v5, s[0:1]
	v_add_co_u32_e32 v5, vcc, 0x800, v6
	v_addc_co_u32_e32 v6, vcc, 0, v7, vcc
	s_mov_b64 s[6:7], 0
.LBB158_33:                             ; =>This Inner Loop Header: Depth=1
	global_load_dwordx2 v[7:8], v[5:6], off
	v_add_co_u32_e32 v3, vcc, 0x100, v3
	v_addc_co_u32_e32 v4, vcc, 0, v4, vcc
	v_cmp_le_i64_e64 s[0:1], s[26:27], v[3:4]
	v_add_co_u32_e32 v5, vcc, 0x800, v5
	s_or_b64 s[6:7], s[0:1], s[6:7]
	v_addc_co_u32_e32 v6, vcc, 0, v6, vcc
	s_waitcnt vmcnt(0)
	v_add_f64 v[1:2], v[1:2], v[7:8]
	s_andn2_b64 exec, exec, s[6:7]
	s_cbranch_execnz .LBB158_33
; %bb.34:
	s_or_b64 exec, exec, s[6:7]
.LBB158_35:
	s_or_b64 exec, exec, s[4:5]
.LBB158_36:
	s_or_b64 exec, exec, s[2:3]
	s_cmpk_lt_u32 s8, 0x100
	v_mbcnt_lo_u32_b32 v7, -1, 0
	s_cbranch_scc0 .LBB158_54
; %bb.37:
	v_mbcnt_hi_u32_b32 v8, -1, v7
	v_and_b32_e32 v10, 63, v8
	v_cmp_ne_u32_e32 vcc, 63, v10
	v_addc_co_u32_e32 v4, vcc, 0, v8, vcc
	v_lshlrev_b32_e32 v4, 2, v4
	s_waitcnt vmcnt(0)
	ds_bpermute_b32 v5, v4, v1
	ds_bpermute_b32 v6, v4, v2
	v_and_b32_e32 v3, 0xc0, v0
	v_sub_u32_e64 v9, s8, v3 clamp
	v_add_u32_e32 v3, 1, v10
	v_cmp_lt_u32_e32 vcc, v3, v9
	v_mov_b32_e32 v4, v2
	v_mov_b32_e32 v3, v1
	;; [unrolled: 1-line block ×4, first 2 shown]
	s_and_saveexec_b64 s[0:1], vcc
	s_cbranch_execz .LBB158_39
; %bb.38:
	s_waitcnt lgkmcnt(0)
	v_add_f64 v[3:4], v[1:2], v[5:6]
	v_mov_b32_e32 v11, v4
	v_mov_b32_e32 v12, v3
.LBB158_39:
	s_or_b64 exec, exec, s[0:1]
	v_cmp_gt_u32_e32 vcc, 62, v10
	s_waitcnt lgkmcnt(1)
	v_cndmask_b32_e64 v5, 0, 2, vcc
	s_waitcnt lgkmcnt(0)
	v_add_lshl_u32 v6, v5, v8, 2
	ds_bpermute_b32 v5, v6, v12
	ds_bpermute_b32 v6, v6, v11
	v_add_u32_e32 v13, 2, v10
	v_cmp_lt_u32_e32 vcc, v13, v9
	s_and_saveexec_b64 s[0:1], vcc
	s_cbranch_execz .LBB158_41
; %bb.40:
	s_waitcnt lgkmcnt(0)
	v_add_f64 v[3:4], v[3:4], v[5:6]
	v_mov_b32_e32 v11, v4
	v_mov_b32_e32 v12, v3
.LBB158_41:
	s_or_b64 exec, exec, s[0:1]
	v_cmp_gt_u32_e32 vcc, 60, v10
	s_waitcnt lgkmcnt(1)
	v_cndmask_b32_e64 v5, 0, 4, vcc
	s_waitcnt lgkmcnt(0)
	v_add_lshl_u32 v6, v5, v8, 2
	ds_bpermute_b32 v5, v6, v12
	ds_bpermute_b32 v6, v6, v11
	v_add_u32_e32 v13, 4, v10
	v_cmp_lt_u32_e32 vcc, v13, v9
	s_and_saveexec_b64 s[0:1], vcc
	s_cbranch_execz .LBB158_43
; %bb.42:
	s_waitcnt lgkmcnt(0)
	v_add_f64 v[3:4], v[3:4], v[5:6]
	v_mov_b32_e32 v11, v4
	v_mov_b32_e32 v12, v3
.LBB158_43:
	s_or_b64 exec, exec, s[0:1]
	v_cmp_gt_u32_e32 vcc, 56, v10
	s_waitcnt lgkmcnt(1)
	v_cndmask_b32_e64 v5, 0, 8, vcc
	s_waitcnt lgkmcnt(0)
	v_add_lshl_u32 v6, v5, v8, 2
	ds_bpermute_b32 v5, v6, v12
	ds_bpermute_b32 v6, v6, v11
	v_add_u32_e32 v13, 8, v10
	v_cmp_lt_u32_e32 vcc, v13, v9
	s_and_saveexec_b64 s[0:1], vcc
	s_cbranch_execz .LBB158_45
; %bb.44:
	s_waitcnt lgkmcnt(0)
	v_add_f64 v[3:4], v[3:4], v[5:6]
	v_mov_b32_e32 v11, v4
	v_mov_b32_e32 v12, v3
.LBB158_45:
	s_or_b64 exec, exec, s[0:1]
	v_cmp_gt_u32_e32 vcc, 48, v10
	s_waitcnt lgkmcnt(1)
	v_cndmask_b32_e64 v5, 0, 16, vcc
	s_waitcnt lgkmcnt(0)
	v_add_lshl_u32 v6, v5, v8, 2
	ds_bpermute_b32 v5, v6, v12
	ds_bpermute_b32 v6, v6, v11
	v_add_u32_e32 v13, 16, v10
	v_cmp_lt_u32_e32 vcc, v13, v9
	s_and_saveexec_b64 s[0:1], vcc
	s_cbranch_execz .LBB158_47
; %bb.46:
	s_waitcnt lgkmcnt(0)
	v_add_f64 v[3:4], v[3:4], v[5:6]
	v_mov_b32_e32 v11, v4
	v_mov_b32_e32 v12, v3
.LBB158_47:
	s_or_b64 exec, exec, s[0:1]
	v_lshlrev_b32_e32 v13, 2, v8
	s_waitcnt lgkmcnt(0)
	v_or_b32_e32 v6, 0x80, v13
	ds_bpermute_b32 v5, v6, v12
	ds_bpermute_b32 v6, v6, v11
	v_add_u32_e32 v10, 32, v10
	v_cmp_lt_u32_e32 vcc, v10, v9
	s_waitcnt lgkmcnt(0)
	v_add_f64 v[5:6], v[3:4], v[5:6]
	v_cndmask_b32_e32 v4, v4, v6, vcc
	v_cndmask_b32_e32 v3, v3, v5, vcc
	v_cmp_eq_u32_e32 vcc, 0, v8
	s_and_saveexec_b64 s[0:1], vcc
; %bb.48:
	v_lshrrev_b32_e32 v5, 3, v0
	v_and_b32_e32 v5, 24, v5
	ds_write_b64 v5, v[3:4]
; %bb.49:
	s_or_b64 exec, exec, s[0:1]
	v_cmp_gt_u32_e32 vcc, 4, v0
	s_waitcnt lgkmcnt(0)
	s_barrier
	s_and_saveexec_b64 s[0:1], vcc
	s_cbranch_execz .LBB158_53
; %bb.50:
	v_lshlrev_b32_e32 v3, 3, v8
	ds_read_b64 v[3:4], v3
	v_and_b32_e32 v9, 3, v8
	v_cmp_ne_u32_e32 vcc, 3, v9
	v_addc_co_u32_e32 v5, vcc, 0, v8, vcc
	v_lshlrev_b32_e32 v6, 2, v5
	s_waitcnt lgkmcnt(0)
	ds_bpermute_b32 v5, v6, v3
	ds_bpermute_b32 v6, v6, v4
	s_add_i32 s8, s8, 63
	s_lshr_b32 s4, s8, 6
	v_add_u32_e32 v8, 1, v9
	v_cmp_gt_u32_e32 vcc, s4, v8
	s_and_saveexec_b64 s[2:3], vcc
	s_cbranch_execz .LBB158_52
; %bb.51:
	s_waitcnt lgkmcnt(0)
	v_add_f64 v[3:4], v[3:4], v[5:6]
.LBB158_52:
	s_or_b64 exec, exec, s[2:3]
	s_waitcnt lgkmcnt(0)
	v_or_b32_e32 v6, 8, v13
	ds_bpermute_b32 v5, v6, v3
	ds_bpermute_b32 v6, v6, v4
	v_add_u32_e32 v8, 2, v9
	v_cmp_gt_u32_e32 vcc, s4, v8
	s_waitcnt lgkmcnt(0)
	v_add_f64 v[5:6], v[3:4], v[5:6]
	v_cndmask_b32_e32 v4, v4, v6, vcc
	v_cndmask_b32_e32 v3, v3, v5, vcc
.LBB158_53:
	s_or_b64 exec, exec, s[0:1]
	s_branch .LBB158_60
.LBB158_54:
                                        ; implicit-def: $vgpr3_vgpr4
	s_cbranch_execz .LBB158_60
; %bb.55:
	s_waitcnt vmcnt(0)
	v_mov_b32_dpp v3, v1 quad_perm:[1,0,3,2] row_mask:0xf bank_mask:0xf bound_ctrl:1
	v_mov_b32_dpp v4, v2 quad_perm:[1,0,3,2] row_mask:0xf bank_mask:0xf bound_ctrl:1
	v_add_f64 v[1:2], v[1:2], v[3:4]
	s_nop 1
	v_mov_b32_dpp v3, v1 quad_perm:[2,3,0,1] row_mask:0xf bank_mask:0xf bound_ctrl:1
	v_mov_b32_dpp v4, v2 quad_perm:[2,3,0,1] row_mask:0xf bank_mask:0xf bound_ctrl:1
	v_add_f64 v[1:2], v[1:2], v[3:4]
	s_nop 1
	v_mov_b32_dpp v3, v1 row_ror:4 row_mask:0xf bank_mask:0xf bound_ctrl:1
	v_mov_b32_dpp v4, v2 row_ror:4 row_mask:0xf bank_mask:0xf bound_ctrl:1
	v_add_f64 v[1:2], v[1:2], v[3:4]
	s_nop 1
	v_mov_b32_dpp v3, v1 row_ror:8 row_mask:0xf bank_mask:0xf bound_ctrl:1
	v_mov_b32_dpp v4, v2 row_ror:8 row_mask:0xf bank_mask:0xf bound_ctrl:1
	v_add_f64 v[1:2], v[1:2], v[3:4]
	s_nop 1
	v_mov_b32_dpp v3, v1 row_bcast:15 row_mask:0xf bank_mask:0xf bound_ctrl:1
	v_mov_b32_dpp v4, v2 row_bcast:15 row_mask:0xf bank_mask:0xf bound_ctrl:1
	v_add_f64 v[1:2], v[1:2], v[3:4]
	s_nop 1
	v_mov_b32_dpp v3, v1 row_bcast:31 row_mask:0xf bank_mask:0xf bound_ctrl:1
	v_mov_b32_dpp v4, v2 row_bcast:31 row_mask:0xf bank_mask:0xf bound_ctrl:1
	v_add_f64 v[3:4], v[1:2], v[3:4]
	v_mbcnt_hi_u32_b32 v2, -1, v7
	v_lshlrev_b32_e32 v1, 2, v2
	v_or_b32_e32 v5, 0xfc, v1
	v_cmp_eq_u32_e32 vcc, 0, v2
	ds_bpermute_b32 v3, v5, v3
	ds_bpermute_b32 v4, v5, v4
	s_and_saveexec_b64 s[0:1], vcc
	s_cbranch_execz .LBB158_57
; %bb.56:
	v_lshrrev_b32_e32 v5, 3, v0
	v_and_b32_e32 v5, 24, v5
	s_waitcnt lgkmcnt(0)
	ds_write_b64 v5, v[3:4]
.LBB158_57:
	s_or_b64 exec, exec, s[0:1]
	v_cmp_gt_u32_e32 vcc, 64, v0
	s_waitcnt lgkmcnt(0)
	s_barrier
	s_and_saveexec_b64 s[0:1], vcc
	s_cbranch_execz .LBB158_59
; %bb.58:
	v_and_b32_e32 v5, 3, v2
	v_lshlrev_b32_e32 v3, 3, v5
	ds_read_b64 v[3:4], v3
	v_cmp_ne_u32_e32 vcc, 3, v5
	v_addc_co_u32_e32 v2, vcc, 0, v2, vcc
	v_lshlrev_b32_e32 v2, 2, v2
	s_waitcnt lgkmcnt(0)
	ds_bpermute_b32 v5, v2, v3
	ds_bpermute_b32 v6, v2, v4
	v_or_b32_e32 v1, 8, v1
	s_waitcnt lgkmcnt(0)
	v_add_f64 v[2:3], v[3:4], v[5:6]
	ds_bpermute_b32 v4, v1, v2
	ds_bpermute_b32 v5, v1, v3
	s_waitcnt lgkmcnt(0)
	v_add_f64 v[3:4], v[2:3], v[4:5]
.LBB158_59:
	s_or_b64 exec, exec, s[0:1]
.LBB158_60:
	v_cmp_eq_u32_e32 vcc, 0, v0
                                        ; implicit-def: $vgpr1_vgpr2
	s_and_saveexec_b64 s[0:1], vcc
	s_cbranch_execz .LBB158_62
; %bb.61:
	s_waitcnt vmcnt(0)
	v_add_f64 v[1:2], s[24:25], v[3:4]
	s_or_b64 s[22:23], s[22:23], exec
.LBB158_62:
	s_or_b64 exec, exec, s[0:1]
	s_and_saveexec_b64 s[0:1], s[22:23]
	s_cbranch_execz .LBB158_64
.LBB158_63:
	s_add_u32 s0, s18, s14
	s_addc_u32 s1, s19, s15
	s_add_u32 s0, s0, s20
	s_addc_u32 s1, s1, s21
	v_mov_b32_e32 v0, 0
	s_waitcnt vmcnt(0)
	global_store_dwordx2 v0, v[1:2], s[0:1]
.LBB158_64:
	s_endpgm
	.section	.rodata,"a",@progbits
	.p2align	6, 0x0
	.amdhsa_kernel _ZN7rocprim17ROCPRIM_400000_NS6detail17trampoline_kernelINS0_14default_configENS1_32segmented_reduce_config_selectorIdEEZNS1_21segmented_reduce_implIS3_PKdPdPKldN6hipcub16HIPCUB_304000_NS6detail27convert_result_type_wrapperIS8_S9_N2at6native12_GLOBAL__N_19CustomSumEEEEE10hipError_tPvRmT0_T1_jT2_SQ_T4_T3_P12ihipStream_tbEUlT_E_NS1_11comp_targetILNS1_3genE2ELNS1_11target_archE906ELNS1_3gpuE6ELNS1_3repE0EEENS1_30default_config_static_selectorELNS0_4arch9wavefront6targetE1EEEvSP_
		.amdhsa_group_segment_fixed_size 32
		.amdhsa_private_segment_fixed_size 0
		.amdhsa_kernarg_size 56
		.amdhsa_user_sgpr_count 6
		.amdhsa_user_sgpr_private_segment_buffer 1
		.amdhsa_user_sgpr_dispatch_ptr 0
		.amdhsa_user_sgpr_queue_ptr 0
		.amdhsa_user_sgpr_kernarg_segment_ptr 1
		.amdhsa_user_sgpr_dispatch_id 0
		.amdhsa_user_sgpr_flat_scratch_init 0
		.amdhsa_user_sgpr_private_segment_size 0
		.amdhsa_uses_dynamic_stack 0
		.amdhsa_system_sgpr_private_segment_wavefront_offset 0
		.amdhsa_system_sgpr_workgroup_id_x 1
		.amdhsa_system_sgpr_workgroup_id_y 0
		.amdhsa_system_sgpr_workgroup_id_z 0
		.amdhsa_system_sgpr_workgroup_info 0
		.amdhsa_system_vgpr_workitem_id 0
		.amdhsa_next_free_vgpr 24
		.amdhsa_next_free_sgpr 36
		.amdhsa_reserve_vcc 1
		.amdhsa_reserve_flat_scratch 0
		.amdhsa_float_round_mode_32 0
		.amdhsa_float_round_mode_16_64 0
		.amdhsa_float_denorm_mode_32 3
		.amdhsa_float_denorm_mode_16_64 3
		.amdhsa_dx10_clamp 1
		.amdhsa_ieee_mode 1
		.amdhsa_fp16_overflow 0
		.amdhsa_exception_fp_ieee_invalid_op 0
		.amdhsa_exception_fp_denorm_src 0
		.amdhsa_exception_fp_ieee_div_zero 0
		.amdhsa_exception_fp_ieee_overflow 0
		.amdhsa_exception_fp_ieee_underflow 0
		.amdhsa_exception_fp_ieee_inexact 0
		.amdhsa_exception_int_div_zero 0
	.end_amdhsa_kernel
	.section	.text._ZN7rocprim17ROCPRIM_400000_NS6detail17trampoline_kernelINS0_14default_configENS1_32segmented_reduce_config_selectorIdEEZNS1_21segmented_reduce_implIS3_PKdPdPKldN6hipcub16HIPCUB_304000_NS6detail27convert_result_type_wrapperIS8_S9_N2at6native12_GLOBAL__N_19CustomSumEEEEE10hipError_tPvRmT0_T1_jT2_SQ_T4_T3_P12ihipStream_tbEUlT_E_NS1_11comp_targetILNS1_3genE2ELNS1_11target_archE906ELNS1_3gpuE6ELNS1_3repE0EEENS1_30default_config_static_selectorELNS0_4arch9wavefront6targetE1EEEvSP_,"axG",@progbits,_ZN7rocprim17ROCPRIM_400000_NS6detail17trampoline_kernelINS0_14default_configENS1_32segmented_reduce_config_selectorIdEEZNS1_21segmented_reduce_implIS3_PKdPdPKldN6hipcub16HIPCUB_304000_NS6detail27convert_result_type_wrapperIS8_S9_N2at6native12_GLOBAL__N_19CustomSumEEEEE10hipError_tPvRmT0_T1_jT2_SQ_T4_T3_P12ihipStream_tbEUlT_E_NS1_11comp_targetILNS1_3genE2ELNS1_11target_archE906ELNS1_3gpuE6ELNS1_3repE0EEENS1_30default_config_static_selectorELNS0_4arch9wavefront6targetE1EEEvSP_,comdat
.Lfunc_end158:
	.size	_ZN7rocprim17ROCPRIM_400000_NS6detail17trampoline_kernelINS0_14default_configENS1_32segmented_reduce_config_selectorIdEEZNS1_21segmented_reduce_implIS3_PKdPdPKldN6hipcub16HIPCUB_304000_NS6detail27convert_result_type_wrapperIS8_S9_N2at6native12_GLOBAL__N_19CustomSumEEEEE10hipError_tPvRmT0_T1_jT2_SQ_T4_T3_P12ihipStream_tbEUlT_E_NS1_11comp_targetILNS1_3genE2ELNS1_11target_archE906ELNS1_3gpuE6ELNS1_3repE0EEENS1_30default_config_static_selectorELNS0_4arch9wavefront6targetE1EEEvSP_, .Lfunc_end158-_ZN7rocprim17ROCPRIM_400000_NS6detail17trampoline_kernelINS0_14default_configENS1_32segmented_reduce_config_selectorIdEEZNS1_21segmented_reduce_implIS3_PKdPdPKldN6hipcub16HIPCUB_304000_NS6detail27convert_result_type_wrapperIS8_S9_N2at6native12_GLOBAL__N_19CustomSumEEEEE10hipError_tPvRmT0_T1_jT2_SQ_T4_T3_P12ihipStream_tbEUlT_E_NS1_11comp_targetILNS1_3genE2ELNS1_11target_archE906ELNS1_3gpuE6ELNS1_3repE0EEENS1_30default_config_static_selectorELNS0_4arch9wavefront6targetE1EEEvSP_
                                        ; -- End function
	.set _ZN7rocprim17ROCPRIM_400000_NS6detail17trampoline_kernelINS0_14default_configENS1_32segmented_reduce_config_selectorIdEEZNS1_21segmented_reduce_implIS3_PKdPdPKldN6hipcub16HIPCUB_304000_NS6detail27convert_result_type_wrapperIS8_S9_N2at6native12_GLOBAL__N_19CustomSumEEEEE10hipError_tPvRmT0_T1_jT2_SQ_T4_T3_P12ihipStream_tbEUlT_E_NS1_11comp_targetILNS1_3genE2ELNS1_11target_archE906ELNS1_3gpuE6ELNS1_3repE0EEENS1_30default_config_static_selectorELNS0_4arch9wavefront6targetE1EEEvSP_.num_vgpr, 24
	.set _ZN7rocprim17ROCPRIM_400000_NS6detail17trampoline_kernelINS0_14default_configENS1_32segmented_reduce_config_selectorIdEEZNS1_21segmented_reduce_implIS3_PKdPdPKldN6hipcub16HIPCUB_304000_NS6detail27convert_result_type_wrapperIS8_S9_N2at6native12_GLOBAL__N_19CustomSumEEEEE10hipError_tPvRmT0_T1_jT2_SQ_T4_T3_P12ihipStream_tbEUlT_E_NS1_11comp_targetILNS1_3genE2ELNS1_11target_archE906ELNS1_3gpuE6ELNS1_3repE0EEENS1_30default_config_static_selectorELNS0_4arch9wavefront6targetE1EEEvSP_.num_agpr, 0
	.set _ZN7rocprim17ROCPRIM_400000_NS6detail17trampoline_kernelINS0_14default_configENS1_32segmented_reduce_config_selectorIdEEZNS1_21segmented_reduce_implIS3_PKdPdPKldN6hipcub16HIPCUB_304000_NS6detail27convert_result_type_wrapperIS8_S9_N2at6native12_GLOBAL__N_19CustomSumEEEEE10hipError_tPvRmT0_T1_jT2_SQ_T4_T3_P12ihipStream_tbEUlT_E_NS1_11comp_targetILNS1_3genE2ELNS1_11target_archE906ELNS1_3gpuE6ELNS1_3repE0EEENS1_30default_config_static_selectorELNS0_4arch9wavefront6targetE1EEEvSP_.numbered_sgpr, 36
	.set _ZN7rocprim17ROCPRIM_400000_NS6detail17trampoline_kernelINS0_14default_configENS1_32segmented_reduce_config_selectorIdEEZNS1_21segmented_reduce_implIS3_PKdPdPKldN6hipcub16HIPCUB_304000_NS6detail27convert_result_type_wrapperIS8_S9_N2at6native12_GLOBAL__N_19CustomSumEEEEE10hipError_tPvRmT0_T1_jT2_SQ_T4_T3_P12ihipStream_tbEUlT_E_NS1_11comp_targetILNS1_3genE2ELNS1_11target_archE906ELNS1_3gpuE6ELNS1_3repE0EEENS1_30default_config_static_selectorELNS0_4arch9wavefront6targetE1EEEvSP_.num_named_barrier, 0
	.set _ZN7rocprim17ROCPRIM_400000_NS6detail17trampoline_kernelINS0_14default_configENS1_32segmented_reduce_config_selectorIdEEZNS1_21segmented_reduce_implIS3_PKdPdPKldN6hipcub16HIPCUB_304000_NS6detail27convert_result_type_wrapperIS8_S9_N2at6native12_GLOBAL__N_19CustomSumEEEEE10hipError_tPvRmT0_T1_jT2_SQ_T4_T3_P12ihipStream_tbEUlT_E_NS1_11comp_targetILNS1_3genE2ELNS1_11target_archE906ELNS1_3gpuE6ELNS1_3repE0EEENS1_30default_config_static_selectorELNS0_4arch9wavefront6targetE1EEEvSP_.private_seg_size, 0
	.set _ZN7rocprim17ROCPRIM_400000_NS6detail17trampoline_kernelINS0_14default_configENS1_32segmented_reduce_config_selectorIdEEZNS1_21segmented_reduce_implIS3_PKdPdPKldN6hipcub16HIPCUB_304000_NS6detail27convert_result_type_wrapperIS8_S9_N2at6native12_GLOBAL__N_19CustomSumEEEEE10hipError_tPvRmT0_T1_jT2_SQ_T4_T3_P12ihipStream_tbEUlT_E_NS1_11comp_targetILNS1_3genE2ELNS1_11target_archE906ELNS1_3gpuE6ELNS1_3repE0EEENS1_30default_config_static_selectorELNS0_4arch9wavefront6targetE1EEEvSP_.uses_vcc, 1
	.set _ZN7rocprim17ROCPRIM_400000_NS6detail17trampoline_kernelINS0_14default_configENS1_32segmented_reduce_config_selectorIdEEZNS1_21segmented_reduce_implIS3_PKdPdPKldN6hipcub16HIPCUB_304000_NS6detail27convert_result_type_wrapperIS8_S9_N2at6native12_GLOBAL__N_19CustomSumEEEEE10hipError_tPvRmT0_T1_jT2_SQ_T4_T3_P12ihipStream_tbEUlT_E_NS1_11comp_targetILNS1_3genE2ELNS1_11target_archE906ELNS1_3gpuE6ELNS1_3repE0EEENS1_30default_config_static_selectorELNS0_4arch9wavefront6targetE1EEEvSP_.uses_flat_scratch, 0
	.set _ZN7rocprim17ROCPRIM_400000_NS6detail17trampoline_kernelINS0_14default_configENS1_32segmented_reduce_config_selectorIdEEZNS1_21segmented_reduce_implIS3_PKdPdPKldN6hipcub16HIPCUB_304000_NS6detail27convert_result_type_wrapperIS8_S9_N2at6native12_GLOBAL__N_19CustomSumEEEEE10hipError_tPvRmT0_T1_jT2_SQ_T4_T3_P12ihipStream_tbEUlT_E_NS1_11comp_targetILNS1_3genE2ELNS1_11target_archE906ELNS1_3gpuE6ELNS1_3repE0EEENS1_30default_config_static_selectorELNS0_4arch9wavefront6targetE1EEEvSP_.has_dyn_sized_stack, 0
	.set _ZN7rocprim17ROCPRIM_400000_NS6detail17trampoline_kernelINS0_14default_configENS1_32segmented_reduce_config_selectorIdEEZNS1_21segmented_reduce_implIS3_PKdPdPKldN6hipcub16HIPCUB_304000_NS6detail27convert_result_type_wrapperIS8_S9_N2at6native12_GLOBAL__N_19CustomSumEEEEE10hipError_tPvRmT0_T1_jT2_SQ_T4_T3_P12ihipStream_tbEUlT_E_NS1_11comp_targetILNS1_3genE2ELNS1_11target_archE906ELNS1_3gpuE6ELNS1_3repE0EEENS1_30default_config_static_selectorELNS0_4arch9wavefront6targetE1EEEvSP_.has_recursion, 0
	.set _ZN7rocprim17ROCPRIM_400000_NS6detail17trampoline_kernelINS0_14default_configENS1_32segmented_reduce_config_selectorIdEEZNS1_21segmented_reduce_implIS3_PKdPdPKldN6hipcub16HIPCUB_304000_NS6detail27convert_result_type_wrapperIS8_S9_N2at6native12_GLOBAL__N_19CustomSumEEEEE10hipError_tPvRmT0_T1_jT2_SQ_T4_T3_P12ihipStream_tbEUlT_E_NS1_11comp_targetILNS1_3genE2ELNS1_11target_archE906ELNS1_3gpuE6ELNS1_3repE0EEENS1_30default_config_static_selectorELNS0_4arch9wavefront6targetE1EEEvSP_.has_indirect_call, 0
	.section	.AMDGPU.csdata,"",@progbits
; Kernel info:
; codeLenInByte = 2940
; TotalNumSgprs: 40
; NumVgprs: 24
; ScratchSize: 0
; MemoryBound: 1
; FloatMode: 240
; IeeeMode: 1
; LDSByteSize: 32 bytes/workgroup (compile time only)
; SGPRBlocks: 4
; VGPRBlocks: 5
; NumSGPRsForWavesPerEU: 40
; NumVGPRsForWavesPerEU: 24
; Occupancy: 10
; WaveLimiterHint : 1
; COMPUTE_PGM_RSRC2:SCRATCH_EN: 0
; COMPUTE_PGM_RSRC2:USER_SGPR: 6
; COMPUTE_PGM_RSRC2:TRAP_HANDLER: 0
; COMPUTE_PGM_RSRC2:TGID_X_EN: 1
; COMPUTE_PGM_RSRC2:TGID_Y_EN: 0
; COMPUTE_PGM_RSRC2:TGID_Z_EN: 0
; COMPUTE_PGM_RSRC2:TIDIG_COMP_CNT: 0
	.section	.text._ZN7rocprim17ROCPRIM_400000_NS6detail17trampoline_kernelINS0_14default_configENS1_32segmented_reduce_config_selectorIdEEZNS1_21segmented_reduce_implIS3_PKdPdPKldN6hipcub16HIPCUB_304000_NS6detail27convert_result_type_wrapperIS8_S9_N2at6native12_GLOBAL__N_19CustomSumEEEEE10hipError_tPvRmT0_T1_jT2_SQ_T4_T3_P12ihipStream_tbEUlT_E_NS1_11comp_targetILNS1_3genE9ELNS1_11target_archE1100ELNS1_3gpuE3ELNS1_3repE0EEENS1_30default_config_static_selectorELNS0_4arch9wavefront6targetE1EEEvSP_,"axG",@progbits,_ZN7rocprim17ROCPRIM_400000_NS6detail17trampoline_kernelINS0_14default_configENS1_32segmented_reduce_config_selectorIdEEZNS1_21segmented_reduce_implIS3_PKdPdPKldN6hipcub16HIPCUB_304000_NS6detail27convert_result_type_wrapperIS8_S9_N2at6native12_GLOBAL__N_19CustomSumEEEEE10hipError_tPvRmT0_T1_jT2_SQ_T4_T3_P12ihipStream_tbEUlT_E_NS1_11comp_targetILNS1_3genE9ELNS1_11target_archE1100ELNS1_3gpuE3ELNS1_3repE0EEENS1_30default_config_static_selectorELNS0_4arch9wavefront6targetE1EEEvSP_,comdat
	.globl	_ZN7rocprim17ROCPRIM_400000_NS6detail17trampoline_kernelINS0_14default_configENS1_32segmented_reduce_config_selectorIdEEZNS1_21segmented_reduce_implIS3_PKdPdPKldN6hipcub16HIPCUB_304000_NS6detail27convert_result_type_wrapperIS8_S9_N2at6native12_GLOBAL__N_19CustomSumEEEEE10hipError_tPvRmT0_T1_jT2_SQ_T4_T3_P12ihipStream_tbEUlT_E_NS1_11comp_targetILNS1_3genE9ELNS1_11target_archE1100ELNS1_3gpuE3ELNS1_3repE0EEENS1_30default_config_static_selectorELNS0_4arch9wavefront6targetE1EEEvSP_ ; -- Begin function _ZN7rocprim17ROCPRIM_400000_NS6detail17trampoline_kernelINS0_14default_configENS1_32segmented_reduce_config_selectorIdEEZNS1_21segmented_reduce_implIS3_PKdPdPKldN6hipcub16HIPCUB_304000_NS6detail27convert_result_type_wrapperIS8_S9_N2at6native12_GLOBAL__N_19CustomSumEEEEE10hipError_tPvRmT0_T1_jT2_SQ_T4_T3_P12ihipStream_tbEUlT_E_NS1_11comp_targetILNS1_3genE9ELNS1_11target_archE1100ELNS1_3gpuE3ELNS1_3repE0EEENS1_30default_config_static_selectorELNS0_4arch9wavefront6targetE1EEEvSP_
	.p2align	8
	.type	_ZN7rocprim17ROCPRIM_400000_NS6detail17trampoline_kernelINS0_14default_configENS1_32segmented_reduce_config_selectorIdEEZNS1_21segmented_reduce_implIS3_PKdPdPKldN6hipcub16HIPCUB_304000_NS6detail27convert_result_type_wrapperIS8_S9_N2at6native12_GLOBAL__N_19CustomSumEEEEE10hipError_tPvRmT0_T1_jT2_SQ_T4_T3_P12ihipStream_tbEUlT_E_NS1_11comp_targetILNS1_3genE9ELNS1_11target_archE1100ELNS1_3gpuE3ELNS1_3repE0EEENS1_30default_config_static_selectorELNS0_4arch9wavefront6targetE1EEEvSP_,@function
_ZN7rocprim17ROCPRIM_400000_NS6detail17trampoline_kernelINS0_14default_configENS1_32segmented_reduce_config_selectorIdEEZNS1_21segmented_reduce_implIS3_PKdPdPKldN6hipcub16HIPCUB_304000_NS6detail27convert_result_type_wrapperIS8_S9_N2at6native12_GLOBAL__N_19CustomSumEEEEE10hipError_tPvRmT0_T1_jT2_SQ_T4_T3_P12ihipStream_tbEUlT_E_NS1_11comp_targetILNS1_3genE9ELNS1_11target_archE1100ELNS1_3gpuE3ELNS1_3repE0EEENS1_30default_config_static_selectorELNS0_4arch9wavefront6targetE1EEEvSP_: ; @_ZN7rocprim17ROCPRIM_400000_NS6detail17trampoline_kernelINS0_14default_configENS1_32segmented_reduce_config_selectorIdEEZNS1_21segmented_reduce_implIS3_PKdPdPKldN6hipcub16HIPCUB_304000_NS6detail27convert_result_type_wrapperIS8_S9_N2at6native12_GLOBAL__N_19CustomSumEEEEE10hipError_tPvRmT0_T1_jT2_SQ_T4_T3_P12ihipStream_tbEUlT_E_NS1_11comp_targetILNS1_3genE9ELNS1_11target_archE1100ELNS1_3gpuE3ELNS1_3repE0EEENS1_30default_config_static_selectorELNS0_4arch9wavefront6targetE1EEEvSP_
; %bb.0:
	.section	.rodata,"a",@progbits
	.p2align	6, 0x0
	.amdhsa_kernel _ZN7rocprim17ROCPRIM_400000_NS6detail17trampoline_kernelINS0_14default_configENS1_32segmented_reduce_config_selectorIdEEZNS1_21segmented_reduce_implIS3_PKdPdPKldN6hipcub16HIPCUB_304000_NS6detail27convert_result_type_wrapperIS8_S9_N2at6native12_GLOBAL__N_19CustomSumEEEEE10hipError_tPvRmT0_T1_jT2_SQ_T4_T3_P12ihipStream_tbEUlT_E_NS1_11comp_targetILNS1_3genE9ELNS1_11target_archE1100ELNS1_3gpuE3ELNS1_3repE0EEENS1_30default_config_static_selectorELNS0_4arch9wavefront6targetE1EEEvSP_
		.amdhsa_group_segment_fixed_size 0
		.amdhsa_private_segment_fixed_size 0
		.amdhsa_kernarg_size 56
		.amdhsa_user_sgpr_count 6
		.amdhsa_user_sgpr_private_segment_buffer 1
		.amdhsa_user_sgpr_dispatch_ptr 0
		.amdhsa_user_sgpr_queue_ptr 0
		.amdhsa_user_sgpr_kernarg_segment_ptr 1
		.amdhsa_user_sgpr_dispatch_id 0
		.amdhsa_user_sgpr_flat_scratch_init 0
		.amdhsa_user_sgpr_private_segment_size 0
		.amdhsa_uses_dynamic_stack 0
		.amdhsa_system_sgpr_private_segment_wavefront_offset 0
		.amdhsa_system_sgpr_workgroup_id_x 1
		.amdhsa_system_sgpr_workgroup_id_y 0
		.amdhsa_system_sgpr_workgroup_id_z 0
		.amdhsa_system_sgpr_workgroup_info 0
		.amdhsa_system_vgpr_workitem_id 0
		.amdhsa_next_free_vgpr 1
		.amdhsa_next_free_sgpr 0
		.amdhsa_reserve_vcc 0
		.amdhsa_reserve_flat_scratch 0
		.amdhsa_float_round_mode_32 0
		.amdhsa_float_round_mode_16_64 0
		.amdhsa_float_denorm_mode_32 3
		.amdhsa_float_denorm_mode_16_64 3
		.amdhsa_dx10_clamp 1
		.amdhsa_ieee_mode 1
		.amdhsa_fp16_overflow 0
		.amdhsa_exception_fp_ieee_invalid_op 0
		.amdhsa_exception_fp_denorm_src 0
		.amdhsa_exception_fp_ieee_div_zero 0
		.amdhsa_exception_fp_ieee_overflow 0
		.amdhsa_exception_fp_ieee_underflow 0
		.amdhsa_exception_fp_ieee_inexact 0
		.amdhsa_exception_int_div_zero 0
	.end_amdhsa_kernel
	.section	.text._ZN7rocprim17ROCPRIM_400000_NS6detail17trampoline_kernelINS0_14default_configENS1_32segmented_reduce_config_selectorIdEEZNS1_21segmented_reduce_implIS3_PKdPdPKldN6hipcub16HIPCUB_304000_NS6detail27convert_result_type_wrapperIS8_S9_N2at6native12_GLOBAL__N_19CustomSumEEEEE10hipError_tPvRmT0_T1_jT2_SQ_T4_T3_P12ihipStream_tbEUlT_E_NS1_11comp_targetILNS1_3genE9ELNS1_11target_archE1100ELNS1_3gpuE3ELNS1_3repE0EEENS1_30default_config_static_selectorELNS0_4arch9wavefront6targetE1EEEvSP_,"axG",@progbits,_ZN7rocprim17ROCPRIM_400000_NS6detail17trampoline_kernelINS0_14default_configENS1_32segmented_reduce_config_selectorIdEEZNS1_21segmented_reduce_implIS3_PKdPdPKldN6hipcub16HIPCUB_304000_NS6detail27convert_result_type_wrapperIS8_S9_N2at6native12_GLOBAL__N_19CustomSumEEEEE10hipError_tPvRmT0_T1_jT2_SQ_T4_T3_P12ihipStream_tbEUlT_E_NS1_11comp_targetILNS1_3genE9ELNS1_11target_archE1100ELNS1_3gpuE3ELNS1_3repE0EEENS1_30default_config_static_selectorELNS0_4arch9wavefront6targetE1EEEvSP_,comdat
.Lfunc_end159:
	.size	_ZN7rocprim17ROCPRIM_400000_NS6detail17trampoline_kernelINS0_14default_configENS1_32segmented_reduce_config_selectorIdEEZNS1_21segmented_reduce_implIS3_PKdPdPKldN6hipcub16HIPCUB_304000_NS6detail27convert_result_type_wrapperIS8_S9_N2at6native12_GLOBAL__N_19CustomSumEEEEE10hipError_tPvRmT0_T1_jT2_SQ_T4_T3_P12ihipStream_tbEUlT_E_NS1_11comp_targetILNS1_3genE9ELNS1_11target_archE1100ELNS1_3gpuE3ELNS1_3repE0EEENS1_30default_config_static_selectorELNS0_4arch9wavefront6targetE1EEEvSP_, .Lfunc_end159-_ZN7rocprim17ROCPRIM_400000_NS6detail17trampoline_kernelINS0_14default_configENS1_32segmented_reduce_config_selectorIdEEZNS1_21segmented_reduce_implIS3_PKdPdPKldN6hipcub16HIPCUB_304000_NS6detail27convert_result_type_wrapperIS8_S9_N2at6native12_GLOBAL__N_19CustomSumEEEEE10hipError_tPvRmT0_T1_jT2_SQ_T4_T3_P12ihipStream_tbEUlT_E_NS1_11comp_targetILNS1_3genE9ELNS1_11target_archE1100ELNS1_3gpuE3ELNS1_3repE0EEENS1_30default_config_static_selectorELNS0_4arch9wavefront6targetE1EEEvSP_
                                        ; -- End function
	.set _ZN7rocprim17ROCPRIM_400000_NS6detail17trampoline_kernelINS0_14default_configENS1_32segmented_reduce_config_selectorIdEEZNS1_21segmented_reduce_implIS3_PKdPdPKldN6hipcub16HIPCUB_304000_NS6detail27convert_result_type_wrapperIS8_S9_N2at6native12_GLOBAL__N_19CustomSumEEEEE10hipError_tPvRmT0_T1_jT2_SQ_T4_T3_P12ihipStream_tbEUlT_E_NS1_11comp_targetILNS1_3genE9ELNS1_11target_archE1100ELNS1_3gpuE3ELNS1_3repE0EEENS1_30default_config_static_selectorELNS0_4arch9wavefront6targetE1EEEvSP_.num_vgpr, 0
	.set _ZN7rocprim17ROCPRIM_400000_NS6detail17trampoline_kernelINS0_14default_configENS1_32segmented_reduce_config_selectorIdEEZNS1_21segmented_reduce_implIS3_PKdPdPKldN6hipcub16HIPCUB_304000_NS6detail27convert_result_type_wrapperIS8_S9_N2at6native12_GLOBAL__N_19CustomSumEEEEE10hipError_tPvRmT0_T1_jT2_SQ_T4_T3_P12ihipStream_tbEUlT_E_NS1_11comp_targetILNS1_3genE9ELNS1_11target_archE1100ELNS1_3gpuE3ELNS1_3repE0EEENS1_30default_config_static_selectorELNS0_4arch9wavefront6targetE1EEEvSP_.num_agpr, 0
	.set _ZN7rocprim17ROCPRIM_400000_NS6detail17trampoline_kernelINS0_14default_configENS1_32segmented_reduce_config_selectorIdEEZNS1_21segmented_reduce_implIS3_PKdPdPKldN6hipcub16HIPCUB_304000_NS6detail27convert_result_type_wrapperIS8_S9_N2at6native12_GLOBAL__N_19CustomSumEEEEE10hipError_tPvRmT0_T1_jT2_SQ_T4_T3_P12ihipStream_tbEUlT_E_NS1_11comp_targetILNS1_3genE9ELNS1_11target_archE1100ELNS1_3gpuE3ELNS1_3repE0EEENS1_30default_config_static_selectorELNS0_4arch9wavefront6targetE1EEEvSP_.numbered_sgpr, 0
	.set _ZN7rocprim17ROCPRIM_400000_NS6detail17trampoline_kernelINS0_14default_configENS1_32segmented_reduce_config_selectorIdEEZNS1_21segmented_reduce_implIS3_PKdPdPKldN6hipcub16HIPCUB_304000_NS6detail27convert_result_type_wrapperIS8_S9_N2at6native12_GLOBAL__N_19CustomSumEEEEE10hipError_tPvRmT0_T1_jT2_SQ_T4_T3_P12ihipStream_tbEUlT_E_NS1_11comp_targetILNS1_3genE9ELNS1_11target_archE1100ELNS1_3gpuE3ELNS1_3repE0EEENS1_30default_config_static_selectorELNS0_4arch9wavefront6targetE1EEEvSP_.num_named_barrier, 0
	.set _ZN7rocprim17ROCPRIM_400000_NS6detail17trampoline_kernelINS0_14default_configENS1_32segmented_reduce_config_selectorIdEEZNS1_21segmented_reduce_implIS3_PKdPdPKldN6hipcub16HIPCUB_304000_NS6detail27convert_result_type_wrapperIS8_S9_N2at6native12_GLOBAL__N_19CustomSumEEEEE10hipError_tPvRmT0_T1_jT2_SQ_T4_T3_P12ihipStream_tbEUlT_E_NS1_11comp_targetILNS1_3genE9ELNS1_11target_archE1100ELNS1_3gpuE3ELNS1_3repE0EEENS1_30default_config_static_selectorELNS0_4arch9wavefront6targetE1EEEvSP_.private_seg_size, 0
	.set _ZN7rocprim17ROCPRIM_400000_NS6detail17trampoline_kernelINS0_14default_configENS1_32segmented_reduce_config_selectorIdEEZNS1_21segmented_reduce_implIS3_PKdPdPKldN6hipcub16HIPCUB_304000_NS6detail27convert_result_type_wrapperIS8_S9_N2at6native12_GLOBAL__N_19CustomSumEEEEE10hipError_tPvRmT0_T1_jT2_SQ_T4_T3_P12ihipStream_tbEUlT_E_NS1_11comp_targetILNS1_3genE9ELNS1_11target_archE1100ELNS1_3gpuE3ELNS1_3repE0EEENS1_30default_config_static_selectorELNS0_4arch9wavefront6targetE1EEEvSP_.uses_vcc, 0
	.set _ZN7rocprim17ROCPRIM_400000_NS6detail17trampoline_kernelINS0_14default_configENS1_32segmented_reduce_config_selectorIdEEZNS1_21segmented_reduce_implIS3_PKdPdPKldN6hipcub16HIPCUB_304000_NS6detail27convert_result_type_wrapperIS8_S9_N2at6native12_GLOBAL__N_19CustomSumEEEEE10hipError_tPvRmT0_T1_jT2_SQ_T4_T3_P12ihipStream_tbEUlT_E_NS1_11comp_targetILNS1_3genE9ELNS1_11target_archE1100ELNS1_3gpuE3ELNS1_3repE0EEENS1_30default_config_static_selectorELNS0_4arch9wavefront6targetE1EEEvSP_.uses_flat_scratch, 0
	.set _ZN7rocprim17ROCPRIM_400000_NS6detail17trampoline_kernelINS0_14default_configENS1_32segmented_reduce_config_selectorIdEEZNS1_21segmented_reduce_implIS3_PKdPdPKldN6hipcub16HIPCUB_304000_NS6detail27convert_result_type_wrapperIS8_S9_N2at6native12_GLOBAL__N_19CustomSumEEEEE10hipError_tPvRmT0_T1_jT2_SQ_T4_T3_P12ihipStream_tbEUlT_E_NS1_11comp_targetILNS1_3genE9ELNS1_11target_archE1100ELNS1_3gpuE3ELNS1_3repE0EEENS1_30default_config_static_selectorELNS0_4arch9wavefront6targetE1EEEvSP_.has_dyn_sized_stack, 0
	.set _ZN7rocprim17ROCPRIM_400000_NS6detail17trampoline_kernelINS0_14default_configENS1_32segmented_reduce_config_selectorIdEEZNS1_21segmented_reduce_implIS3_PKdPdPKldN6hipcub16HIPCUB_304000_NS6detail27convert_result_type_wrapperIS8_S9_N2at6native12_GLOBAL__N_19CustomSumEEEEE10hipError_tPvRmT0_T1_jT2_SQ_T4_T3_P12ihipStream_tbEUlT_E_NS1_11comp_targetILNS1_3genE9ELNS1_11target_archE1100ELNS1_3gpuE3ELNS1_3repE0EEENS1_30default_config_static_selectorELNS0_4arch9wavefront6targetE1EEEvSP_.has_recursion, 0
	.set _ZN7rocprim17ROCPRIM_400000_NS6detail17trampoline_kernelINS0_14default_configENS1_32segmented_reduce_config_selectorIdEEZNS1_21segmented_reduce_implIS3_PKdPdPKldN6hipcub16HIPCUB_304000_NS6detail27convert_result_type_wrapperIS8_S9_N2at6native12_GLOBAL__N_19CustomSumEEEEE10hipError_tPvRmT0_T1_jT2_SQ_T4_T3_P12ihipStream_tbEUlT_E_NS1_11comp_targetILNS1_3genE9ELNS1_11target_archE1100ELNS1_3gpuE3ELNS1_3repE0EEENS1_30default_config_static_selectorELNS0_4arch9wavefront6targetE1EEEvSP_.has_indirect_call, 0
	.section	.AMDGPU.csdata,"",@progbits
; Kernel info:
; codeLenInByte = 0
; TotalNumSgprs: 4
; NumVgprs: 0
; ScratchSize: 0
; MemoryBound: 0
; FloatMode: 240
; IeeeMode: 1
; LDSByteSize: 0 bytes/workgroup (compile time only)
; SGPRBlocks: 0
; VGPRBlocks: 0
; NumSGPRsForWavesPerEU: 4
; NumVGPRsForWavesPerEU: 1
; Occupancy: 10
; WaveLimiterHint : 0
; COMPUTE_PGM_RSRC2:SCRATCH_EN: 0
; COMPUTE_PGM_RSRC2:USER_SGPR: 6
; COMPUTE_PGM_RSRC2:TRAP_HANDLER: 0
; COMPUTE_PGM_RSRC2:TGID_X_EN: 1
; COMPUTE_PGM_RSRC2:TGID_Y_EN: 0
; COMPUTE_PGM_RSRC2:TGID_Z_EN: 0
; COMPUTE_PGM_RSRC2:TIDIG_COMP_CNT: 0
	.section	.text._ZN7rocprim17ROCPRIM_400000_NS6detail17trampoline_kernelINS0_14default_configENS1_32segmented_reduce_config_selectorIdEEZNS1_21segmented_reduce_implIS3_PKdPdPKldN6hipcub16HIPCUB_304000_NS6detail27convert_result_type_wrapperIS8_S9_N2at6native12_GLOBAL__N_19CustomSumEEEEE10hipError_tPvRmT0_T1_jT2_SQ_T4_T3_P12ihipStream_tbEUlT_E_NS1_11comp_targetILNS1_3genE8ELNS1_11target_archE1030ELNS1_3gpuE2ELNS1_3repE0EEENS1_30default_config_static_selectorELNS0_4arch9wavefront6targetE1EEEvSP_,"axG",@progbits,_ZN7rocprim17ROCPRIM_400000_NS6detail17trampoline_kernelINS0_14default_configENS1_32segmented_reduce_config_selectorIdEEZNS1_21segmented_reduce_implIS3_PKdPdPKldN6hipcub16HIPCUB_304000_NS6detail27convert_result_type_wrapperIS8_S9_N2at6native12_GLOBAL__N_19CustomSumEEEEE10hipError_tPvRmT0_T1_jT2_SQ_T4_T3_P12ihipStream_tbEUlT_E_NS1_11comp_targetILNS1_3genE8ELNS1_11target_archE1030ELNS1_3gpuE2ELNS1_3repE0EEENS1_30default_config_static_selectorELNS0_4arch9wavefront6targetE1EEEvSP_,comdat
	.globl	_ZN7rocprim17ROCPRIM_400000_NS6detail17trampoline_kernelINS0_14default_configENS1_32segmented_reduce_config_selectorIdEEZNS1_21segmented_reduce_implIS3_PKdPdPKldN6hipcub16HIPCUB_304000_NS6detail27convert_result_type_wrapperIS8_S9_N2at6native12_GLOBAL__N_19CustomSumEEEEE10hipError_tPvRmT0_T1_jT2_SQ_T4_T3_P12ihipStream_tbEUlT_E_NS1_11comp_targetILNS1_3genE8ELNS1_11target_archE1030ELNS1_3gpuE2ELNS1_3repE0EEENS1_30default_config_static_selectorELNS0_4arch9wavefront6targetE1EEEvSP_ ; -- Begin function _ZN7rocprim17ROCPRIM_400000_NS6detail17trampoline_kernelINS0_14default_configENS1_32segmented_reduce_config_selectorIdEEZNS1_21segmented_reduce_implIS3_PKdPdPKldN6hipcub16HIPCUB_304000_NS6detail27convert_result_type_wrapperIS8_S9_N2at6native12_GLOBAL__N_19CustomSumEEEEE10hipError_tPvRmT0_T1_jT2_SQ_T4_T3_P12ihipStream_tbEUlT_E_NS1_11comp_targetILNS1_3genE8ELNS1_11target_archE1030ELNS1_3gpuE2ELNS1_3repE0EEENS1_30default_config_static_selectorELNS0_4arch9wavefront6targetE1EEEvSP_
	.p2align	8
	.type	_ZN7rocprim17ROCPRIM_400000_NS6detail17trampoline_kernelINS0_14default_configENS1_32segmented_reduce_config_selectorIdEEZNS1_21segmented_reduce_implIS3_PKdPdPKldN6hipcub16HIPCUB_304000_NS6detail27convert_result_type_wrapperIS8_S9_N2at6native12_GLOBAL__N_19CustomSumEEEEE10hipError_tPvRmT0_T1_jT2_SQ_T4_T3_P12ihipStream_tbEUlT_E_NS1_11comp_targetILNS1_3genE8ELNS1_11target_archE1030ELNS1_3gpuE2ELNS1_3repE0EEENS1_30default_config_static_selectorELNS0_4arch9wavefront6targetE1EEEvSP_,@function
_ZN7rocprim17ROCPRIM_400000_NS6detail17trampoline_kernelINS0_14default_configENS1_32segmented_reduce_config_selectorIdEEZNS1_21segmented_reduce_implIS3_PKdPdPKldN6hipcub16HIPCUB_304000_NS6detail27convert_result_type_wrapperIS8_S9_N2at6native12_GLOBAL__N_19CustomSumEEEEE10hipError_tPvRmT0_T1_jT2_SQ_T4_T3_P12ihipStream_tbEUlT_E_NS1_11comp_targetILNS1_3genE8ELNS1_11target_archE1030ELNS1_3gpuE2ELNS1_3repE0EEENS1_30default_config_static_selectorELNS0_4arch9wavefront6targetE1EEEvSP_: ; @_ZN7rocprim17ROCPRIM_400000_NS6detail17trampoline_kernelINS0_14default_configENS1_32segmented_reduce_config_selectorIdEEZNS1_21segmented_reduce_implIS3_PKdPdPKldN6hipcub16HIPCUB_304000_NS6detail27convert_result_type_wrapperIS8_S9_N2at6native12_GLOBAL__N_19CustomSumEEEEE10hipError_tPvRmT0_T1_jT2_SQ_T4_T3_P12ihipStream_tbEUlT_E_NS1_11comp_targetILNS1_3genE8ELNS1_11target_archE1030ELNS1_3gpuE2ELNS1_3repE0EEENS1_30default_config_static_selectorELNS0_4arch9wavefront6targetE1EEEvSP_
; %bb.0:
	.section	.rodata,"a",@progbits
	.p2align	6, 0x0
	.amdhsa_kernel _ZN7rocprim17ROCPRIM_400000_NS6detail17trampoline_kernelINS0_14default_configENS1_32segmented_reduce_config_selectorIdEEZNS1_21segmented_reduce_implIS3_PKdPdPKldN6hipcub16HIPCUB_304000_NS6detail27convert_result_type_wrapperIS8_S9_N2at6native12_GLOBAL__N_19CustomSumEEEEE10hipError_tPvRmT0_T1_jT2_SQ_T4_T3_P12ihipStream_tbEUlT_E_NS1_11comp_targetILNS1_3genE8ELNS1_11target_archE1030ELNS1_3gpuE2ELNS1_3repE0EEENS1_30default_config_static_selectorELNS0_4arch9wavefront6targetE1EEEvSP_
		.amdhsa_group_segment_fixed_size 0
		.amdhsa_private_segment_fixed_size 0
		.amdhsa_kernarg_size 56
		.amdhsa_user_sgpr_count 6
		.amdhsa_user_sgpr_private_segment_buffer 1
		.amdhsa_user_sgpr_dispatch_ptr 0
		.amdhsa_user_sgpr_queue_ptr 0
		.amdhsa_user_sgpr_kernarg_segment_ptr 1
		.amdhsa_user_sgpr_dispatch_id 0
		.amdhsa_user_sgpr_flat_scratch_init 0
		.amdhsa_user_sgpr_private_segment_size 0
		.amdhsa_uses_dynamic_stack 0
		.amdhsa_system_sgpr_private_segment_wavefront_offset 0
		.amdhsa_system_sgpr_workgroup_id_x 1
		.amdhsa_system_sgpr_workgroup_id_y 0
		.amdhsa_system_sgpr_workgroup_id_z 0
		.amdhsa_system_sgpr_workgroup_info 0
		.amdhsa_system_vgpr_workitem_id 0
		.amdhsa_next_free_vgpr 1
		.amdhsa_next_free_sgpr 0
		.amdhsa_reserve_vcc 0
		.amdhsa_reserve_flat_scratch 0
		.amdhsa_float_round_mode_32 0
		.amdhsa_float_round_mode_16_64 0
		.amdhsa_float_denorm_mode_32 3
		.amdhsa_float_denorm_mode_16_64 3
		.amdhsa_dx10_clamp 1
		.amdhsa_ieee_mode 1
		.amdhsa_fp16_overflow 0
		.amdhsa_exception_fp_ieee_invalid_op 0
		.amdhsa_exception_fp_denorm_src 0
		.amdhsa_exception_fp_ieee_div_zero 0
		.amdhsa_exception_fp_ieee_overflow 0
		.amdhsa_exception_fp_ieee_underflow 0
		.amdhsa_exception_fp_ieee_inexact 0
		.amdhsa_exception_int_div_zero 0
	.end_amdhsa_kernel
	.section	.text._ZN7rocprim17ROCPRIM_400000_NS6detail17trampoline_kernelINS0_14default_configENS1_32segmented_reduce_config_selectorIdEEZNS1_21segmented_reduce_implIS3_PKdPdPKldN6hipcub16HIPCUB_304000_NS6detail27convert_result_type_wrapperIS8_S9_N2at6native12_GLOBAL__N_19CustomSumEEEEE10hipError_tPvRmT0_T1_jT2_SQ_T4_T3_P12ihipStream_tbEUlT_E_NS1_11comp_targetILNS1_3genE8ELNS1_11target_archE1030ELNS1_3gpuE2ELNS1_3repE0EEENS1_30default_config_static_selectorELNS0_4arch9wavefront6targetE1EEEvSP_,"axG",@progbits,_ZN7rocprim17ROCPRIM_400000_NS6detail17trampoline_kernelINS0_14default_configENS1_32segmented_reduce_config_selectorIdEEZNS1_21segmented_reduce_implIS3_PKdPdPKldN6hipcub16HIPCUB_304000_NS6detail27convert_result_type_wrapperIS8_S9_N2at6native12_GLOBAL__N_19CustomSumEEEEE10hipError_tPvRmT0_T1_jT2_SQ_T4_T3_P12ihipStream_tbEUlT_E_NS1_11comp_targetILNS1_3genE8ELNS1_11target_archE1030ELNS1_3gpuE2ELNS1_3repE0EEENS1_30default_config_static_selectorELNS0_4arch9wavefront6targetE1EEEvSP_,comdat
.Lfunc_end160:
	.size	_ZN7rocprim17ROCPRIM_400000_NS6detail17trampoline_kernelINS0_14default_configENS1_32segmented_reduce_config_selectorIdEEZNS1_21segmented_reduce_implIS3_PKdPdPKldN6hipcub16HIPCUB_304000_NS6detail27convert_result_type_wrapperIS8_S9_N2at6native12_GLOBAL__N_19CustomSumEEEEE10hipError_tPvRmT0_T1_jT2_SQ_T4_T3_P12ihipStream_tbEUlT_E_NS1_11comp_targetILNS1_3genE8ELNS1_11target_archE1030ELNS1_3gpuE2ELNS1_3repE0EEENS1_30default_config_static_selectorELNS0_4arch9wavefront6targetE1EEEvSP_, .Lfunc_end160-_ZN7rocprim17ROCPRIM_400000_NS6detail17trampoline_kernelINS0_14default_configENS1_32segmented_reduce_config_selectorIdEEZNS1_21segmented_reduce_implIS3_PKdPdPKldN6hipcub16HIPCUB_304000_NS6detail27convert_result_type_wrapperIS8_S9_N2at6native12_GLOBAL__N_19CustomSumEEEEE10hipError_tPvRmT0_T1_jT2_SQ_T4_T3_P12ihipStream_tbEUlT_E_NS1_11comp_targetILNS1_3genE8ELNS1_11target_archE1030ELNS1_3gpuE2ELNS1_3repE0EEENS1_30default_config_static_selectorELNS0_4arch9wavefront6targetE1EEEvSP_
                                        ; -- End function
	.set _ZN7rocprim17ROCPRIM_400000_NS6detail17trampoline_kernelINS0_14default_configENS1_32segmented_reduce_config_selectorIdEEZNS1_21segmented_reduce_implIS3_PKdPdPKldN6hipcub16HIPCUB_304000_NS6detail27convert_result_type_wrapperIS8_S9_N2at6native12_GLOBAL__N_19CustomSumEEEEE10hipError_tPvRmT0_T1_jT2_SQ_T4_T3_P12ihipStream_tbEUlT_E_NS1_11comp_targetILNS1_3genE8ELNS1_11target_archE1030ELNS1_3gpuE2ELNS1_3repE0EEENS1_30default_config_static_selectorELNS0_4arch9wavefront6targetE1EEEvSP_.num_vgpr, 0
	.set _ZN7rocprim17ROCPRIM_400000_NS6detail17trampoline_kernelINS0_14default_configENS1_32segmented_reduce_config_selectorIdEEZNS1_21segmented_reduce_implIS3_PKdPdPKldN6hipcub16HIPCUB_304000_NS6detail27convert_result_type_wrapperIS8_S9_N2at6native12_GLOBAL__N_19CustomSumEEEEE10hipError_tPvRmT0_T1_jT2_SQ_T4_T3_P12ihipStream_tbEUlT_E_NS1_11comp_targetILNS1_3genE8ELNS1_11target_archE1030ELNS1_3gpuE2ELNS1_3repE0EEENS1_30default_config_static_selectorELNS0_4arch9wavefront6targetE1EEEvSP_.num_agpr, 0
	.set _ZN7rocprim17ROCPRIM_400000_NS6detail17trampoline_kernelINS0_14default_configENS1_32segmented_reduce_config_selectorIdEEZNS1_21segmented_reduce_implIS3_PKdPdPKldN6hipcub16HIPCUB_304000_NS6detail27convert_result_type_wrapperIS8_S9_N2at6native12_GLOBAL__N_19CustomSumEEEEE10hipError_tPvRmT0_T1_jT2_SQ_T4_T3_P12ihipStream_tbEUlT_E_NS1_11comp_targetILNS1_3genE8ELNS1_11target_archE1030ELNS1_3gpuE2ELNS1_3repE0EEENS1_30default_config_static_selectorELNS0_4arch9wavefront6targetE1EEEvSP_.numbered_sgpr, 0
	.set _ZN7rocprim17ROCPRIM_400000_NS6detail17trampoline_kernelINS0_14default_configENS1_32segmented_reduce_config_selectorIdEEZNS1_21segmented_reduce_implIS3_PKdPdPKldN6hipcub16HIPCUB_304000_NS6detail27convert_result_type_wrapperIS8_S9_N2at6native12_GLOBAL__N_19CustomSumEEEEE10hipError_tPvRmT0_T1_jT2_SQ_T4_T3_P12ihipStream_tbEUlT_E_NS1_11comp_targetILNS1_3genE8ELNS1_11target_archE1030ELNS1_3gpuE2ELNS1_3repE0EEENS1_30default_config_static_selectorELNS0_4arch9wavefront6targetE1EEEvSP_.num_named_barrier, 0
	.set _ZN7rocprim17ROCPRIM_400000_NS6detail17trampoline_kernelINS0_14default_configENS1_32segmented_reduce_config_selectorIdEEZNS1_21segmented_reduce_implIS3_PKdPdPKldN6hipcub16HIPCUB_304000_NS6detail27convert_result_type_wrapperIS8_S9_N2at6native12_GLOBAL__N_19CustomSumEEEEE10hipError_tPvRmT0_T1_jT2_SQ_T4_T3_P12ihipStream_tbEUlT_E_NS1_11comp_targetILNS1_3genE8ELNS1_11target_archE1030ELNS1_3gpuE2ELNS1_3repE0EEENS1_30default_config_static_selectorELNS0_4arch9wavefront6targetE1EEEvSP_.private_seg_size, 0
	.set _ZN7rocprim17ROCPRIM_400000_NS6detail17trampoline_kernelINS0_14default_configENS1_32segmented_reduce_config_selectorIdEEZNS1_21segmented_reduce_implIS3_PKdPdPKldN6hipcub16HIPCUB_304000_NS6detail27convert_result_type_wrapperIS8_S9_N2at6native12_GLOBAL__N_19CustomSumEEEEE10hipError_tPvRmT0_T1_jT2_SQ_T4_T3_P12ihipStream_tbEUlT_E_NS1_11comp_targetILNS1_3genE8ELNS1_11target_archE1030ELNS1_3gpuE2ELNS1_3repE0EEENS1_30default_config_static_selectorELNS0_4arch9wavefront6targetE1EEEvSP_.uses_vcc, 0
	.set _ZN7rocprim17ROCPRIM_400000_NS6detail17trampoline_kernelINS0_14default_configENS1_32segmented_reduce_config_selectorIdEEZNS1_21segmented_reduce_implIS3_PKdPdPKldN6hipcub16HIPCUB_304000_NS6detail27convert_result_type_wrapperIS8_S9_N2at6native12_GLOBAL__N_19CustomSumEEEEE10hipError_tPvRmT0_T1_jT2_SQ_T4_T3_P12ihipStream_tbEUlT_E_NS1_11comp_targetILNS1_3genE8ELNS1_11target_archE1030ELNS1_3gpuE2ELNS1_3repE0EEENS1_30default_config_static_selectorELNS0_4arch9wavefront6targetE1EEEvSP_.uses_flat_scratch, 0
	.set _ZN7rocprim17ROCPRIM_400000_NS6detail17trampoline_kernelINS0_14default_configENS1_32segmented_reduce_config_selectorIdEEZNS1_21segmented_reduce_implIS3_PKdPdPKldN6hipcub16HIPCUB_304000_NS6detail27convert_result_type_wrapperIS8_S9_N2at6native12_GLOBAL__N_19CustomSumEEEEE10hipError_tPvRmT0_T1_jT2_SQ_T4_T3_P12ihipStream_tbEUlT_E_NS1_11comp_targetILNS1_3genE8ELNS1_11target_archE1030ELNS1_3gpuE2ELNS1_3repE0EEENS1_30default_config_static_selectorELNS0_4arch9wavefront6targetE1EEEvSP_.has_dyn_sized_stack, 0
	.set _ZN7rocprim17ROCPRIM_400000_NS6detail17trampoline_kernelINS0_14default_configENS1_32segmented_reduce_config_selectorIdEEZNS1_21segmented_reduce_implIS3_PKdPdPKldN6hipcub16HIPCUB_304000_NS6detail27convert_result_type_wrapperIS8_S9_N2at6native12_GLOBAL__N_19CustomSumEEEEE10hipError_tPvRmT0_T1_jT2_SQ_T4_T3_P12ihipStream_tbEUlT_E_NS1_11comp_targetILNS1_3genE8ELNS1_11target_archE1030ELNS1_3gpuE2ELNS1_3repE0EEENS1_30default_config_static_selectorELNS0_4arch9wavefront6targetE1EEEvSP_.has_recursion, 0
	.set _ZN7rocprim17ROCPRIM_400000_NS6detail17trampoline_kernelINS0_14default_configENS1_32segmented_reduce_config_selectorIdEEZNS1_21segmented_reduce_implIS3_PKdPdPKldN6hipcub16HIPCUB_304000_NS6detail27convert_result_type_wrapperIS8_S9_N2at6native12_GLOBAL__N_19CustomSumEEEEE10hipError_tPvRmT0_T1_jT2_SQ_T4_T3_P12ihipStream_tbEUlT_E_NS1_11comp_targetILNS1_3genE8ELNS1_11target_archE1030ELNS1_3gpuE2ELNS1_3repE0EEENS1_30default_config_static_selectorELNS0_4arch9wavefront6targetE1EEEvSP_.has_indirect_call, 0
	.section	.AMDGPU.csdata,"",@progbits
; Kernel info:
; codeLenInByte = 0
; TotalNumSgprs: 4
; NumVgprs: 0
; ScratchSize: 0
; MemoryBound: 0
; FloatMode: 240
; IeeeMode: 1
; LDSByteSize: 0 bytes/workgroup (compile time only)
; SGPRBlocks: 0
; VGPRBlocks: 0
; NumSGPRsForWavesPerEU: 4
; NumVGPRsForWavesPerEU: 1
; Occupancy: 10
; WaveLimiterHint : 0
; COMPUTE_PGM_RSRC2:SCRATCH_EN: 0
; COMPUTE_PGM_RSRC2:USER_SGPR: 6
; COMPUTE_PGM_RSRC2:TRAP_HANDLER: 0
; COMPUTE_PGM_RSRC2:TGID_X_EN: 1
; COMPUTE_PGM_RSRC2:TGID_Y_EN: 0
; COMPUTE_PGM_RSRC2:TGID_Z_EN: 0
; COMPUTE_PGM_RSRC2:TIDIG_COMP_CNT: 0
	.section	.text._ZN2at6native12_GLOBAL__N_119post_sum_div_kernelIdlEEvPT_PKT0_lbS3_,"axG",@progbits,_ZN2at6native12_GLOBAL__N_119post_sum_div_kernelIdlEEvPT_PKT0_lbS3_,comdat
	.globl	_ZN2at6native12_GLOBAL__N_119post_sum_div_kernelIdlEEvPT_PKT0_lbS3_ ; -- Begin function _ZN2at6native12_GLOBAL__N_119post_sum_div_kernelIdlEEvPT_PKT0_lbS3_
	.p2align	8
	.type	_ZN2at6native12_GLOBAL__N_119post_sum_div_kernelIdlEEvPT_PKT0_lbS3_,@function
_ZN2at6native12_GLOBAL__N_119post_sum_div_kernelIdlEEvPT_PKT0_lbS3_: ; @_ZN2at6native12_GLOBAL__N_119post_sum_div_kernelIdlEEvPT_PKT0_lbS3_
; %bb.0:
	s_load_dword s7, s[4:5], 0x34
	s_load_dwordx2 s[2:3], s[4:5], 0x10
	s_add_u32 s0, s4, 40
	s_addc_u32 s1, s5, 0
	v_mov_b32_e32 v1, 0
	s_waitcnt lgkmcnt(0)
	s_and_b32 s7, s7, 0xffff
	v_mov_b32_e32 v2, s6
	v_mad_u64_u32 v[2:3], s[8:9], s7, v2, v[0:1]
	v_cmp_gt_i64_e32 vcc, s[2:3], v[2:3]
	s_and_saveexec_b64 s[8:9], vcc
	s_cbranch_execz .LBB161_12
; %bb.1:
	s_load_dword s6, s[4:5], 0x18
	s_load_dword s14, s[0:1], 0x0
	s_load_dwordx2 s[12:13], s[4:5], 0x20
	s_load_dwordx4 s[8:11], s[4:5], 0x0
	v_mov_b32_e32 v0, v1
	s_waitcnt lgkmcnt(0)
	s_bitcmp1_b32 s6, 0
	s_mul_i32 s24, s14, s7
	s_cselect_b32 s5, s13, 0x7ff80000
	s_cselect_b32 s4, s12, 0
	v_mov_b32_e32 v1, v2
	s_mov_b32 s25, s24
	s_mov_b64 s[6:7], 0
	v_mov_b32_e32 v12, s11
                                        ; implicit-def: $sgpr12_sgpr13
                                        ; implicit-def: $sgpr16_sgpr17
                                        ; implicit-def: $sgpr14_sgpr15
.LBB161_2:                              ; =>This Inner Loop Header: Depth=1
	v_ashrrev_i64 v[4:5], 29, v[0:1]
	s_or_b64 s[14:15], s[14:15], exec
	v_add_co_u32_e32 v4, vcc, s10, v4
	v_addc_co_u32_e32 v5, vcc, v12, v5, vcc
	global_load_dwordx2 v[6:7], v[4:5], off
	s_or_b64 s[16:17], s[16:17], exec
	s_waitcnt vmcnt(0)
	v_cmp_lt_i64_e32 vcc, -1, v[6:7]
	s_and_saveexec_b64 s[18:19], vcc
	s_cbranch_execz .LBB161_10
; %bb.3:                                ;   in Loop: Header=BB161_2 Depth=1
	v_ashrrev_i32_e32 v5, 31, v1
	v_mov_b32_e32 v4, v1
	v_lshlrev_b64 v[4:5], 3, v[4:5]
	v_mov_b32_e32 v8, s9
	v_add_co_u32_e64 v4, s[0:1], s8, v4
	v_cmp_ne_u64_e32 vcc, 0, v[6:7]
	v_addc_co_u32_e64 v5, s[0:1], v8, v5, s[0:1]
	v_mov_b32_e32 v9, s5
	s_mov_b64 s[20:21], -1
	v_mov_b32_e32 v8, s4
	s_and_saveexec_b64 s[0:1], vcc
	s_cbranch_execz .LBB161_7
; %bb.4:                                ;   in Loop: Header=BB161_2 Depth=1
	global_load_dwordx2 v[10:11], v[4:5], off
	s_mov_b64 s[20:21], 0
                                        ; implicit-def: $vgpr8_vgpr9
	s_waitcnt vmcnt(0)
	v_cmp_o_f64_e32 vcc, v[10:11], v[10:11]
	s_and_saveexec_b64 s[22:23], vcc
	s_cbranch_execz .LBB161_6
; %bb.5:                                ;   in Loop: Header=BB161_2 Depth=1
	v_cvt_f64_u32_e32 v[7:8], v7
	v_cvt_f64_u32_e32 v[13:14], v6
	s_mov_b64 s[20:21], exec
	v_ldexp_f64 v[7:8], v[7:8], 32
	v_add_f64 v[6:7], v[7:8], v[13:14]
	v_div_scale_f64 v[8:9], s[26:27], v[6:7], v[6:7], v[10:11]
	v_div_scale_f64 v[17:18], vcc, v[10:11], v[6:7], v[10:11]
	v_rcp_f64_e32 v[13:14], v[8:9]
	v_fma_f64 v[15:16], -v[8:9], v[13:14], 1.0
	v_fma_f64 v[13:14], v[13:14], v[15:16], v[13:14]
	v_fma_f64 v[15:16], -v[8:9], v[13:14], 1.0
	v_fma_f64 v[13:14], v[13:14], v[15:16], v[13:14]
	v_mul_f64 v[15:16], v[17:18], v[13:14]
	v_fma_f64 v[8:9], -v[8:9], v[15:16], v[17:18]
	v_div_fmas_f64 v[8:9], v[8:9], v[13:14], v[15:16]
	v_div_fixup_f64 v[8:9], v[8:9], v[6:7], v[10:11]
.LBB161_6:                              ;   in Loop: Header=BB161_2 Depth=1
	s_or_b64 exec, exec, s[22:23]
	s_orn2_b64 s[20:21], s[20:21], exec
.LBB161_7:                              ;   in Loop: Header=BB161_2 Depth=1
	s_or_b64 exec, exec, s[0:1]
	s_and_saveexec_b64 s[0:1], s[20:21]
	s_cbranch_execz .LBB161_9
; %bb.8:                                ;   in Loop: Header=BB161_2 Depth=1
	global_store_dwordx2 v[4:5], v[8:9], off
.LBB161_9:                              ;   in Loop: Header=BB161_2 Depth=1
	s_or_b64 exec, exec, s[0:1]
	v_add_co_u32_e32 v2, vcc, s24, v2
	v_addc_co_u32_e32 v3, vcc, 0, v3, vcc
	v_mov_b32_e32 v4, s25
	v_add_co_u32_e32 v0, vcc, 0, v0
	v_addc_co_u32_e32 v1, vcc, v1, v4, vcc
	v_cmp_le_i64_e32 vcc, s[2:3], v[2:3]
	s_andn2_b64 s[0:1], s[16:17], exec
	s_and_b64 s[16:17], vcc, exec
	s_andn2_b64 s[14:15], s[14:15], exec
	s_or_b64 s[16:17], s[0:1], s[16:17]
.LBB161_10:                             ;   in Loop: Header=BB161_2 Depth=1
	s_or_b64 exec, exec, s[18:19]
	s_and_b64 s[0:1], exec, s[16:17]
	s_or_b64 s[6:7], s[0:1], s[6:7]
	s_andn2_b64 s[0:1], s[12:13], exec
	s_and_b64 s[12:13], s[14:15], exec
	s_or_b64 s[12:13], s[0:1], s[12:13]
	s_andn2_b64 exec, exec, s[6:7]
	s_cbranch_execnz .LBB161_2
; %bb.11:
	s_or_b64 exec, exec, s[6:7]
	s_and_saveexec_b64 s[0:1], s[12:13]
	s_xor_b64 s[0:1], exec, s[0:1]
	s_cbranch_execnz .LBB161_13
.LBB161_12:
	s_endpgm
.LBB161_13:
	s_trap 2
	; divergent unreachable
	s_endpgm
	.section	.rodata,"a",@progbits
	.p2align	6, 0x0
	.amdhsa_kernel _ZN2at6native12_GLOBAL__N_119post_sum_div_kernelIdlEEvPT_PKT0_lbS3_
		.amdhsa_group_segment_fixed_size 0
		.amdhsa_private_segment_fixed_size 0
		.amdhsa_kernarg_size 296
		.amdhsa_user_sgpr_count 6
		.amdhsa_user_sgpr_private_segment_buffer 1
		.amdhsa_user_sgpr_dispatch_ptr 0
		.amdhsa_user_sgpr_queue_ptr 0
		.amdhsa_user_sgpr_kernarg_segment_ptr 1
		.amdhsa_user_sgpr_dispatch_id 0
		.amdhsa_user_sgpr_flat_scratch_init 0
		.amdhsa_user_sgpr_private_segment_size 0
		.amdhsa_uses_dynamic_stack 0
		.amdhsa_system_sgpr_private_segment_wavefront_offset 0
		.amdhsa_system_sgpr_workgroup_id_x 1
		.amdhsa_system_sgpr_workgroup_id_y 0
		.amdhsa_system_sgpr_workgroup_id_z 0
		.amdhsa_system_sgpr_workgroup_info 0
		.amdhsa_system_vgpr_workitem_id 0
		.amdhsa_next_free_vgpr 19
		.amdhsa_next_free_sgpr 28
		.amdhsa_reserve_vcc 1
		.amdhsa_reserve_flat_scratch 0
		.amdhsa_float_round_mode_32 0
		.amdhsa_float_round_mode_16_64 0
		.amdhsa_float_denorm_mode_32 3
		.amdhsa_float_denorm_mode_16_64 3
		.amdhsa_dx10_clamp 1
		.amdhsa_ieee_mode 1
		.amdhsa_fp16_overflow 0
		.amdhsa_exception_fp_ieee_invalid_op 0
		.amdhsa_exception_fp_denorm_src 0
		.amdhsa_exception_fp_ieee_div_zero 0
		.amdhsa_exception_fp_ieee_overflow 0
		.amdhsa_exception_fp_ieee_underflow 0
		.amdhsa_exception_fp_ieee_inexact 0
		.amdhsa_exception_int_div_zero 0
	.end_amdhsa_kernel
	.section	.text._ZN2at6native12_GLOBAL__N_119post_sum_div_kernelIdlEEvPT_PKT0_lbS3_,"axG",@progbits,_ZN2at6native12_GLOBAL__N_119post_sum_div_kernelIdlEEvPT_PKT0_lbS3_,comdat
.Lfunc_end161:
	.size	_ZN2at6native12_GLOBAL__N_119post_sum_div_kernelIdlEEvPT_PKT0_lbS3_, .Lfunc_end161-_ZN2at6native12_GLOBAL__N_119post_sum_div_kernelIdlEEvPT_PKT0_lbS3_
                                        ; -- End function
	.set _ZN2at6native12_GLOBAL__N_119post_sum_div_kernelIdlEEvPT_PKT0_lbS3_.num_vgpr, 19
	.set _ZN2at6native12_GLOBAL__N_119post_sum_div_kernelIdlEEvPT_PKT0_lbS3_.num_agpr, 0
	.set _ZN2at6native12_GLOBAL__N_119post_sum_div_kernelIdlEEvPT_PKT0_lbS3_.numbered_sgpr, 28
	.set _ZN2at6native12_GLOBAL__N_119post_sum_div_kernelIdlEEvPT_PKT0_lbS3_.num_named_barrier, 0
	.set _ZN2at6native12_GLOBAL__N_119post_sum_div_kernelIdlEEvPT_PKT0_lbS3_.private_seg_size, 0
	.set _ZN2at6native12_GLOBAL__N_119post_sum_div_kernelIdlEEvPT_PKT0_lbS3_.uses_vcc, 1
	.set _ZN2at6native12_GLOBAL__N_119post_sum_div_kernelIdlEEvPT_PKT0_lbS3_.uses_flat_scratch, 0
	.set _ZN2at6native12_GLOBAL__N_119post_sum_div_kernelIdlEEvPT_PKT0_lbS3_.has_dyn_sized_stack, 0
	.set _ZN2at6native12_GLOBAL__N_119post_sum_div_kernelIdlEEvPT_PKT0_lbS3_.has_recursion, 0
	.set _ZN2at6native12_GLOBAL__N_119post_sum_div_kernelIdlEEvPT_PKT0_lbS3_.has_indirect_call, 0
	.section	.AMDGPU.csdata,"",@progbits
; Kernel info:
; codeLenInByte = 520
; TotalNumSgprs: 32
; NumVgprs: 19
; ScratchSize: 0
; MemoryBound: 0
; FloatMode: 240
; IeeeMode: 1
; LDSByteSize: 0 bytes/workgroup (compile time only)
; SGPRBlocks: 3
; VGPRBlocks: 4
; NumSGPRsForWavesPerEU: 32
; NumVGPRsForWavesPerEU: 19
; Occupancy: 10
; WaveLimiterHint : 0
; COMPUTE_PGM_RSRC2:SCRATCH_EN: 0
; COMPUTE_PGM_RSRC2:USER_SGPR: 6
; COMPUTE_PGM_RSRC2:TRAP_HANDLER: 0
; COMPUTE_PGM_RSRC2:TGID_X_EN: 1
; COMPUTE_PGM_RSRC2:TGID_Y_EN: 0
; COMPUTE_PGM_RSRC2:TGID_Z_EN: 0
; COMPUTE_PGM_RSRC2:TIDIG_COMP_CNT: 0
	.section	.text._ZN7rocprim17ROCPRIM_400000_NS6detail17trampoline_kernelINS0_14default_configENS1_32segmented_reduce_config_selectorIdEEZNS1_21segmented_reduce_implIS3_PKdPdPKldN6hipcub16HIPCUB_304000_NS6detail27convert_result_type_wrapperIS8_S9_N2at6native12_GLOBAL__N_19CustomMinEEEEE10hipError_tPvRmT0_T1_jT2_SQ_T4_T3_P12ihipStream_tbEUlT_E_NS1_11comp_targetILNS1_3genE0ELNS1_11target_archE4294967295ELNS1_3gpuE0ELNS1_3repE0EEENS1_30default_config_static_selectorELNS0_4arch9wavefront6targetE1EEEvSP_,"axG",@progbits,_ZN7rocprim17ROCPRIM_400000_NS6detail17trampoline_kernelINS0_14default_configENS1_32segmented_reduce_config_selectorIdEEZNS1_21segmented_reduce_implIS3_PKdPdPKldN6hipcub16HIPCUB_304000_NS6detail27convert_result_type_wrapperIS8_S9_N2at6native12_GLOBAL__N_19CustomMinEEEEE10hipError_tPvRmT0_T1_jT2_SQ_T4_T3_P12ihipStream_tbEUlT_E_NS1_11comp_targetILNS1_3genE0ELNS1_11target_archE4294967295ELNS1_3gpuE0ELNS1_3repE0EEENS1_30default_config_static_selectorELNS0_4arch9wavefront6targetE1EEEvSP_,comdat
	.globl	_ZN7rocprim17ROCPRIM_400000_NS6detail17trampoline_kernelINS0_14default_configENS1_32segmented_reduce_config_selectorIdEEZNS1_21segmented_reduce_implIS3_PKdPdPKldN6hipcub16HIPCUB_304000_NS6detail27convert_result_type_wrapperIS8_S9_N2at6native12_GLOBAL__N_19CustomMinEEEEE10hipError_tPvRmT0_T1_jT2_SQ_T4_T3_P12ihipStream_tbEUlT_E_NS1_11comp_targetILNS1_3genE0ELNS1_11target_archE4294967295ELNS1_3gpuE0ELNS1_3repE0EEENS1_30default_config_static_selectorELNS0_4arch9wavefront6targetE1EEEvSP_ ; -- Begin function _ZN7rocprim17ROCPRIM_400000_NS6detail17trampoline_kernelINS0_14default_configENS1_32segmented_reduce_config_selectorIdEEZNS1_21segmented_reduce_implIS3_PKdPdPKldN6hipcub16HIPCUB_304000_NS6detail27convert_result_type_wrapperIS8_S9_N2at6native12_GLOBAL__N_19CustomMinEEEEE10hipError_tPvRmT0_T1_jT2_SQ_T4_T3_P12ihipStream_tbEUlT_E_NS1_11comp_targetILNS1_3genE0ELNS1_11target_archE4294967295ELNS1_3gpuE0ELNS1_3repE0EEENS1_30default_config_static_selectorELNS0_4arch9wavefront6targetE1EEEvSP_
	.p2align	8
	.type	_ZN7rocprim17ROCPRIM_400000_NS6detail17trampoline_kernelINS0_14default_configENS1_32segmented_reduce_config_selectorIdEEZNS1_21segmented_reduce_implIS3_PKdPdPKldN6hipcub16HIPCUB_304000_NS6detail27convert_result_type_wrapperIS8_S9_N2at6native12_GLOBAL__N_19CustomMinEEEEE10hipError_tPvRmT0_T1_jT2_SQ_T4_T3_P12ihipStream_tbEUlT_E_NS1_11comp_targetILNS1_3genE0ELNS1_11target_archE4294967295ELNS1_3gpuE0ELNS1_3repE0EEENS1_30default_config_static_selectorELNS0_4arch9wavefront6targetE1EEEvSP_,@function
_ZN7rocprim17ROCPRIM_400000_NS6detail17trampoline_kernelINS0_14default_configENS1_32segmented_reduce_config_selectorIdEEZNS1_21segmented_reduce_implIS3_PKdPdPKldN6hipcub16HIPCUB_304000_NS6detail27convert_result_type_wrapperIS8_S9_N2at6native12_GLOBAL__N_19CustomMinEEEEE10hipError_tPvRmT0_T1_jT2_SQ_T4_T3_P12ihipStream_tbEUlT_E_NS1_11comp_targetILNS1_3genE0ELNS1_11target_archE4294967295ELNS1_3gpuE0ELNS1_3repE0EEENS1_30default_config_static_selectorELNS0_4arch9wavefront6targetE1EEEvSP_: ; @_ZN7rocprim17ROCPRIM_400000_NS6detail17trampoline_kernelINS0_14default_configENS1_32segmented_reduce_config_selectorIdEEZNS1_21segmented_reduce_implIS3_PKdPdPKldN6hipcub16HIPCUB_304000_NS6detail27convert_result_type_wrapperIS8_S9_N2at6native12_GLOBAL__N_19CustomMinEEEEE10hipError_tPvRmT0_T1_jT2_SQ_T4_T3_P12ihipStream_tbEUlT_E_NS1_11comp_targetILNS1_3genE0ELNS1_11target_archE4294967295ELNS1_3gpuE0ELNS1_3repE0EEENS1_30default_config_static_selectorELNS0_4arch9wavefront6targetE1EEEvSP_
; %bb.0:
	.section	.rodata,"a",@progbits
	.p2align	6, 0x0
	.amdhsa_kernel _ZN7rocprim17ROCPRIM_400000_NS6detail17trampoline_kernelINS0_14default_configENS1_32segmented_reduce_config_selectorIdEEZNS1_21segmented_reduce_implIS3_PKdPdPKldN6hipcub16HIPCUB_304000_NS6detail27convert_result_type_wrapperIS8_S9_N2at6native12_GLOBAL__N_19CustomMinEEEEE10hipError_tPvRmT0_T1_jT2_SQ_T4_T3_P12ihipStream_tbEUlT_E_NS1_11comp_targetILNS1_3genE0ELNS1_11target_archE4294967295ELNS1_3gpuE0ELNS1_3repE0EEENS1_30default_config_static_selectorELNS0_4arch9wavefront6targetE1EEEvSP_
		.amdhsa_group_segment_fixed_size 0
		.amdhsa_private_segment_fixed_size 0
		.amdhsa_kernarg_size 56
		.amdhsa_user_sgpr_count 6
		.amdhsa_user_sgpr_private_segment_buffer 1
		.amdhsa_user_sgpr_dispatch_ptr 0
		.amdhsa_user_sgpr_queue_ptr 0
		.amdhsa_user_sgpr_kernarg_segment_ptr 1
		.amdhsa_user_sgpr_dispatch_id 0
		.amdhsa_user_sgpr_flat_scratch_init 0
		.amdhsa_user_sgpr_private_segment_size 0
		.amdhsa_uses_dynamic_stack 0
		.amdhsa_system_sgpr_private_segment_wavefront_offset 0
		.amdhsa_system_sgpr_workgroup_id_x 1
		.amdhsa_system_sgpr_workgroup_id_y 0
		.amdhsa_system_sgpr_workgroup_id_z 0
		.amdhsa_system_sgpr_workgroup_info 0
		.amdhsa_system_vgpr_workitem_id 0
		.amdhsa_next_free_vgpr 1
		.amdhsa_next_free_sgpr 0
		.amdhsa_reserve_vcc 0
		.amdhsa_reserve_flat_scratch 0
		.amdhsa_float_round_mode_32 0
		.amdhsa_float_round_mode_16_64 0
		.amdhsa_float_denorm_mode_32 3
		.amdhsa_float_denorm_mode_16_64 3
		.amdhsa_dx10_clamp 1
		.amdhsa_ieee_mode 1
		.amdhsa_fp16_overflow 0
		.amdhsa_exception_fp_ieee_invalid_op 0
		.amdhsa_exception_fp_denorm_src 0
		.amdhsa_exception_fp_ieee_div_zero 0
		.amdhsa_exception_fp_ieee_overflow 0
		.amdhsa_exception_fp_ieee_underflow 0
		.amdhsa_exception_fp_ieee_inexact 0
		.amdhsa_exception_int_div_zero 0
	.end_amdhsa_kernel
	.section	.text._ZN7rocprim17ROCPRIM_400000_NS6detail17trampoline_kernelINS0_14default_configENS1_32segmented_reduce_config_selectorIdEEZNS1_21segmented_reduce_implIS3_PKdPdPKldN6hipcub16HIPCUB_304000_NS6detail27convert_result_type_wrapperIS8_S9_N2at6native12_GLOBAL__N_19CustomMinEEEEE10hipError_tPvRmT0_T1_jT2_SQ_T4_T3_P12ihipStream_tbEUlT_E_NS1_11comp_targetILNS1_3genE0ELNS1_11target_archE4294967295ELNS1_3gpuE0ELNS1_3repE0EEENS1_30default_config_static_selectorELNS0_4arch9wavefront6targetE1EEEvSP_,"axG",@progbits,_ZN7rocprim17ROCPRIM_400000_NS6detail17trampoline_kernelINS0_14default_configENS1_32segmented_reduce_config_selectorIdEEZNS1_21segmented_reduce_implIS3_PKdPdPKldN6hipcub16HIPCUB_304000_NS6detail27convert_result_type_wrapperIS8_S9_N2at6native12_GLOBAL__N_19CustomMinEEEEE10hipError_tPvRmT0_T1_jT2_SQ_T4_T3_P12ihipStream_tbEUlT_E_NS1_11comp_targetILNS1_3genE0ELNS1_11target_archE4294967295ELNS1_3gpuE0ELNS1_3repE0EEENS1_30default_config_static_selectorELNS0_4arch9wavefront6targetE1EEEvSP_,comdat
.Lfunc_end162:
	.size	_ZN7rocprim17ROCPRIM_400000_NS6detail17trampoline_kernelINS0_14default_configENS1_32segmented_reduce_config_selectorIdEEZNS1_21segmented_reduce_implIS3_PKdPdPKldN6hipcub16HIPCUB_304000_NS6detail27convert_result_type_wrapperIS8_S9_N2at6native12_GLOBAL__N_19CustomMinEEEEE10hipError_tPvRmT0_T1_jT2_SQ_T4_T3_P12ihipStream_tbEUlT_E_NS1_11comp_targetILNS1_3genE0ELNS1_11target_archE4294967295ELNS1_3gpuE0ELNS1_3repE0EEENS1_30default_config_static_selectorELNS0_4arch9wavefront6targetE1EEEvSP_, .Lfunc_end162-_ZN7rocprim17ROCPRIM_400000_NS6detail17trampoline_kernelINS0_14default_configENS1_32segmented_reduce_config_selectorIdEEZNS1_21segmented_reduce_implIS3_PKdPdPKldN6hipcub16HIPCUB_304000_NS6detail27convert_result_type_wrapperIS8_S9_N2at6native12_GLOBAL__N_19CustomMinEEEEE10hipError_tPvRmT0_T1_jT2_SQ_T4_T3_P12ihipStream_tbEUlT_E_NS1_11comp_targetILNS1_3genE0ELNS1_11target_archE4294967295ELNS1_3gpuE0ELNS1_3repE0EEENS1_30default_config_static_selectorELNS0_4arch9wavefront6targetE1EEEvSP_
                                        ; -- End function
	.set _ZN7rocprim17ROCPRIM_400000_NS6detail17trampoline_kernelINS0_14default_configENS1_32segmented_reduce_config_selectorIdEEZNS1_21segmented_reduce_implIS3_PKdPdPKldN6hipcub16HIPCUB_304000_NS6detail27convert_result_type_wrapperIS8_S9_N2at6native12_GLOBAL__N_19CustomMinEEEEE10hipError_tPvRmT0_T1_jT2_SQ_T4_T3_P12ihipStream_tbEUlT_E_NS1_11comp_targetILNS1_3genE0ELNS1_11target_archE4294967295ELNS1_3gpuE0ELNS1_3repE0EEENS1_30default_config_static_selectorELNS0_4arch9wavefront6targetE1EEEvSP_.num_vgpr, 0
	.set _ZN7rocprim17ROCPRIM_400000_NS6detail17trampoline_kernelINS0_14default_configENS1_32segmented_reduce_config_selectorIdEEZNS1_21segmented_reduce_implIS3_PKdPdPKldN6hipcub16HIPCUB_304000_NS6detail27convert_result_type_wrapperIS8_S9_N2at6native12_GLOBAL__N_19CustomMinEEEEE10hipError_tPvRmT0_T1_jT2_SQ_T4_T3_P12ihipStream_tbEUlT_E_NS1_11comp_targetILNS1_3genE0ELNS1_11target_archE4294967295ELNS1_3gpuE0ELNS1_3repE0EEENS1_30default_config_static_selectorELNS0_4arch9wavefront6targetE1EEEvSP_.num_agpr, 0
	.set _ZN7rocprim17ROCPRIM_400000_NS6detail17trampoline_kernelINS0_14default_configENS1_32segmented_reduce_config_selectorIdEEZNS1_21segmented_reduce_implIS3_PKdPdPKldN6hipcub16HIPCUB_304000_NS6detail27convert_result_type_wrapperIS8_S9_N2at6native12_GLOBAL__N_19CustomMinEEEEE10hipError_tPvRmT0_T1_jT2_SQ_T4_T3_P12ihipStream_tbEUlT_E_NS1_11comp_targetILNS1_3genE0ELNS1_11target_archE4294967295ELNS1_3gpuE0ELNS1_3repE0EEENS1_30default_config_static_selectorELNS0_4arch9wavefront6targetE1EEEvSP_.numbered_sgpr, 0
	.set _ZN7rocprim17ROCPRIM_400000_NS6detail17trampoline_kernelINS0_14default_configENS1_32segmented_reduce_config_selectorIdEEZNS1_21segmented_reduce_implIS3_PKdPdPKldN6hipcub16HIPCUB_304000_NS6detail27convert_result_type_wrapperIS8_S9_N2at6native12_GLOBAL__N_19CustomMinEEEEE10hipError_tPvRmT0_T1_jT2_SQ_T4_T3_P12ihipStream_tbEUlT_E_NS1_11comp_targetILNS1_3genE0ELNS1_11target_archE4294967295ELNS1_3gpuE0ELNS1_3repE0EEENS1_30default_config_static_selectorELNS0_4arch9wavefront6targetE1EEEvSP_.num_named_barrier, 0
	.set _ZN7rocprim17ROCPRIM_400000_NS6detail17trampoline_kernelINS0_14default_configENS1_32segmented_reduce_config_selectorIdEEZNS1_21segmented_reduce_implIS3_PKdPdPKldN6hipcub16HIPCUB_304000_NS6detail27convert_result_type_wrapperIS8_S9_N2at6native12_GLOBAL__N_19CustomMinEEEEE10hipError_tPvRmT0_T1_jT2_SQ_T4_T3_P12ihipStream_tbEUlT_E_NS1_11comp_targetILNS1_3genE0ELNS1_11target_archE4294967295ELNS1_3gpuE0ELNS1_3repE0EEENS1_30default_config_static_selectorELNS0_4arch9wavefront6targetE1EEEvSP_.private_seg_size, 0
	.set _ZN7rocprim17ROCPRIM_400000_NS6detail17trampoline_kernelINS0_14default_configENS1_32segmented_reduce_config_selectorIdEEZNS1_21segmented_reduce_implIS3_PKdPdPKldN6hipcub16HIPCUB_304000_NS6detail27convert_result_type_wrapperIS8_S9_N2at6native12_GLOBAL__N_19CustomMinEEEEE10hipError_tPvRmT0_T1_jT2_SQ_T4_T3_P12ihipStream_tbEUlT_E_NS1_11comp_targetILNS1_3genE0ELNS1_11target_archE4294967295ELNS1_3gpuE0ELNS1_3repE0EEENS1_30default_config_static_selectorELNS0_4arch9wavefront6targetE1EEEvSP_.uses_vcc, 0
	.set _ZN7rocprim17ROCPRIM_400000_NS6detail17trampoline_kernelINS0_14default_configENS1_32segmented_reduce_config_selectorIdEEZNS1_21segmented_reduce_implIS3_PKdPdPKldN6hipcub16HIPCUB_304000_NS6detail27convert_result_type_wrapperIS8_S9_N2at6native12_GLOBAL__N_19CustomMinEEEEE10hipError_tPvRmT0_T1_jT2_SQ_T4_T3_P12ihipStream_tbEUlT_E_NS1_11comp_targetILNS1_3genE0ELNS1_11target_archE4294967295ELNS1_3gpuE0ELNS1_3repE0EEENS1_30default_config_static_selectorELNS0_4arch9wavefront6targetE1EEEvSP_.uses_flat_scratch, 0
	.set _ZN7rocprim17ROCPRIM_400000_NS6detail17trampoline_kernelINS0_14default_configENS1_32segmented_reduce_config_selectorIdEEZNS1_21segmented_reduce_implIS3_PKdPdPKldN6hipcub16HIPCUB_304000_NS6detail27convert_result_type_wrapperIS8_S9_N2at6native12_GLOBAL__N_19CustomMinEEEEE10hipError_tPvRmT0_T1_jT2_SQ_T4_T3_P12ihipStream_tbEUlT_E_NS1_11comp_targetILNS1_3genE0ELNS1_11target_archE4294967295ELNS1_3gpuE0ELNS1_3repE0EEENS1_30default_config_static_selectorELNS0_4arch9wavefront6targetE1EEEvSP_.has_dyn_sized_stack, 0
	.set _ZN7rocprim17ROCPRIM_400000_NS6detail17trampoline_kernelINS0_14default_configENS1_32segmented_reduce_config_selectorIdEEZNS1_21segmented_reduce_implIS3_PKdPdPKldN6hipcub16HIPCUB_304000_NS6detail27convert_result_type_wrapperIS8_S9_N2at6native12_GLOBAL__N_19CustomMinEEEEE10hipError_tPvRmT0_T1_jT2_SQ_T4_T3_P12ihipStream_tbEUlT_E_NS1_11comp_targetILNS1_3genE0ELNS1_11target_archE4294967295ELNS1_3gpuE0ELNS1_3repE0EEENS1_30default_config_static_selectorELNS0_4arch9wavefront6targetE1EEEvSP_.has_recursion, 0
	.set _ZN7rocprim17ROCPRIM_400000_NS6detail17trampoline_kernelINS0_14default_configENS1_32segmented_reduce_config_selectorIdEEZNS1_21segmented_reduce_implIS3_PKdPdPKldN6hipcub16HIPCUB_304000_NS6detail27convert_result_type_wrapperIS8_S9_N2at6native12_GLOBAL__N_19CustomMinEEEEE10hipError_tPvRmT0_T1_jT2_SQ_T4_T3_P12ihipStream_tbEUlT_E_NS1_11comp_targetILNS1_3genE0ELNS1_11target_archE4294967295ELNS1_3gpuE0ELNS1_3repE0EEENS1_30default_config_static_selectorELNS0_4arch9wavefront6targetE1EEEvSP_.has_indirect_call, 0
	.section	.AMDGPU.csdata,"",@progbits
; Kernel info:
; codeLenInByte = 0
; TotalNumSgprs: 4
; NumVgprs: 0
; ScratchSize: 0
; MemoryBound: 0
; FloatMode: 240
; IeeeMode: 1
; LDSByteSize: 0 bytes/workgroup (compile time only)
; SGPRBlocks: 0
; VGPRBlocks: 0
; NumSGPRsForWavesPerEU: 4
; NumVGPRsForWavesPerEU: 1
; Occupancy: 10
; WaveLimiterHint : 0
; COMPUTE_PGM_RSRC2:SCRATCH_EN: 0
; COMPUTE_PGM_RSRC2:USER_SGPR: 6
; COMPUTE_PGM_RSRC2:TRAP_HANDLER: 0
; COMPUTE_PGM_RSRC2:TGID_X_EN: 1
; COMPUTE_PGM_RSRC2:TGID_Y_EN: 0
; COMPUTE_PGM_RSRC2:TGID_Z_EN: 0
; COMPUTE_PGM_RSRC2:TIDIG_COMP_CNT: 0
	.section	.text._ZN7rocprim17ROCPRIM_400000_NS6detail17trampoline_kernelINS0_14default_configENS1_32segmented_reduce_config_selectorIdEEZNS1_21segmented_reduce_implIS3_PKdPdPKldN6hipcub16HIPCUB_304000_NS6detail27convert_result_type_wrapperIS8_S9_N2at6native12_GLOBAL__N_19CustomMinEEEEE10hipError_tPvRmT0_T1_jT2_SQ_T4_T3_P12ihipStream_tbEUlT_E_NS1_11comp_targetILNS1_3genE5ELNS1_11target_archE942ELNS1_3gpuE9ELNS1_3repE0EEENS1_30default_config_static_selectorELNS0_4arch9wavefront6targetE1EEEvSP_,"axG",@progbits,_ZN7rocprim17ROCPRIM_400000_NS6detail17trampoline_kernelINS0_14default_configENS1_32segmented_reduce_config_selectorIdEEZNS1_21segmented_reduce_implIS3_PKdPdPKldN6hipcub16HIPCUB_304000_NS6detail27convert_result_type_wrapperIS8_S9_N2at6native12_GLOBAL__N_19CustomMinEEEEE10hipError_tPvRmT0_T1_jT2_SQ_T4_T3_P12ihipStream_tbEUlT_E_NS1_11comp_targetILNS1_3genE5ELNS1_11target_archE942ELNS1_3gpuE9ELNS1_3repE0EEENS1_30default_config_static_selectorELNS0_4arch9wavefront6targetE1EEEvSP_,comdat
	.globl	_ZN7rocprim17ROCPRIM_400000_NS6detail17trampoline_kernelINS0_14default_configENS1_32segmented_reduce_config_selectorIdEEZNS1_21segmented_reduce_implIS3_PKdPdPKldN6hipcub16HIPCUB_304000_NS6detail27convert_result_type_wrapperIS8_S9_N2at6native12_GLOBAL__N_19CustomMinEEEEE10hipError_tPvRmT0_T1_jT2_SQ_T4_T3_P12ihipStream_tbEUlT_E_NS1_11comp_targetILNS1_3genE5ELNS1_11target_archE942ELNS1_3gpuE9ELNS1_3repE0EEENS1_30default_config_static_selectorELNS0_4arch9wavefront6targetE1EEEvSP_ ; -- Begin function _ZN7rocprim17ROCPRIM_400000_NS6detail17trampoline_kernelINS0_14default_configENS1_32segmented_reduce_config_selectorIdEEZNS1_21segmented_reduce_implIS3_PKdPdPKldN6hipcub16HIPCUB_304000_NS6detail27convert_result_type_wrapperIS8_S9_N2at6native12_GLOBAL__N_19CustomMinEEEEE10hipError_tPvRmT0_T1_jT2_SQ_T4_T3_P12ihipStream_tbEUlT_E_NS1_11comp_targetILNS1_3genE5ELNS1_11target_archE942ELNS1_3gpuE9ELNS1_3repE0EEENS1_30default_config_static_selectorELNS0_4arch9wavefront6targetE1EEEvSP_
	.p2align	8
	.type	_ZN7rocprim17ROCPRIM_400000_NS6detail17trampoline_kernelINS0_14default_configENS1_32segmented_reduce_config_selectorIdEEZNS1_21segmented_reduce_implIS3_PKdPdPKldN6hipcub16HIPCUB_304000_NS6detail27convert_result_type_wrapperIS8_S9_N2at6native12_GLOBAL__N_19CustomMinEEEEE10hipError_tPvRmT0_T1_jT2_SQ_T4_T3_P12ihipStream_tbEUlT_E_NS1_11comp_targetILNS1_3genE5ELNS1_11target_archE942ELNS1_3gpuE9ELNS1_3repE0EEENS1_30default_config_static_selectorELNS0_4arch9wavefront6targetE1EEEvSP_,@function
_ZN7rocprim17ROCPRIM_400000_NS6detail17trampoline_kernelINS0_14default_configENS1_32segmented_reduce_config_selectorIdEEZNS1_21segmented_reduce_implIS3_PKdPdPKldN6hipcub16HIPCUB_304000_NS6detail27convert_result_type_wrapperIS8_S9_N2at6native12_GLOBAL__N_19CustomMinEEEEE10hipError_tPvRmT0_T1_jT2_SQ_T4_T3_P12ihipStream_tbEUlT_E_NS1_11comp_targetILNS1_3genE5ELNS1_11target_archE942ELNS1_3gpuE9ELNS1_3repE0EEENS1_30default_config_static_selectorELNS0_4arch9wavefront6targetE1EEEvSP_: ; @_ZN7rocprim17ROCPRIM_400000_NS6detail17trampoline_kernelINS0_14default_configENS1_32segmented_reduce_config_selectorIdEEZNS1_21segmented_reduce_implIS3_PKdPdPKldN6hipcub16HIPCUB_304000_NS6detail27convert_result_type_wrapperIS8_S9_N2at6native12_GLOBAL__N_19CustomMinEEEEE10hipError_tPvRmT0_T1_jT2_SQ_T4_T3_P12ihipStream_tbEUlT_E_NS1_11comp_targetILNS1_3genE5ELNS1_11target_archE942ELNS1_3gpuE9ELNS1_3repE0EEENS1_30default_config_static_selectorELNS0_4arch9wavefront6targetE1EEEvSP_
; %bb.0:
	.section	.rodata,"a",@progbits
	.p2align	6, 0x0
	.amdhsa_kernel _ZN7rocprim17ROCPRIM_400000_NS6detail17trampoline_kernelINS0_14default_configENS1_32segmented_reduce_config_selectorIdEEZNS1_21segmented_reduce_implIS3_PKdPdPKldN6hipcub16HIPCUB_304000_NS6detail27convert_result_type_wrapperIS8_S9_N2at6native12_GLOBAL__N_19CustomMinEEEEE10hipError_tPvRmT0_T1_jT2_SQ_T4_T3_P12ihipStream_tbEUlT_E_NS1_11comp_targetILNS1_3genE5ELNS1_11target_archE942ELNS1_3gpuE9ELNS1_3repE0EEENS1_30default_config_static_selectorELNS0_4arch9wavefront6targetE1EEEvSP_
		.amdhsa_group_segment_fixed_size 0
		.amdhsa_private_segment_fixed_size 0
		.amdhsa_kernarg_size 56
		.amdhsa_user_sgpr_count 6
		.amdhsa_user_sgpr_private_segment_buffer 1
		.amdhsa_user_sgpr_dispatch_ptr 0
		.amdhsa_user_sgpr_queue_ptr 0
		.amdhsa_user_sgpr_kernarg_segment_ptr 1
		.amdhsa_user_sgpr_dispatch_id 0
		.amdhsa_user_sgpr_flat_scratch_init 0
		.amdhsa_user_sgpr_private_segment_size 0
		.amdhsa_uses_dynamic_stack 0
		.amdhsa_system_sgpr_private_segment_wavefront_offset 0
		.amdhsa_system_sgpr_workgroup_id_x 1
		.amdhsa_system_sgpr_workgroup_id_y 0
		.amdhsa_system_sgpr_workgroup_id_z 0
		.amdhsa_system_sgpr_workgroup_info 0
		.amdhsa_system_vgpr_workitem_id 0
		.amdhsa_next_free_vgpr 1
		.amdhsa_next_free_sgpr 0
		.amdhsa_reserve_vcc 0
		.amdhsa_reserve_flat_scratch 0
		.amdhsa_float_round_mode_32 0
		.amdhsa_float_round_mode_16_64 0
		.amdhsa_float_denorm_mode_32 3
		.amdhsa_float_denorm_mode_16_64 3
		.amdhsa_dx10_clamp 1
		.amdhsa_ieee_mode 1
		.amdhsa_fp16_overflow 0
		.amdhsa_exception_fp_ieee_invalid_op 0
		.amdhsa_exception_fp_denorm_src 0
		.amdhsa_exception_fp_ieee_div_zero 0
		.amdhsa_exception_fp_ieee_overflow 0
		.amdhsa_exception_fp_ieee_underflow 0
		.amdhsa_exception_fp_ieee_inexact 0
		.amdhsa_exception_int_div_zero 0
	.end_amdhsa_kernel
	.section	.text._ZN7rocprim17ROCPRIM_400000_NS6detail17trampoline_kernelINS0_14default_configENS1_32segmented_reduce_config_selectorIdEEZNS1_21segmented_reduce_implIS3_PKdPdPKldN6hipcub16HIPCUB_304000_NS6detail27convert_result_type_wrapperIS8_S9_N2at6native12_GLOBAL__N_19CustomMinEEEEE10hipError_tPvRmT0_T1_jT2_SQ_T4_T3_P12ihipStream_tbEUlT_E_NS1_11comp_targetILNS1_3genE5ELNS1_11target_archE942ELNS1_3gpuE9ELNS1_3repE0EEENS1_30default_config_static_selectorELNS0_4arch9wavefront6targetE1EEEvSP_,"axG",@progbits,_ZN7rocprim17ROCPRIM_400000_NS6detail17trampoline_kernelINS0_14default_configENS1_32segmented_reduce_config_selectorIdEEZNS1_21segmented_reduce_implIS3_PKdPdPKldN6hipcub16HIPCUB_304000_NS6detail27convert_result_type_wrapperIS8_S9_N2at6native12_GLOBAL__N_19CustomMinEEEEE10hipError_tPvRmT0_T1_jT2_SQ_T4_T3_P12ihipStream_tbEUlT_E_NS1_11comp_targetILNS1_3genE5ELNS1_11target_archE942ELNS1_3gpuE9ELNS1_3repE0EEENS1_30default_config_static_selectorELNS0_4arch9wavefront6targetE1EEEvSP_,comdat
.Lfunc_end163:
	.size	_ZN7rocprim17ROCPRIM_400000_NS6detail17trampoline_kernelINS0_14default_configENS1_32segmented_reduce_config_selectorIdEEZNS1_21segmented_reduce_implIS3_PKdPdPKldN6hipcub16HIPCUB_304000_NS6detail27convert_result_type_wrapperIS8_S9_N2at6native12_GLOBAL__N_19CustomMinEEEEE10hipError_tPvRmT0_T1_jT2_SQ_T4_T3_P12ihipStream_tbEUlT_E_NS1_11comp_targetILNS1_3genE5ELNS1_11target_archE942ELNS1_3gpuE9ELNS1_3repE0EEENS1_30default_config_static_selectorELNS0_4arch9wavefront6targetE1EEEvSP_, .Lfunc_end163-_ZN7rocprim17ROCPRIM_400000_NS6detail17trampoline_kernelINS0_14default_configENS1_32segmented_reduce_config_selectorIdEEZNS1_21segmented_reduce_implIS3_PKdPdPKldN6hipcub16HIPCUB_304000_NS6detail27convert_result_type_wrapperIS8_S9_N2at6native12_GLOBAL__N_19CustomMinEEEEE10hipError_tPvRmT0_T1_jT2_SQ_T4_T3_P12ihipStream_tbEUlT_E_NS1_11comp_targetILNS1_3genE5ELNS1_11target_archE942ELNS1_3gpuE9ELNS1_3repE0EEENS1_30default_config_static_selectorELNS0_4arch9wavefront6targetE1EEEvSP_
                                        ; -- End function
	.set _ZN7rocprim17ROCPRIM_400000_NS6detail17trampoline_kernelINS0_14default_configENS1_32segmented_reduce_config_selectorIdEEZNS1_21segmented_reduce_implIS3_PKdPdPKldN6hipcub16HIPCUB_304000_NS6detail27convert_result_type_wrapperIS8_S9_N2at6native12_GLOBAL__N_19CustomMinEEEEE10hipError_tPvRmT0_T1_jT2_SQ_T4_T3_P12ihipStream_tbEUlT_E_NS1_11comp_targetILNS1_3genE5ELNS1_11target_archE942ELNS1_3gpuE9ELNS1_3repE0EEENS1_30default_config_static_selectorELNS0_4arch9wavefront6targetE1EEEvSP_.num_vgpr, 0
	.set _ZN7rocprim17ROCPRIM_400000_NS6detail17trampoline_kernelINS0_14default_configENS1_32segmented_reduce_config_selectorIdEEZNS1_21segmented_reduce_implIS3_PKdPdPKldN6hipcub16HIPCUB_304000_NS6detail27convert_result_type_wrapperIS8_S9_N2at6native12_GLOBAL__N_19CustomMinEEEEE10hipError_tPvRmT0_T1_jT2_SQ_T4_T3_P12ihipStream_tbEUlT_E_NS1_11comp_targetILNS1_3genE5ELNS1_11target_archE942ELNS1_3gpuE9ELNS1_3repE0EEENS1_30default_config_static_selectorELNS0_4arch9wavefront6targetE1EEEvSP_.num_agpr, 0
	.set _ZN7rocprim17ROCPRIM_400000_NS6detail17trampoline_kernelINS0_14default_configENS1_32segmented_reduce_config_selectorIdEEZNS1_21segmented_reduce_implIS3_PKdPdPKldN6hipcub16HIPCUB_304000_NS6detail27convert_result_type_wrapperIS8_S9_N2at6native12_GLOBAL__N_19CustomMinEEEEE10hipError_tPvRmT0_T1_jT2_SQ_T4_T3_P12ihipStream_tbEUlT_E_NS1_11comp_targetILNS1_3genE5ELNS1_11target_archE942ELNS1_3gpuE9ELNS1_3repE0EEENS1_30default_config_static_selectorELNS0_4arch9wavefront6targetE1EEEvSP_.numbered_sgpr, 0
	.set _ZN7rocprim17ROCPRIM_400000_NS6detail17trampoline_kernelINS0_14default_configENS1_32segmented_reduce_config_selectorIdEEZNS1_21segmented_reduce_implIS3_PKdPdPKldN6hipcub16HIPCUB_304000_NS6detail27convert_result_type_wrapperIS8_S9_N2at6native12_GLOBAL__N_19CustomMinEEEEE10hipError_tPvRmT0_T1_jT2_SQ_T4_T3_P12ihipStream_tbEUlT_E_NS1_11comp_targetILNS1_3genE5ELNS1_11target_archE942ELNS1_3gpuE9ELNS1_3repE0EEENS1_30default_config_static_selectorELNS0_4arch9wavefront6targetE1EEEvSP_.num_named_barrier, 0
	.set _ZN7rocprim17ROCPRIM_400000_NS6detail17trampoline_kernelINS0_14default_configENS1_32segmented_reduce_config_selectorIdEEZNS1_21segmented_reduce_implIS3_PKdPdPKldN6hipcub16HIPCUB_304000_NS6detail27convert_result_type_wrapperIS8_S9_N2at6native12_GLOBAL__N_19CustomMinEEEEE10hipError_tPvRmT0_T1_jT2_SQ_T4_T3_P12ihipStream_tbEUlT_E_NS1_11comp_targetILNS1_3genE5ELNS1_11target_archE942ELNS1_3gpuE9ELNS1_3repE0EEENS1_30default_config_static_selectorELNS0_4arch9wavefront6targetE1EEEvSP_.private_seg_size, 0
	.set _ZN7rocprim17ROCPRIM_400000_NS6detail17trampoline_kernelINS0_14default_configENS1_32segmented_reduce_config_selectorIdEEZNS1_21segmented_reduce_implIS3_PKdPdPKldN6hipcub16HIPCUB_304000_NS6detail27convert_result_type_wrapperIS8_S9_N2at6native12_GLOBAL__N_19CustomMinEEEEE10hipError_tPvRmT0_T1_jT2_SQ_T4_T3_P12ihipStream_tbEUlT_E_NS1_11comp_targetILNS1_3genE5ELNS1_11target_archE942ELNS1_3gpuE9ELNS1_3repE0EEENS1_30default_config_static_selectorELNS0_4arch9wavefront6targetE1EEEvSP_.uses_vcc, 0
	.set _ZN7rocprim17ROCPRIM_400000_NS6detail17trampoline_kernelINS0_14default_configENS1_32segmented_reduce_config_selectorIdEEZNS1_21segmented_reduce_implIS3_PKdPdPKldN6hipcub16HIPCUB_304000_NS6detail27convert_result_type_wrapperIS8_S9_N2at6native12_GLOBAL__N_19CustomMinEEEEE10hipError_tPvRmT0_T1_jT2_SQ_T4_T3_P12ihipStream_tbEUlT_E_NS1_11comp_targetILNS1_3genE5ELNS1_11target_archE942ELNS1_3gpuE9ELNS1_3repE0EEENS1_30default_config_static_selectorELNS0_4arch9wavefront6targetE1EEEvSP_.uses_flat_scratch, 0
	.set _ZN7rocprim17ROCPRIM_400000_NS6detail17trampoline_kernelINS0_14default_configENS1_32segmented_reduce_config_selectorIdEEZNS1_21segmented_reduce_implIS3_PKdPdPKldN6hipcub16HIPCUB_304000_NS6detail27convert_result_type_wrapperIS8_S9_N2at6native12_GLOBAL__N_19CustomMinEEEEE10hipError_tPvRmT0_T1_jT2_SQ_T4_T3_P12ihipStream_tbEUlT_E_NS1_11comp_targetILNS1_3genE5ELNS1_11target_archE942ELNS1_3gpuE9ELNS1_3repE0EEENS1_30default_config_static_selectorELNS0_4arch9wavefront6targetE1EEEvSP_.has_dyn_sized_stack, 0
	.set _ZN7rocprim17ROCPRIM_400000_NS6detail17trampoline_kernelINS0_14default_configENS1_32segmented_reduce_config_selectorIdEEZNS1_21segmented_reduce_implIS3_PKdPdPKldN6hipcub16HIPCUB_304000_NS6detail27convert_result_type_wrapperIS8_S9_N2at6native12_GLOBAL__N_19CustomMinEEEEE10hipError_tPvRmT0_T1_jT2_SQ_T4_T3_P12ihipStream_tbEUlT_E_NS1_11comp_targetILNS1_3genE5ELNS1_11target_archE942ELNS1_3gpuE9ELNS1_3repE0EEENS1_30default_config_static_selectorELNS0_4arch9wavefront6targetE1EEEvSP_.has_recursion, 0
	.set _ZN7rocprim17ROCPRIM_400000_NS6detail17trampoline_kernelINS0_14default_configENS1_32segmented_reduce_config_selectorIdEEZNS1_21segmented_reduce_implIS3_PKdPdPKldN6hipcub16HIPCUB_304000_NS6detail27convert_result_type_wrapperIS8_S9_N2at6native12_GLOBAL__N_19CustomMinEEEEE10hipError_tPvRmT0_T1_jT2_SQ_T4_T3_P12ihipStream_tbEUlT_E_NS1_11comp_targetILNS1_3genE5ELNS1_11target_archE942ELNS1_3gpuE9ELNS1_3repE0EEENS1_30default_config_static_selectorELNS0_4arch9wavefront6targetE1EEEvSP_.has_indirect_call, 0
	.section	.AMDGPU.csdata,"",@progbits
; Kernel info:
; codeLenInByte = 0
; TotalNumSgprs: 4
; NumVgprs: 0
; ScratchSize: 0
; MemoryBound: 0
; FloatMode: 240
; IeeeMode: 1
; LDSByteSize: 0 bytes/workgroup (compile time only)
; SGPRBlocks: 0
; VGPRBlocks: 0
; NumSGPRsForWavesPerEU: 4
; NumVGPRsForWavesPerEU: 1
; Occupancy: 10
; WaveLimiterHint : 0
; COMPUTE_PGM_RSRC2:SCRATCH_EN: 0
; COMPUTE_PGM_RSRC2:USER_SGPR: 6
; COMPUTE_PGM_RSRC2:TRAP_HANDLER: 0
; COMPUTE_PGM_RSRC2:TGID_X_EN: 1
; COMPUTE_PGM_RSRC2:TGID_Y_EN: 0
; COMPUTE_PGM_RSRC2:TGID_Z_EN: 0
; COMPUTE_PGM_RSRC2:TIDIG_COMP_CNT: 0
	.section	.text._ZN7rocprim17ROCPRIM_400000_NS6detail17trampoline_kernelINS0_14default_configENS1_32segmented_reduce_config_selectorIdEEZNS1_21segmented_reduce_implIS3_PKdPdPKldN6hipcub16HIPCUB_304000_NS6detail27convert_result_type_wrapperIS8_S9_N2at6native12_GLOBAL__N_19CustomMinEEEEE10hipError_tPvRmT0_T1_jT2_SQ_T4_T3_P12ihipStream_tbEUlT_E_NS1_11comp_targetILNS1_3genE10ELNS1_11target_archE1201ELNS1_3gpuE5ELNS1_3repE0EEENS1_30default_config_static_selectorELNS0_4arch9wavefront6targetE1EEEvSP_,"axG",@progbits,_ZN7rocprim17ROCPRIM_400000_NS6detail17trampoline_kernelINS0_14default_configENS1_32segmented_reduce_config_selectorIdEEZNS1_21segmented_reduce_implIS3_PKdPdPKldN6hipcub16HIPCUB_304000_NS6detail27convert_result_type_wrapperIS8_S9_N2at6native12_GLOBAL__N_19CustomMinEEEEE10hipError_tPvRmT0_T1_jT2_SQ_T4_T3_P12ihipStream_tbEUlT_E_NS1_11comp_targetILNS1_3genE10ELNS1_11target_archE1201ELNS1_3gpuE5ELNS1_3repE0EEENS1_30default_config_static_selectorELNS0_4arch9wavefront6targetE1EEEvSP_,comdat
	.globl	_ZN7rocprim17ROCPRIM_400000_NS6detail17trampoline_kernelINS0_14default_configENS1_32segmented_reduce_config_selectorIdEEZNS1_21segmented_reduce_implIS3_PKdPdPKldN6hipcub16HIPCUB_304000_NS6detail27convert_result_type_wrapperIS8_S9_N2at6native12_GLOBAL__N_19CustomMinEEEEE10hipError_tPvRmT0_T1_jT2_SQ_T4_T3_P12ihipStream_tbEUlT_E_NS1_11comp_targetILNS1_3genE10ELNS1_11target_archE1201ELNS1_3gpuE5ELNS1_3repE0EEENS1_30default_config_static_selectorELNS0_4arch9wavefront6targetE1EEEvSP_ ; -- Begin function _ZN7rocprim17ROCPRIM_400000_NS6detail17trampoline_kernelINS0_14default_configENS1_32segmented_reduce_config_selectorIdEEZNS1_21segmented_reduce_implIS3_PKdPdPKldN6hipcub16HIPCUB_304000_NS6detail27convert_result_type_wrapperIS8_S9_N2at6native12_GLOBAL__N_19CustomMinEEEEE10hipError_tPvRmT0_T1_jT2_SQ_T4_T3_P12ihipStream_tbEUlT_E_NS1_11comp_targetILNS1_3genE10ELNS1_11target_archE1201ELNS1_3gpuE5ELNS1_3repE0EEENS1_30default_config_static_selectorELNS0_4arch9wavefront6targetE1EEEvSP_
	.p2align	8
	.type	_ZN7rocprim17ROCPRIM_400000_NS6detail17trampoline_kernelINS0_14default_configENS1_32segmented_reduce_config_selectorIdEEZNS1_21segmented_reduce_implIS3_PKdPdPKldN6hipcub16HIPCUB_304000_NS6detail27convert_result_type_wrapperIS8_S9_N2at6native12_GLOBAL__N_19CustomMinEEEEE10hipError_tPvRmT0_T1_jT2_SQ_T4_T3_P12ihipStream_tbEUlT_E_NS1_11comp_targetILNS1_3genE10ELNS1_11target_archE1201ELNS1_3gpuE5ELNS1_3repE0EEENS1_30default_config_static_selectorELNS0_4arch9wavefront6targetE1EEEvSP_,@function
_ZN7rocprim17ROCPRIM_400000_NS6detail17trampoline_kernelINS0_14default_configENS1_32segmented_reduce_config_selectorIdEEZNS1_21segmented_reduce_implIS3_PKdPdPKldN6hipcub16HIPCUB_304000_NS6detail27convert_result_type_wrapperIS8_S9_N2at6native12_GLOBAL__N_19CustomMinEEEEE10hipError_tPvRmT0_T1_jT2_SQ_T4_T3_P12ihipStream_tbEUlT_E_NS1_11comp_targetILNS1_3genE10ELNS1_11target_archE1201ELNS1_3gpuE5ELNS1_3repE0EEENS1_30default_config_static_selectorELNS0_4arch9wavefront6targetE1EEEvSP_: ; @_ZN7rocprim17ROCPRIM_400000_NS6detail17trampoline_kernelINS0_14default_configENS1_32segmented_reduce_config_selectorIdEEZNS1_21segmented_reduce_implIS3_PKdPdPKldN6hipcub16HIPCUB_304000_NS6detail27convert_result_type_wrapperIS8_S9_N2at6native12_GLOBAL__N_19CustomMinEEEEE10hipError_tPvRmT0_T1_jT2_SQ_T4_T3_P12ihipStream_tbEUlT_E_NS1_11comp_targetILNS1_3genE10ELNS1_11target_archE1201ELNS1_3gpuE5ELNS1_3repE0EEENS1_30default_config_static_selectorELNS0_4arch9wavefront6targetE1EEEvSP_
; %bb.0:
	.section	.rodata,"a",@progbits
	.p2align	6, 0x0
	.amdhsa_kernel _ZN7rocprim17ROCPRIM_400000_NS6detail17trampoline_kernelINS0_14default_configENS1_32segmented_reduce_config_selectorIdEEZNS1_21segmented_reduce_implIS3_PKdPdPKldN6hipcub16HIPCUB_304000_NS6detail27convert_result_type_wrapperIS8_S9_N2at6native12_GLOBAL__N_19CustomMinEEEEE10hipError_tPvRmT0_T1_jT2_SQ_T4_T3_P12ihipStream_tbEUlT_E_NS1_11comp_targetILNS1_3genE10ELNS1_11target_archE1201ELNS1_3gpuE5ELNS1_3repE0EEENS1_30default_config_static_selectorELNS0_4arch9wavefront6targetE1EEEvSP_
		.amdhsa_group_segment_fixed_size 0
		.amdhsa_private_segment_fixed_size 0
		.amdhsa_kernarg_size 56
		.amdhsa_user_sgpr_count 6
		.amdhsa_user_sgpr_private_segment_buffer 1
		.amdhsa_user_sgpr_dispatch_ptr 0
		.amdhsa_user_sgpr_queue_ptr 0
		.amdhsa_user_sgpr_kernarg_segment_ptr 1
		.amdhsa_user_sgpr_dispatch_id 0
		.amdhsa_user_sgpr_flat_scratch_init 0
		.amdhsa_user_sgpr_private_segment_size 0
		.amdhsa_uses_dynamic_stack 0
		.amdhsa_system_sgpr_private_segment_wavefront_offset 0
		.amdhsa_system_sgpr_workgroup_id_x 1
		.amdhsa_system_sgpr_workgroup_id_y 0
		.amdhsa_system_sgpr_workgroup_id_z 0
		.amdhsa_system_sgpr_workgroup_info 0
		.amdhsa_system_vgpr_workitem_id 0
		.amdhsa_next_free_vgpr 1
		.amdhsa_next_free_sgpr 0
		.amdhsa_reserve_vcc 0
		.amdhsa_reserve_flat_scratch 0
		.amdhsa_float_round_mode_32 0
		.amdhsa_float_round_mode_16_64 0
		.amdhsa_float_denorm_mode_32 3
		.amdhsa_float_denorm_mode_16_64 3
		.amdhsa_dx10_clamp 1
		.amdhsa_ieee_mode 1
		.amdhsa_fp16_overflow 0
		.amdhsa_exception_fp_ieee_invalid_op 0
		.amdhsa_exception_fp_denorm_src 0
		.amdhsa_exception_fp_ieee_div_zero 0
		.amdhsa_exception_fp_ieee_overflow 0
		.amdhsa_exception_fp_ieee_underflow 0
		.amdhsa_exception_fp_ieee_inexact 0
		.amdhsa_exception_int_div_zero 0
	.end_amdhsa_kernel
	.section	.text._ZN7rocprim17ROCPRIM_400000_NS6detail17trampoline_kernelINS0_14default_configENS1_32segmented_reduce_config_selectorIdEEZNS1_21segmented_reduce_implIS3_PKdPdPKldN6hipcub16HIPCUB_304000_NS6detail27convert_result_type_wrapperIS8_S9_N2at6native12_GLOBAL__N_19CustomMinEEEEE10hipError_tPvRmT0_T1_jT2_SQ_T4_T3_P12ihipStream_tbEUlT_E_NS1_11comp_targetILNS1_3genE10ELNS1_11target_archE1201ELNS1_3gpuE5ELNS1_3repE0EEENS1_30default_config_static_selectorELNS0_4arch9wavefront6targetE1EEEvSP_,"axG",@progbits,_ZN7rocprim17ROCPRIM_400000_NS6detail17trampoline_kernelINS0_14default_configENS1_32segmented_reduce_config_selectorIdEEZNS1_21segmented_reduce_implIS3_PKdPdPKldN6hipcub16HIPCUB_304000_NS6detail27convert_result_type_wrapperIS8_S9_N2at6native12_GLOBAL__N_19CustomMinEEEEE10hipError_tPvRmT0_T1_jT2_SQ_T4_T3_P12ihipStream_tbEUlT_E_NS1_11comp_targetILNS1_3genE10ELNS1_11target_archE1201ELNS1_3gpuE5ELNS1_3repE0EEENS1_30default_config_static_selectorELNS0_4arch9wavefront6targetE1EEEvSP_,comdat
.Lfunc_end164:
	.size	_ZN7rocprim17ROCPRIM_400000_NS6detail17trampoline_kernelINS0_14default_configENS1_32segmented_reduce_config_selectorIdEEZNS1_21segmented_reduce_implIS3_PKdPdPKldN6hipcub16HIPCUB_304000_NS6detail27convert_result_type_wrapperIS8_S9_N2at6native12_GLOBAL__N_19CustomMinEEEEE10hipError_tPvRmT0_T1_jT2_SQ_T4_T3_P12ihipStream_tbEUlT_E_NS1_11comp_targetILNS1_3genE10ELNS1_11target_archE1201ELNS1_3gpuE5ELNS1_3repE0EEENS1_30default_config_static_selectorELNS0_4arch9wavefront6targetE1EEEvSP_, .Lfunc_end164-_ZN7rocprim17ROCPRIM_400000_NS6detail17trampoline_kernelINS0_14default_configENS1_32segmented_reduce_config_selectorIdEEZNS1_21segmented_reduce_implIS3_PKdPdPKldN6hipcub16HIPCUB_304000_NS6detail27convert_result_type_wrapperIS8_S9_N2at6native12_GLOBAL__N_19CustomMinEEEEE10hipError_tPvRmT0_T1_jT2_SQ_T4_T3_P12ihipStream_tbEUlT_E_NS1_11comp_targetILNS1_3genE10ELNS1_11target_archE1201ELNS1_3gpuE5ELNS1_3repE0EEENS1_30default_config_static_selectorELNS0_4arch9wavefront6targetE1EEEvSP_
                                        ; -- End function
	.set _ZN7rocprim17ROCPRIM_400000_NS6detail17trampoline_kernelINS0_14default_configENS1_32segmented_reduce_config_selectorIdEEZNS1_21segmented_reduce_implIS3_PKdPdPKldN6hipcub16HIPCUB_304000_NS6detail27convert_result_type_wrapperIS8_S9_N2at6native12_GLOBAL__N_19CustomMinEEEEE10hipError_tPvRmT0_T1_jT2_SQ_T4_T3_P12ihipStream_tbEUlT_E_NS1_11comp_targetILNS1_3genE10ELNS1_11target_archE1201ELNS1_3gpuE5ELNS1_3repE0EEENS1_30default_config_static_selectorELNS0_4arch9wavefront6targetE1EEEvSP_.num_vgpr, 0
	.set _ZN7rocprim17ROCPRIM_400000_NS6detail17trampoline_kernelINS0_14default_configENS1_32segmented_reduce_config_selectorIdEEZNS1_21segmented_reduce_implIS3_PKdPdPKldN6hipcub16HIPCUB_304000_NS6detail27convert_result_type_wrapperIS8_S9_N2at6native12_GLOBAL__N_19CustomMinEEEEE10hipError_tPvRmT0_T1_jT2_SQ_T4_T3_P12ihipStream_tbEUlT_E_NS1_11comp_targetILNS1_3genE10ELNS1_11target_archE1201ELNS1_3gpuE5ELNS1_3repE0EEENS1_30default_config_static_selectorELNS0_4arch9wavefront6targetE1EEEvSP_.num_agpr, 0
	.set _ZN7rocprim17ROCPRIM_400000_NS6detail17trampoline_kernelINS0_14default_configENS1_32segmented_reduce_config_selectorIdEEZNS1_21segmented_reduce_implIS3_PKdPdPKldN6hipcub16HIPCUB_304000_NS6detail27convert_result_type_wrapperIS8_S9_N2at6native12_GLOBAL__N_19CustomMinEEEEE10hipError_tPvRmT0_T1_jT2_SQ_T4_T3_P12ihipStream_tbEUlT_E_NS1_11comp_targetILNS1_3genE10ELNS1_11target_archE1201ELNS1_3gpuE5ELNS1_3repE0EEENS1_30default_config_static_selectorELNS0_4arch9wavefront6targetE1EEEvSP_.numbered_sgpr, 0
	.set _ZN7rocprim17ROCPRIM_400000_NS6detail17trampoline_kernelINS0_14default_configENS1_32segmented_reduce_config_selectorIdEEZNS1_21segmented_reduce_implIS3_PKdPdPKldN6hipcub16HIPCUB_304000_NS6detail27convert_result_type_wrapperIS8_S9_N2at6native12_GLOBAL__N_19CustomMinEEEEE10hipError_tPvRmT0_T1_jT2_SQ_T4_T3_P12ihipStream_tbEUlT_E_NS1_11comp_targetILNS1_3genE10ELNS1_11target_archE1201ELNS1_3gpuE5ELNS1_3repE0EEENS1_30default_config_static_selectorELNS0_4arch9wavefront6targetE1EEEvSP_.num_named_barrier, 0
	.set _ZN7rocprim17ROCPRIM_400000_NS6detail17trampoline_kernelINS0_14default_configENS1_32segmented_reduce_config_selectorIdEEZNS1_21segmented_reduce_implIS3_PKdPdPKldN6hipcub16HIPCUB_304000_NS6detail27convert_result_type_wrapperIS8_S9_N2at6native12_GLOBAL__N_19CustomMinEEEEE10hipError_tPvRmT0_T1_jT2_SQ_T4_T3_P12ihipStream_tbEUlT_E_NS1_11comp_targetILNS1_3genE10ELNS1_11target_archE1201ELNS1_3gpuE5ELNS1_3repE0EEENS1_30default_config_static_selectorELNS0_4arch9wavefront6targetE1EEEvSP_.private_seg_size, 0
	.set _ZN7rocprim17ROCPRIM_400000_NS6detail17trampoline_kernelINS0_14default_configENS1_32segmented_reduce_config_selectorIdEEZNS1_21segmented_reduce_implIS3_PKdPdPKldN6hipcub16HIPCUB_304000_NS6detail27convert_result_type_wrapperIS8_S9_N2at6native12_GLOBAL__N_19CustomMinEEEEE10hipError_tPvRmT0_T1_jT2_SQ_T4_T3_P12ihipStream_tbEUlT_E_NS1_11comp_targetILNS1_3genE10ELNS1_11target_archE1201ELNS1_3gpuE5ELNS1_3repE0EEENS1_30default_config_static_selectorELNS0_4arch9wavefront6targetE1EEEvSP_.uses_vcc, 0
	.set _ZN7rocprim17ROCPRIM_400000_NS6detail17trampoline_kernelINS0_14default_configENS1_32segmented_reduce_config_selectorIdEEZNS1_21segmented_reduce_implIS3_PKdPdPKldN6hipcub16HIPCUB_304000_NS6detail27convert_result_type_wrapperIS8_S9_N2at6native12_GLOBAL__N_19CustomMinEEEEE10hipError_tPvRmT0_T1_jT2_SQ_T4_T3_P12ihipStream_tbEUlT_E_NS1_11comp_targetILNS1_3genE10ELNS1_11target_archE1201ELNS1_3gpuE5ELNS1_3repE0EEENS1_30default_config_static_selectorELNS0_4arch9wavefront6targetE1EEEvSP_.uses_flat_scratch, 0
	.set _ZN7rocprim17ROCPRIM_400000_NS6detail17trampoline_kernelINS0_14default_configENS1_32segmented_reduce_config_selectorIdEEZNS1_21segmented_reduce_implIS3_PKdPdPKldN6hipcub16HIPCUB_304000_NS6detail27convert_result_type_wrapperIS8_S9_N2at6native12_GLOBAL__N_19CustomMinEEEEE10hipError_tPvRmT0_T1_jT2_SQ_T4_T3_P12ihipStream_tbEUlT_E_NS1_11comp_targetILNS1_3genE10ELNS1_11target_archE1201ELNS1_3gpuE5ELNS1_3repE0EEENS1_30default_config_static_selectorELNS0_4arch9wavefront6targetE1EEEvSP_.has_dyn_sized_stack, 0
	.set _ZN7rocprim17ROCPRIM_400000_NS6detail17trampoline_kernelINS0_14default_configENS1_32segmented_reduce_config_selectorIdEEZNS1_21segmented_reduce_implIS3_PKdPdPKldN6hipcub16HIPCUB_304000_NS6detail27convert_result_type_wrapperIS8_S9_N2at6native12_GLOBAL__N_19CustomMinEEEEE10hipError_tPvRmT0_T1_jT2_SQ_T4_T3_P12ihipStream_tbEUlT_E_NS1_11comp_targetILNS1_3genE10ELNS1_11target_archE1201ELNS1_3gpuE5ELNS1_3repE0EEENS1_30default_config_static_selectorELNS0_4arch9wavefront6targetE1EEEvSP_.has_recursion, 0
	.set _ZN7rocprim17ROCPRIM_400000_NS6detail17trampoline_kernelINS0_14default_configENS1_32segmented_reduce_config_selectorIdEEZNS1_21segmented_reduce_implIS3_PKdPdPKldN6hipcub16HIPCUB_304000_NS6detail27convert_result_type_wrapperIS8_S9_N2at6native12_GLOBAL__N_19CustomMinEEEEE10hipError_tPvRmT0_T1_jT2_SQ_T4_T3_P12ihipStream_tbEUlT_E_NS1_11comp_targetILNS1_3genE10ELNS1_11target_archE1201ELNS1_3gpuE5ELNS1_3repE0EEENS1_30default_config_static_selectorELNS0_4arch9wavefront6targetE1EEEvSP_.has_indirect_call, 0
	.section	.AMDGPU.csdata,"",@progbits
; Kernel info:
; codeLenInByte = 0
; TotalNumSgprs: 4
; NumVgprs: 0
; ScratchSize: 0
; MemoryBound: 0
; FloatMode: 240
; IeeeMode: 1
; LDSByteSize: 0 bytes/workgroup (compile time only)
; SGPRBlocks: 0
; VGPRBlocks: 0
; NumSGPRsForWavesPerEU: 4
; NumVGPRsForWavesPerEU: 1
; Occupancy: 10
; WaveLimiterHint : 0
; COMPUTE_PGM_RSRC2:SCRATCH_EN: 0
; COMPUTE_PGM_RSRC2:USER_SGPR: 6
; COMPUTE_PGM_RSRC2:TRAP_HANDLER: 0
; COMPUTE_PGM_RSRC2:TGID_X_EN: 1
; COMPUTE_PGM_RSRC2:TGID_Y_EN: 0
; COMPUTE_PGM_RSRC2:TGID_Z_EN: 0
; COMPUTE_PGM_RSRC2:TIDIG_COMP_CNT: 0
	.section	.text._ZN7rocprim17ROCPRIM_400000_NS6detail17trampoline_kernelINS0_14default_configENS1_32segmented_reduce_config_selectorIdEEZNS1_21segmented_reduce_implIS3_PKdPdPKldN6hipcub16HIPCUB_304000_NS6detail27convert_result_type_wrapperIS8_S9_N2at6native12_GLOBAL__N_19CustomMinEEEEE10hipError_tPvRmT0_T1_jT2_SQ_T4_T3_P12ihipStream_tbEUlT_E_NS1_11comp_targetILNS1_3genE4ELNS1_11target_archE910ELNS1_3gpuE8ELNS1_3repE0EEENS1_30default_config_static_selectorELNS0_4arch9wavefront6targetE1EEEvSP_,"axG",@progbits,_ZN7rocprim17ROCPRIM_400000_NS6detail17trampoline_kernelINS0_14default_configENS1_32segmented_reduce_config_selectorIdEEZNS1_21segmented_reduce_implIS3_PKdPdPKldN6hipcub16HIPCUB_304000_NS6detail27convert_result_type_wrapperIS8_S9_N2at6native12_GLOBAL__N_19CustomMinEEEEE10hipError_tPvRmT0_T1_jT2_SQ_T4_T3_P12ihipStream_tbEUlT_E_NS1_11comp_targetILNS1_3genE4ELNS1_11target_archE910ELNS1_3gpuE8ELNS1_3repE0EEENS1_30default_config_static_selectorELNS0_4arch9wavefront6targetE1EEEvSP_,comdat
	.globl	_ZN7rocprim17ROCPRIM_400000_NS6detail17trampoline_kernelINS0_14default_configENS1_32segmented_reduce_config_selectorIdEEZNS1_21segmented_reduce_implIS3_PKdPdPKldN6hipcub16HIPCUB_304000_NS6detail27convert_result_type_wrapperIS8_S9_N2at6native12_GLOBAL__N_19CustomMinEEEEE10hipError_tPvRmT0_T1_jT2_SQ_T4_T3_P12ihipStream_tbEUlT_E_NS1_11comp_targetILNS1_3genE4ELNS1_11target_archE910ELNS1_3gpuE8ELNS1_3repE0EEENS1_30default_config_static_selectorELNS0_4arch9wavefront6targetE1EEEvSP_ ; -- Begin function _ZN7rocprim17ROCPRIM_400000_NS6detail17trampoline_kernelINS0_14default_configENS1_32segmented_reduce_config_selectorIdEEZNS1_21segmented_reduce_implIS3_PKdPdPKldN6hipcub16HIPCUB_304000_NS6detail27convert_result_type_wrapperIS8_S9_N2at6native12_GLOBAL__N_19CustomMinEEEEE10hipError_tPvRmT0_T1_jT2_SQ_T4_T3_P12ihipStream_tbEUlT_E_NS1_11comp_targetILNS1_3genE4ELNS1_11target_archE910ELNS1_3gpuE8ELNS1_3repE0EEENS1_30default_config_static_selectorELNS0_4arch9wavefront6targetE1EEEvSP_
	.p2align	8
	.type	_ZN7rocprim17ROCPRIM_400000_NS6detail17trampoline_kernelINS0_14default_configENS1_32segmented_reduce_config_selectorIdEEZNS1_21segmented_reduce_implIS3_PKdPdPKldN6hipcub16HIPCUB_304000_NS6detail27convert_result_type_wrapperIS8_S9_N2at6native12_GLOBAL__N_19CustomMinEEEEE10hipError_tPvRmT0_T1_jT2_SQ_T4_T3_P12ihipStream_tbEUlT_E_NS1_11comp_targetILNS1_3genE4ELNS1_11target_archE910ELNS1_3gpuE8ELNS1_3repE0EEENS1_30default_config_static_selectorELNS0_4arch9wavefront6targetE1EEEvSP_,@function
_ZN7rocprim17ROCPRIM_400000_NS6detail17trampoline_kernelINS0_14default_configENS1_32segmented_reduce_config_selectorIdEEZNS1_21segmented_reduce_implIS3_PKdPdPKldN6hipcub16HIPCUB_304000_NS6detail27convert_result_type_wrapperIS8_S9_N2at6native12_GLOBAL__N_19CustomMinEEEEE10hipError_tPvRmT0_T1_jT2_SQ_T4_T3_P12ihipStream_tbEUlT_E_NS1_11comp_targetILNS1_3genE4ELNS1_11target_archE910ELNS1_3gpuE8ELNS1_3repE0EEENS1_30default_config_static_selectorELNS0_4arch9wavefront6targetE1EEEvSP_: ; @_ZN7rocprim17ROCPRIM_400000_NS6detail17trampoline_kernelINS0_14default_configENS1_32segmented_reduce_config_selectorIdEEZNS1_21segmented_reduce_implIS3_PKdPdPKldN6hipcub16HIPCUB_304000_NS6detail27convert_result_type_wrapperIS8_S9_N2at6native12_GLOBAL__N_19CustomMinEEEEE10hipError_tPvRmT0_T1_jT2_SQ_T4_T3_P12ihipStream_tbEUlT_E_NS1_11comp_targetILNS1_3genE4ELNS1_11target_archE910ELNS1_3gpuE8ELNS1_3repE0EEENS1_30default_config_static_selectorELNS0_4arch9wavefront6targetE1EEEvSP_
; %bb.0:
	.section	.rodata,"a",@progbits
	.p2align	6, 0x0
	.amdhsa_kernel _ZN7rocprim17ROCPRIM_400000_NS6detail17trampoline_kernelINS0_14default_configENS1_32segmented_reduce_config_selectorIdEEZNS1_21segmented_reduce_implIS3_PKdPdPKldN6hipcub16HIPCUB_304000_NS6detail27convert_result_type_wrapperIS8_S9_N2at6native12_GLOBAL__N_19CustomMinEEEEE10hipError_tPvRmT0_T1_jT2_SQ_T4_T3_P12ihipStream_tbEUlT_E_NS1_11comp_targetILNS1_3genE4ELNS1_11target_archE910ELNS1_3gpuE8ELNS1_3repE0EEENS1_30default_config_static_selectorELNS0_4arch9wavefront6targetE1EEEvSP_
		.amdhsa_group_segment_fixed_size 0
		.amdhsa_private_segment_fixed_size 0
		.amdhsa_kernarg_size 56
		.amdhsa_user_sgpr_count 6
		.amdhsa_user_sgpr_private_segment_buffer 1
		.amdhsa_user_sgpr_dispatch_ptr 0
		.amdhsa_user_sgpr_queue_ptr 0
		.amdhsa_user_sgpr_kernarg_segment_ptr 1
		.amdhsa_user_sgpr_dispatch_id 0
		.amdhsa_user_sgpr_flat_scratch_init 0
		.amdhsa_user_sgpr_private_segment_size 0
		.amdhsa_uses_dynamic_stack 0
		.amdhsa_system_sgpr_private_segment_wavefront_offset 0
		.amdhsa_system_sgpr_workgroup_id_x 1
		.amdhsa_system_sgpr_workgroup_id_y 0
		.amdhsa_system_sgpr_workgroup_id_z 0
		.amdhsa_system_sgpr_workgroup_info 0
		.amdhsa_system_vgpr_workitem_id 0
		.amdhsa_next_free_vgpr 1
		.amdhsa_next_free_sgpr 0
		.amdhsa_reserve_vcc 0
		.amdhsa_reserve_flat_scratch 0
		.amdhsa_float_round_mode_32 0
		.amdhsa_float_round_mode_16_64 0
		.amdhsa_float_denorm_mode_32 3
		.amdhsa_float_denorm_mode_16_64 3
		.amdhsa_dx10_clamp 1
		.amdhsa_ieee_mode 1
		.amdhsa_fp16_overflow 0
		.amdhsa_exception_fp_ieee_invalid_op 0
		.amdhsa_exception_fp_denorm_src 0
		.amdhsa_exception_fp_ieee_div_zero 0
		.amdhsa_exception_fp_ieee_overflow 0
		.amdhsa_exception_fp_ieee_underflow 0
		.amdhsa_exception_fp_ieee_inexact 0
		.amdhsa_exception_int_div_zero 0
	.end_amdhsa_kernel
	.section	.text._ZN7rocprim17ROCPRIM_400000_NS6detail17trampoline_kernelINS0_14default_configENS1_32segmented_reduce_config_selectorIdEEZNS1_21segmented_reduce_implIS3_PKdPdPKldN6hipcub16HIPCUB_304000_NS6detail27convert_result_type_wrapperIS8_S9_N2at6native12_GLOBAL__N_19CustomMinEEEEE10hipError_tPvRmT0_T1_jT2_SQ_T4_T3_P12ihipStream_tbEUlT_E_NS1_11comp_targetILNS1_3genE4ELNS1_11target_archE910ELNS1_3gpuE8ELNS1_3repE0EEENS1_30default_config_static_selectorELNS0_4arch9wavefront6targetE1EEEvSP_,"axG",@progbits,_ZN7rocprim17ROCPRIM_400000_NS6detail17trampoline_kernelINS0_14default_configENS1_32segmented_reduce_config_selectorIdEEZNS1_21segmented_reduce_implIS3_PKdPdPKldN6hipcub16HIPCUB_304000_NS6detail27convert_result_type_wrapperIS8_S9_N2at6native12_GLOBAL__N_19CustomMinEEEEE10hipError_tPvRmT0_T1_jT2_SQ_T4_T3_P12ihipStream_tbEUlT_E_NS1_11comp_targetILNS1_3genE4ELNS1_11target_archE910ELNS1_3gpuE8ELNS1_3repE0EEENS1_30default_config_static_selectorELNS0_4arch9wavefront6targetE1EEEvSP_,comdat
.Lfunc_end165:
	.size	_ZN7rocprim17ROCPRIM_400000_NS6detail17trampoline_kernelINS0_14default_configENS1_32segmented_reduce_config_selectorIdEEZNS1_21segmented_reduce_implIS3_PKdPdPKldN6hipcub16HIPCUB_304000_NS6detail27convert_result_type_wrapperIS8_S9_N2at6native12_GLOBAL__N_19CustomMinEEEEE10hipError_tPvRmT0_T1_jT2_SQ_T4_T3_P12ihipStream_tbEUlT_E_NS1_11comp_targetILNS1_3genE4ELNS1_11target_archE910ELNS1_3gpuE8ELNS1_3repE0EEENS1_30default_config_static_selectorELNS0_4arch9wavefront6targetE1EEEvSP_, .Lfunc_end165-_ZN7rocprim17ROCPRIM_400000_NS6detail17trampoline_kernelINS0_14default_configENS1_32segmented_reduce_config_selectorIdEEZNS1_21segmented_reduce_implIS3_PKdPdPKldN6hipcub16HIPCUB_304000_NS6detail27convert_result_type_wrapperIS8_S9_N2at6native12_GLOBAL__N_19CustomMinEEEEE10hipError_tPvRmT0_T1_jT2_SQ_T4_T3_P12ihipStream_tbEUlT_E_NS1_11comp_targetILNS1_3genE4ELNS1_11target_archE910ELNS1_3gpuE8ELNS1_3repE0EEENS1_30default_config_static_selectorELNS0_4arch9wavefront6targetE1EEEvSP_
                                        ; -- End function
	.set _ZN7rocprim17ROCPRIM_400000_NS6detail17trampoline_kernelINS0_14default_configENS1_32segmented_reduce_config_selectorIdEEZNS1_21segmented_reduce_implIS3_PKdPdPKldN6hipcub16HIPCUB_304000_NS6detail27convert_result_type_wrapperIS8_S9_N2at6native12_GLOBAL__N_19CustomMinEEEEE10hipError_tPvRmT0_T1_jT2_SQ_T4_T3_P12ihipStream_tbEUlT_E_NS1_11comp_targetILNS1_3genE4ELNS1_11target_archE910ELNS1_3gpuE8ELNS1_3repE0EEENS1_30default_config_static_selectorELNS0_4arch9wavefront6targetE1EEEvSP_.num_vgpr, 0
	.set _ZN7rocprim17ROCPRIM_400000_NS6detail17trampoline_kernelINS0_14default_configENS1_32segmented_reduce_config_selectorIdEEZNS1_21segmented_reduce_implIS3_PKdPdPKldN6hipcub16HIPCUB_304000_NS6detail27convert_result_type_wrapperIS8_S9_N2at6native12_GLOBAL__N_19CustomMinEEEEE10hipError_tPvRmT0_T1_jT2_SQ_T4_T3_P12ihipStream_tbEUlT_E_NS1_11comp_targetILNS1_3genE4ELNS1_11target_archE910ELNS1_3gpuE8ELNS1_3repE0EEENS1_30default_config_static_selectorELNS0_4arch9wavefront6targetE1EEEvSP_.num_agpr, 0
	.set _ZN7rocprim17ROCPRIM_400000_NS6detail17trampoline_kernelINS0_14default_configENS1_32segmented_reduce_config_selectorIdEEZNS1_21segmented_reduce_implIS3_PKdPdPKldN6hipcub16HIPCUB_304000_NS6detail27convert_result_type_wrapperIS8_S9_N2at6native12_GLOBAL__N_19CustomMinEEEEE10hipError_tPvRmT0_T1_jT2_SQ_T4_T3_P12ihipStream_tbEUlT_E_NS1_11comp_targetILNS1_3genE4ELNS1_11target_archE910ELNS1_3gpuE8ELNS1_3repE0EEENS1_30default_config_static_selectorELNS0_4arch9wavefront6targetE1EEEvSP_.numbered_sgpr, 0
	.set _ZN7rocprim17ROCPRIM_400000_NS6detail17trampoline_kernelINS0_14default_configENS1_32segmented_reduce_config_selectorIdEEZNS1_21segmented_reduce_implIS3_PKdPdPKldN6hipcub16HIPCUB_304000_NS6detail27convert_result_type_wrapperIS8_S9_N2at6native12_GLOBAL__N_19CustomMinEEEEE10hipError_tPvRmT0_T1_jT2_SQ_T4_T3_P12ihipStream_tbEUlT_E_NS1_11comp_targetILNS1_3genE4ELNS1_11target_archE910ELNS1_3gpuE8ELNS1_3repE0EEENS1_30default_config_static_selectorELNS0_4arch9wavefront6targetE1EEEvSP_.num_named_barrier, 0
	.set _ZN7rocprim17ROCPRIM_400000_NS6detail17trampoline_kernelINS0_14default_configENS1_32segmented_reduce_config_selectorIdEEZNS1_21segmented_reduce_implIS3_PKdPdPKldN6hipcub16HIPCUB_304000_NS6detail27convert_result_type_wrapperIS8_S9_N2at6native12_GLOBAL__N_19CustomMinEEEEE10hipError_tPvRmT0_T1_jT2_SQ_T4_T3_P12ihipStream_tbEUlT_E_NS1_11comp_targetILNS1_3genE4ELNS1_11target_archE910ELNS1_3gpuE8ELNS1_3repE0EEENS1_30default_config_static_selectorELNS0_4arch9wavefront6targetE1EEEvSP_.private_seg_size, 0
	.set _ZN7rocprim17ROCPRIM_400000_NS6detail17trampoline_kernelINS0_14default_configENS1_32segmented_reduce_config_selectorIdEEZNS1_21segmented_reduce_implIS3_PKdPdPKldN6hipcub16HIPCUB_304000_NS6detail27convert_result_type_wrapperIS8_S9_N2at6native12_GLOBAL__N_19CustomMinEEEEE10hipError_tPvRmT0_T1_jT2_SQ_T4_T3_P12ihipStream_tbEUlT_E_NS1_11comp_targetILNS1_3genE4ELNS1_11target_archE910ELNS1_3gpuE8ELNS1_3repE0EEENS1_30default_config_static_selectorELNS0_4arch9wavefront6targetE1EEEvSP_.uses_vcc, 0
	.set _ZN7rocprim17ROCPRIM_400000_NS6detail17trampoline_kernelINS0_14default_configENS1_32segmented_reduce_config_selectorIdEEZNS1_21segmented_reduce_implIS3_PKdPdPKldN6hipcub16HIPCUB_304000_NS6detail27convert_result_type_wrapperIS8_S9_N2at6native12_GLOBAL__N_19CustomMinEEEEE10hipError_tPvRmT0_T1_jT2_SQ_T4_T3_P12ihipStream_tbEUlT_E_NS1_11comp_targetILNS1_3genE4ELNS1_11target_archE910ELNS1_3gpuE8ELNS1_3repE0EEENS1_30default_config_static_selectorELNS0_4arch9wavefront6targetE1EEEvSP_.uses_flat_scratch, 0
	.set _ZN7rocprim17ROCPRIM_400000_NS6detail17trampoline_kernelINS0_14default_configENS1_32segmented_reduce_config_selectorIdEEZNS1_21segmented_reduce_implIS3_PKdPdPKldN6hipcub16HIPCUB_304000_NS6detail27convert_result_type_wrapperIS8_S9_N2at6native12_GLOBAL__N_19CustomMinEEEEE10hipError_tPvRmT0_T1_jT2_SQ_T4_T3_P12ihipStream_tbEUlT_E_NS1_11comp_targetILNS1_3genE4ELNS1_11target_archE910ELNS1_3gpuE8ELNS1_3repE0EEENS1_30default_config_static_selectorELNS0_4arch9wavefront6targetE1EEEvSP_.has_dyn_sized_stack, 0
	.set _ZN7rocprim17ROCPRIM_400000_NS6detail17trampoline_kernelINS0_14default_configENS1_32segmented_reduce_config_selectorIdEEZNS1_21segmented_reduce_implIS3_PKdPdPKldN6hipcub16HIPCUB_304000_NS6detail27convert_result_type_wrapperIS8_S9_N2at6native12_GLOBAL__N_19CustomMinEEEEE10hipError_tPvRmT0_T1_jT2_SQ_T4_T3_P12ihipStream_tbEUlT_E_NS1_11comp_targetILNS1_3genE4ELNS1_11target_archE910ELNS1_3gpuE8ELNS1_3repE0EEENS1_30default_config_static_selectorELNS0_4arch9wavefront6targetE1EEEvSP_.has_recursion, 0
	.set _ZN7rocprim17ROCPRIM_400000_NS6detail17trampoline_kernelINS0_14default_configENS1_32segmented_reduce_config_selectorIdEEZNS1_21segmented_reduce_implIS3_PKdPdPKldN6hipcub16HIPCUB_304000_NS6detail27convert_result_type_wrapperIS8_S9_N2at6native12_GLOBAL__N_19CustomMinEEEEE10hipError_tPvRmT0_T1_jT2_SQ_T4_T3_P12ihipStream_tbEUlT_E_NS1_11comp_targetILNS1_3genE4ELNS1_11target_archE910ELNS1_3gpuE8ELNS1_3repE0EEENS1_30default_config_static_selectorELNS0_4arch9wavefront6targetE1EEEvSP_.has_indirect_call, 0
	.section	.AMDGPU.csdata,"",@progbits
; Kernel info:
; codeLenInByte = 0
; TotalNumSgprs: 4
; NumVgprs: 0
; ScratchSize: 0
; MemoryBound: 0
; FloatMode: 240
; IeeeMode: 1
; LDSByteSize: 0 bytes/workgroup (compile time only)
; SGPRBlocks: 0
; VGPRBlocks: 0
; NumSGPRsForWavesPerEU: 4
; NumVGPRsForWavesPerEU: 1
; Occupancy: 10
; WaveLimiterHint : 0
; COMPUTE_PGM_RSRC2:SCRATCH_EN: 0
; COMPUTE_PGM_RSRC2:USER_SGPR: 6
; COMPUTE_PGM_RSRC2:TRAP_HANDLER: 0
; COMPUTE_PGM_RSRC2:TGID_X_EN: 1
; COMPUTE_PGM_RSRC2:TGID_Y_EN: 0
; COMPUTE_PGM_RSRC2:TGID_Z_EN: 0
; COMPUTE_PGM_RSRC2:TIDIG_COMP_CNT: 0
	.section	.text._ZN7rocprim17ROCPRIM_400000_NS6detail17trampoline_kernelINS0_14default_configENS1_32segmented_reduce_config_selectorIdEEZNS1_21segmented_reduce_implIS3_PKdPdPKldN6hipcub16HIPCUB_304000_NS6detail27convert_result_type_wrapperIS8_S9_N2at6native12_GLOBAL__N_19CustomMinEEEEE10hipError_tPvRmT0_T1_jT2_SQ_T4_T3_P12ihipStream_tbEUlT_E_NS1_11comp_targetILNS1_3genE3ELNS1_11target_archE908ELNS1_3gpuE7ELNS1_3repE0EEENS1_30default_config_static_selectorELNS0_4arch9wavefront6targetE1EEEvSP_,"axG",@progbits,_ZN7rocprim17ROCPRIM_400000_NS6detail17trampoline_kernelINS0_14default_configENS1_32segmented_reduce_config_selectorIdEEZNS1_21segmented_reduce_implIS3_PKdPdPKldN6hipcub16HIPCUB_304000_NS6detail27convert_result_type_wrapperIS8_S9_N2at6native12_GLOBAL__N_19CustomMinEEEEE10hipError_tPvRmT0_T1_jT2_SQ_T4_T3_P12ihipStream_tbEUlT_E_NS1_11comp_targetILNS1_3genE3ELNS1_11target_archE908ELNS1_3gpuE7ELNS1_3repE0EEENS1_30default_config_static_selectorELNS0_4arch9wavefront6targetE1EEEvSP_,comdat
	.globl	_ZN7rocprim17ROCPRIM_400000_NS6detail17trampoline_kernelINS0_14default_configENS1_32segmented_reduce_config_selectorIdEEZNS1_21segmented_reduce_implIS3_PKdPdPKldN6hipcub16HIPCUB_304000_NS6detail27convert_result_type_wrapperIS8_S9_N2at6native12_GLOBAL__N_19CustomMinEEEEE10hipError_tPvRmT0_T1_jT2_SQ_T4_T3_P12ihipStream_tbEUlT_E_NS1_11comp_targetILNS1_3genE3ELNS1_11target_archE908ELNS1_3gpuE7ELNS1_3repE0EEENS1_30default_config_static_selectorELNS0_4arch9wavefront6targetE1EEEvSP_ ; -- Begin function _ZN7rocprim17ROCPRIM_400000_NS6detail17trampoline_kernelINS0_14default_configENS1_32segmented_reduce_config_selectorIdEEZNS1_21segmented_reduce_implIS3_PKdPdPKldN6hipcub16HIPCUB_304000_NS6detail27convert_result_type_wrapperIS8_S9_N2at6native12_GLOBAL__N_19CustomMinEEEEE10hipError_tPvRmT0_T1_jT2_SQ_T4_T3_P12ihipStream_tbEUlT_E_NS1_11comp_targetILNS1_3genE3ELNS1_11target_archE908ELNS1_3gpuE7ELNS1_3repE0EEENS1_30default_config_static_selectorELNS0_4arch9wavefront6targetE1EEEvSP_
	.p2align	8
	.type	_ZN7rocprim17ROCPRIM_400000_NS6detail17trampoline_kernelINS0_14default_configENS1_32segmented_reduce_config_selectorIdEEZNS1_21segmented_reduce_implIS3_PKdPdPKldN6hipcub16HIPCUB_304000_NS6detail27convert_result_type_wrapperIS8_S9_N2at6native12_GLOBAL__N_19CustomMinEEEEE10hipError_tPvRmT0_T1_jT2_SQ_T4_T3_P12ihipStream_tbEUlT_E_NS1_11comp_targetILNS1_3genE3ELNS1_11target_archE908ELNS1_3gpuE7ELNS1_3repE0EEENS1_30default_config_static_selectorELNS0_4arch9wavefront6targetE1EEEvSP_,@function
_ZN7rocprim17ROCPRIM_400000_NS6detail17trampoline_kernelINS0_14default_configENS1_32segmented_reduce_config_selectorIdEEZNS1_21segmented_reduce_implIS3_PKdPdPKldN6hipcub16HIPCUB_304000_NS6detail27convert_result_type_wrapperIS8_S9_N2at6native12_GLOBAL__N_19CustomMinEEEEE10hipError_tPvRmT0_T1_jT2_SQ_T4_T3_P12ihipStream_tbEUlT_E_NS1_11comp_targetILNS1_3genE3ELNS1_11target_archE908ELNS1_3gpuE7ELNS1_3repE0EEENS1_30default_config_static_selectorELNS0_4arch9wavefront6targetE1EEEvSP_: ; @_ZN7rocprim17ROCPRIM_400000_NS6detail17trampoline_kernelINS0_14default_configENS1_32segmented_reduce_config_selectorIdEEZNS1_21segmented_reduce_implIS3_PKdPdPKldN6hipcub16HIPCUB_304000_NS6detail27convert_result_type_wrapperIS8_S9_N2at6native12_GLOBAL__N_19CustomMinEEEEE10hipError_tPvRmT0_T1_jT2_SQ_T4_T3_P12ihipStream_tbEUlT_E_NS1_11comp_targetILNS1_3genE3ELNS1_11target_archE908ELNS1_3gpuE7ELNS1_3repE0EEENS1_30default_config_static_selectorELNS0_4arch9wavefront6targetE1EEEvSP_
; %bb.0:
	.section	.rodata,"a",@progbits
	.p2align	6, 0x0
	.amdhsa_kernel _ZN7rocprim17ROCPRIM_400000_NS6detail17trampoline_kernelINS0_14default_configENS1_32segmented_reduce_config_selectorIdEEZNS1_21segmented_reduce_implIS3_PKdPdPKldN6hipcub16HIPCUB_304000_NS6detail27convert_result_type_wrapperIS8_S9_N2at6native12_GLOBAL__N_19CustomMinEEEEE10hipError_tPvRmT0_T1_jT2_SQ_T4_T3_P12ihipStream_tbEUlT_E_NS1_11comp_targetILNS1_3genE3ELNS1_11target_archE908ELNS1_3gpuE7ELNS1_3repE0EEENS1_30default_config_static_selectorELNS0_4arch9wavefront6targetE1EEEvSP_
		.amdhsa_group_segment_fixed_size 0
		.amdhsa_private_segment_fixed_size 0
		.amdhsa_kernarg_size 56
		.amdhsa_user_sgpr_count 6
		.amdhsa_user_sgpr_private_segment_buffer 1
		.amdhsa_user_sgpr_dispatch_ptr 0
		.amdhsa_user_sgpr_queue_ptr 0
		.amdhsa_user_sgpr_kernarg_segment_ptr 1
		.amdhsa_user_sgpr_dispatch_id 0
		.amdhsa_user_sgpr_flat_scratch_init 0
		.amdhsa_user_sgpr_private_segment_size 0
		.amdhsa_uses_dynamic_stack 0
		.amdhsa_system_sgpr_private_segment_wavefront_offset 0
		.amdhsa_system_sgpr_workgroup_id_x 1
		.amdhsa_system_sgpr_workgroup_id_y 0
		.amdhsa_system_sgpr_workgroup_id_z 0
		.amdhsa_system_sgpr_workgroup_info 0
		.amdhsa_system_vgpr_workitem_id 0
		.amdhsa_next_free_vgpr 1
		.amdhsa_next_free_sgpr 0
		.amdhsa_reserve_vcc 0
		.amdhsa_reserve_flat_scratch 0
		.amdhsa_float_round_mode_32 0
		.amdhsa_float_round_mode_16_64 0
		.amdhsa_float_denorm_mode_32 3
		.amdhsa_float_denorm_mode_16_64 3
		.amdhsa_dx10_clamp 1
		.amdhsa_ieee_mode 1
		.amdhsa_fp16_overflow 0
		.amdhsa_exception_fp_ieee_invalid_op 0
		.amdhsa_exception_fp_denorm_src 0
		.amdhsa_exception_fp_ieee_div_zero 0
		.amdhsa_exception_fp_ieee_overflow 0
		.amdhsa_exception_fp_ieee_underflow 0
		.amdhsa_exception_fp_ieee_inexact 0
		.amdhsa_exception_int_div_zero 0
	.end_amdhsa_kernel
	.section	.text._ZN7rocprim17ROCPRIM_400000_NS6detail17trampoline_kernelINS0_14default_configENS1_32segmented_reduce_config_selectorIdEEZNS1_21segmented_reduce_implIS3_PKdPdPKldN6hipcub16HIPCUB_304000_NS6detail27convert_result_type_wrapperIS8_S9_N2at6native12_GLOBAL__N_19CustomMinEEEEE10hipError_tPvRmT0_T1_jT2_SQ_T4_T3_P12ihipStream_tbEUlT_E_NS1_11comp_targetILNS1_3genE3ELNS1_11target_archE908ELNS1_3gpuE7ELNS1_3repE0EEENS1_30default_config_static_selectorELNS0_4arch9wavefront6targetE1EEEvSP_,"axG",@progbits,_ZN7rocprim17ROCPRIM_400000_NS6detail17trampoline_kernelINS0_14default_configENS1_32segmented_reduce_config_selectorIdEEZNS1_21segmented_reduce_implIS3_PKdPdPKldN6hipcub16HIPCUB_304000_NS6detail27convert_result_type_wrapperIS8_S9_N2at6native12_GLOBAL__N_19CustomMinEEEEE10hipError_tPvRmT0_T1_jT2_SQ_T4_T3_P12ihipStream_tbEUlT_E_NS1_11comp_targetILNS1_3genE3ELNS1_11target_archE908ELNS1_3gpuE7ELNS1_3repE0EEENS1_30default_config_static_selectorELNS0_4arch9wavefront6targetE1EEEvSP_,comdat
.Lfunc_end166:
	.size	_ZN7rocprim17ROCPRIM_400000_NS6detail17trampoline_kernelINS0_14default_configENS1_32segmented_reduce_config_selectorIdEEZNS1_21segmented_reduce_implIS3_PKdPdPKldN6hipcub16HIPCUB_304000_NS6detail27convert_result_type_wrapperIS8_S9_N2at6native12_GLOBAL__N_19CustomMinEEEEE10hipError_tPvRmT0_T1_jT2_SQ_T4_T3_P12ihipStream_tbEUlT_E_NS1_11comp_targetILNS1_3genE3ELNS1_11target_archE908ELNS1_3gpuE7ELNS1_3repE0EEENS1_30default_config_static_selectorELNS0_4arch9wavefront6targetE1EEEvSP_, .Lfunc_end166-_ZN7rocprim17ROCPRIM_400000_NS6detail17trampoline_kernelINS0_14default_configENS1_32segmented_reduce_config_selectorIdEEZNS1_21segmented_reduce_implIS3_PKdPdPKldN6hipcub16HIPCUB_304000_NS6detail27convert_result_type_wrapperIS8_S9_N2at6native12_GLOBAL__N_19CustomMinEEEEE10hipError_tPvRmT0_T1_jT2_SQ_T4_T3_P12ihipStream_tbEUlT_E_NS1_11comp_targetILNS1_3genE3ELNS1_11target_archE908ELNS1_3gpuE7ELNS1_3repE0EEENS1_30default_config_static_selectorELNS0_4arch9wavefront6targetE1EEEvSP_
                                        ; -- End function
	.set _ZN7rocprim17ROCPRIM_400000_NS6detail17trampoline_kernelINS0_14default_configENS1_32segmented_reduce_config_selectorIdEEZNS1_21segmented_reduce_implIS3_PKdPdPKldN6hipcub16HIPCUB_304000_NS6detail27convert_result_type_wrapperIS8_S9_N2at6native12_GLOBAL__N_19CustomMinEEEEE10hipError_tPvRmT0_T1_jT2_SQ_T4_T3_P12ihipStream_tbEUlT_E_NS1_11comp_targetILNS1_3genE3ELNS1_11target_archE908ELNS1_3gpuE7ELNS1_3repE0EEENS1_30default_config_static_selectorELNS0_4arch9wavefront6targetE1EEEvSP_.num_vgpr, 0
	.set _ZN7rocprim17ROCPRIM_400000_NS6detail17trampoline_kernelINS0_14default_configENS1_32segmented_reduce_config_selectorIdEEZNS1_21segmented_reduce_implIS3_PKdPdPKldN6hipcub16HIPCUB_304000_NS6detail27convert_result_type_wrapperIS8_S9_N2at6native12_GLOBAL__N_19CustomMinEEEEE10hipError_tPvRmT0_T1_jT2_SQ_T4_T3_P12ihipStream_tbEUlT_E_NS1_11comp_targetILNS1_3genE3ELNS1_11target_archE908ELNS1_3gpuE7ELNS1_3repE0EEENS1_30default_config_static_selectorELNS0_4arch9wavefront6targetE1EEEvSP_.num_agpr, 0
	.set _ZN7rocprim17ROCPRIM_400000_NS6detail17trampoline_kernelINS0_14default_configENS1_32segmented_reduce_config_selectorIdEEZNS1_21segmented_reduce_implIS3_PKdPdPKldN6hipcub16HIPCUB_304000_NS6detail27convert_result_type_wrapperIS8_S9_N2at6native12_GLOBAL__N_19CustomMinEEEEE10hipError_tPvRmT0_T1_jT2_SQ_T4_T3_P12ihipStream_tbEUlT_E_NS1_11comp_targetILNS1_3genE3ELNS1_11target_archE908ELNS1_3gpuE7ELNS1_3repE0EEENS1_30default_config_static_selectorELNS0_4arch9wavefront6targetE1EEEvSP_.numbered_sgpr, 0
	.set _ZN7rocprim17ROCPRIM_400000_NS6detail17trampoline_kernelINS0_14default_configENS1_32segmented_reduce_config_selectorIdEEZNS1_21segmented_reduce_implIS3_PKdPdPKldN6hipcub16HIPCUB_304000_NS6detail27convert_result_type_wrapperIS8_S9_N2at6native12_GLOBAL__N_19CustomMinEEEEE10hipError_tPvRmT0_T1_jT2_SQ_T4_T3_P12ihipStream_tbEUlT_E_NS1_11comp_targetILNS1_3genE3ELNS1_11target_archE908ELNS1_3gpuE7ELNS1_3repE0EEENS1_30default_config_static_selectorELNS0_4arch9wavefront6targetE1EEEvSP_.num_named_barrier, 0
	.set _ZN7rocprim17ROCPRIM_400000_NS6detail17trampoline_kernelINS0_14default_configENS1_32segmented_reduce_config_selectorIdEEZNS1_21segmented_reduce_implIS3_PKdPdPKldN6hipcub16HIPCUB_304000_NS6detail27convert_result_type_wrapperIS8_S9_N2at6native12_GLOBAL__N_19CustomMinEEEEE10hipError_tPvRmT0_T1_jT2_SQ_T4_T3_P12ihipStream_tbEUlT_E_NS1_11comp_targetILNS1_3genE3ELNS1_11target_archE908ELNS1_3gpuE7ELNS1_3repE0EEENS1_30default_config_static_selectorELNS0_4arch9wavefront6targetE1EEEvSP_.private_seg_size, 0
	.set _ZN7rocprim17ROCPRIM_400000_NS6detail17trampoline_kernelINS0_14default_configENS1_32segmented_reduce_config_selectorIdEEZNS1_21segmented_reduce_implIS3_PKdPdPKldN6hipcub16HIPCUB_304000_NS6detail27convert_result_type_wrapperIS8_S9_N2at6native12_GLOBAL__N_19CustomMinEEEEE10hipError_tPvRmT0_T1_jT2_SQ_T4_T3_P12ihipStream_tbEUlT_E_NS1_11comp_targetILNS1_3genE3ELNS1_11target_archE908ELNS1_3gpuE7ELNS1_3repE0EEENS1_30default_config_static_selectorELNS0_4arch9wavefront6targetE1EEEvSP_.uses_vcc, 0
	.set _ZN7rocprim17ROCPRIM_400000_NS6detail17trampoline_kernelINS0_14default_configENS1_32segmented_reduce_config_selectorIdEEZNS1_21segmented_reduce_implIS3_PKdPdPKldN6hipcub16HIPCUB_304000_NS6detail27convert_result_type_wrapperIS8_S9_N2at6native12_GLOBAL__N_19CustomMinEEEEE10hipError_tPvRmT0_T1_jT2_SQ_T4_T3_P12ihipStream_tbEUlT_E_NS1_11comp_targetILNS1_3genE3ELNS1_11target_archE908ELNS1_3gpuE7ELNS1_3repE0EEENS1_30default_config_static_selectorELNS0_4arch9wavefront6targetE1EEEvSP_.uses_flat_scratch, 0
	.set _ZN7rocprim17ROCPRIM_400000_NS6detail17trampoline_kernelINS0_14default_configENS1_32segmented_reduce_config_selectorIdEEZNS1_21segmented_reduce_implIS3_PKdPdPKldN6hipcub16HIPCUB_304000_NS6detail27convert_result_type_wrapperIS8_S9_N2at6native12_GLOBAL__N_19CustomMinEEEEE10hipError_tPvRmT0_T1_jT2_SQ_T4_T3_P12ihipStream_tbEUlT_E_NS1_11comp_targetILNS1_3genE3ELNS1_11target_archE908ELNS1_3gpuE7ELNS1_3repE0EEENS1_30default_config_static_selectorELNS0_4arch9wavefront6targetE1EEEvSP_.has_dyn_sized_stack, 0
	.set _ZN7rocprim17ROCPRIM_400000_NS6detail17trampoline_kernelINS0_14default_configENS1_32segmented_reduce_config_selectorIdEEZNS1_21segmented_reduce_implIS3_PKdPdPKldN6hipcub16HIPCUB_304000_NS6detail27convert_result_type_wrapperIS8_S9_N2at6native12_GLOBAL__N_19CustomMinEEEEE10hipError_tPvRmT0_T1_jT2_SQ_T4_T3_P12ihipStream_tbEUlT_E_NS1_11comp_targetILNS1_3genE3ELNS1_11target_archE908ELNS1_3gpuE7ELNS1_3repE0EEENS1_30default_config_static_selectorELNS0_4arch9wavefront6targetE1EEEvSP_.has_recursion, 0
	.set _ZN7rocprim17ROCPRIM_400000_NS6detail17trampoline_kernelINS0_14default_configENS1_32segmented_reduce_config_selectorIdEEZNS1_21segmented_reduce_implIS3_PKdPdPKldN6hipcub16HIPCUB_304000_NS6detail27convert_result_type_wrapperIS8_S9_N2at6native12_GLOBAL__N_19CustomMinEEEEE10hipError_tPvRmT0_T1_jT2_SQ_T4_T3_P12ihipStream_tbEUlT_E_NS1_11comp_targetILNS1_3genE3ELNS1_11target_archE908ELNS1_3gpuE7ELNS1_3repE0EEENS1_30default_config_static_selectorELNS0_4arch9wavefront6targetE1EEEvSP_.has_indirect_call, 0
	.section	.AMDGPU.csdata,"",@progbits
; Kernel info:
; codeLenInByte = 0
; TotalNumSgprs: 4
; NumVgprs: 0
; ScratchSize: 0
; MemoryBound: 0
; FloatMode: 240
; IeeeMode: 1
; LDSByteSize: 0 bytes/workgroup (compile time only)
; SGPRBlocks: 0
; VGPRBlocks: 0
; NumSGPRsForWavesPerEU: 4
; NumVGPRsForWavesPerEU: 1
; Occupancy: 10
; WaveLimiterHint : 0
; COMPUTE_PGM_RSRC2:SCRATCH_EN: 0
; COMPUTE_PGM_RSRC2:USER_SGPR: 6
; COMPUTE_PGM_RSRC2:TRAP_HANDLER: 0
; COMPUTE_PGM_RSRC2:TGID_X_EN: 1
; COMPUTE_PGM_RSRC2:TGID_Y_EN: 0
; COMPUTE_PGM_RSRC2:TGID_Z_EN: 0
; COMPUTE_PGM_RSRC2:TIDIG_COMP_CNT: 0
	.section	.text._ZN7rocprim17ROCPRIM_400000_NS6detail17trampoline_kernelINS0_14default_configENS1_32segmented_reduce_config_selectorIdEEZNS1_21segmented_reduce_implIS3_PKdPdPKldN6hipcub16HIPCUB_304000_NS6detail27convert_result_type_wrapperIS8_S9_N2at6native12_GLOBAL__N_19CustomMinEEEEE10hipError_tPvRmT0_T1_jT2_SQ_T4_T3_P12ihipStream_tbEUlT_E_NS1_11comp_targetILNS1_3genE2ELNS1_11target_archE906ELNS1_3gpuE6ELNS1_3repE0EEENS1_30default_config_static_selectorELNS0_4arch9wavefront6targetE1EEEvSP_,"axG",@progbits,_ZN7rocprim17ROCPRIM_400000_NS6detail17trampoline_kernelINS0_14default_configENS1_32segmented_reduce_config_selectorIdEEZNS1_21segmented_reduce_implIS3_PKdPdPKldN6hipcub16HIPCUB_304000_NS6detail27convert_result_type_wrapperIS8_S9_N2at6native12_GLOBAL__N_19CustomMinEEEEE10hipError_tPvRmT0_T1_jT2_SQ_T4_T3_P12ihipStream_tbEUlT_E_NS1_11comp_targetILNS1_3genE2ELNS1_11target_archE906ELNS1_3gpuE6ELNS1_3repE0EEENS1_30default_config_static_selectorELNS0_4arch9wavefront6targetE1EEEvSP_,comdat
	.globl	_ZN7rocprim17ROCPRIM_400000_NS6detail17trampoline_kernelINS0_14default_configENS1_32segmented_reduce_config_selectorIdEEZNS1_21segmented_reduce_implIS3_PKdPdPKldN6hipcub16HIPCUB_304000_NS6detail27convert_result_type_wrapperIS8_S9_N2at6native12_GLOBAL__N_19CustomMinEEEEE10hipError_tPvRmT0_T1_jT2_SQ_T4_T3_P12ihipStream_tbEUlT_E_NS1_11comp_targetILNS1_3genE2ELNS1_11target_archE906ELNS1_3gpuE6ELNS1_3repE0EEENS1_30default_config_static_selectorELNS0_4arch9wavefront6targetE1EEEvSP_ ; -- Begin function _ZN7rocprim17ROCPRIM_400000_NS6detail17trampoline_kernelINS0_14default_configENS1_32segmented_reduce_config_selectorIdEEZNS1_21segmented_reduce_implIS3_PKdPdPKldN6hipcub16HIPCUB_304000_NS6detail27convert_result_type_wrapperIS8_S9_N2at6native12_GLOBAL__N_19CustomMinEEEEE10hipError_tPvRmT0_T1_jT2_SQ_T4_T3_P12ihipStream_tbEUlT_E_NS1_11comp_targetILNS1_3genE2ELNS1_11target_archE906ELNS1_3gpuE6ELNS1_3repE0EEENS1_30default_config_static_selectorELNS0_4arch9wavefront6targetE1EEEvSP_
	.p2align	8
	.type	_ZN7rocprim17ROCPRIM_400000_NS6detail17trampoline_kernelINS0_14default_configENS1_32segmented_reduce_config_selectorIdEEZNS1_21segmented_reduce_implIS3_PKdPdPKldN6hipcub16HIPCUB_304000_NS6detail27convert_result_type_wrapperIS8_S9_N2at6native12_GLOBAL__N_19CustomMinEEEEE10hipError_tPvRmT0_T1_jT2_SQ_T4_T3_P12ihipStream_tbEUlT_E_NS1_11comp_targetILNS1_3genE2ELNS1_11target_archE906ELNS1_3gpuE6ELNS1_3repE0EEENS1_30default_config_static_selectorELNS0_4arch9wavefront6targetE1EEEvSP_,@function
_ZN7rocprim17ROCPRIM_400000_NS6detail17trampoline_kernelINS0_14default_configENS1_32segmented_reduce_config_selectorIdEEZNS1_21segmented_reduce_implIS3_PKdPdPKldN6hipcub16HIPCUB_304000_NS6detail27convert_result_type_wrapperIS8_S9_N2at6native12_GLOBAL__N_19CustomMinEEEEE10hipError_tPvRmT0_T1_jT2_SQ_T4_T3_P12ihipStream_tbEUlT_E_NS1_11comp_targetILNS1_3genE2ELNS1_11target_archE906ELNS1_3gpuE6ELNS1_3repE0EEENS1_30default_config_static_selectorELNS0_4arch9wavefront6targetE1EEEvSP_: ; @_ZN7rocprim17ROCPRIM_400000_NS6detail17trampoline_kernelINS0_14default_configENS1_32segmented_reduce_config_selectorIdEEZNS1_21segmented_reduce_implIS3_PKdPdPKldN6hipcub16HIPCUB_304000_NS6detail27convert_result_type_wrapperIS8_S9_N2at6native12_GLOBAL__N_19CustomMinEEEEE10hipError_tPvRmT0_T1_jT2_SQ_T4_T3_P12ihipStream_tbEUlT_E_NS1_11comp_targetILNS1_3genE2ELNS1_11target_archE906ELNS1_3gpuE6ELNS1_3repE0EEENS1_30default_config_static_selectorELNS0_4arch9wavefront6targetE1EEEvSP_
; %bb.0:
	s_load_dwordx8 s[8:15], s[4:5], 0x0
	s_load_dwordx2 s[0:1], s[4:5], 0x20
	s_load_dwordx2 s[16:17], s[4:5], 0x30
	s_mov_b32 s7, 0
	s_waitcnt lgkmcnt(0)
	s_lshl_b64 s[2:3], s[12:13], 3
	s_add_u32 s12, s14, s2
	s_addc_u32 s13, s15, s3
	s_add_u32 s18, s0, s2
	s_addc_u32 s19, s1, s3
	s_lshl_b64 s[4:5], s[6:7], 3
	s_add_u32 s0, s12, s4
	s_addc_u32 s1, s13, s5
	s_load_dwordx2 s[14:15], s[0:1], 0x0
	s_add_u32 s0, s18, s4
	s_addc_u32 s1, s19, s5
	s_load_dwordx2 s[12:13], s[0:1], 0x0
	v_cmp_eq_u32_e64 s[0:1], 0, v0
	s_waitcnt lgkmcnt(0)
	v_mov_b32_e32 v1, s14
	v_mov_b32_e32 v2, s15
	v_cmp_gt_i64_e32 vcc, s[12:13], v[1:2]
	s_cbranch_vccnz .LBB167_3
; %bb.1:
	s_and_b64 s[6:7], s[0:1], exec
	s_cbranch_execz .LBB167_4
; %bb.2:
	v_mov_b32_e32 v3, s16
	v_mov_b32_e32 v4, s17
	s_and_saveexec_b64 s[0:1], s[6:7]
	s_cbranch_execnz .LBB167_261
	s_branch .LBB167_262
.LBB167_3:
	s_mov_b64 s[6:7], 0
.LBB167_4:
	s_add_u32 s0, s14, 0x800
	v_mov_b32_e32 v1, s12
	s_addc_u32 s1, s15, 0
	v_mov_b32_e32 v2, s13
	v_cmp_le_i64_e32 vcc, s[0:1], v[1:2]
	s_cbranch_vccz .LBB167_12
; %bb.5:
	s_lshl_b64 s[18:19], s[14:15], 3
	s_add_u32 s20, s8, s18
	s_addc_u32 s21, s9, s19
	v_lshlrev_b32_e32 v23, 3, v0
	v_mov_b32_e32 v1, s21
	v_add_co_u32_e32 v3, vcc, s20, v23
	v_addc_co_u32_e32 v4, vcc, 0, v1, vcc
	v_add_co_u32_e32 v1, vcc, 0x1000, v3
	v_addc_co_u32_e32 v2, vcc, 0, v4, vcc
	global_load_dwordx2 v[17:18], v23, s[20:21]
	global_load_dwordx2 v[15:16], v23, s[20:21] offset:2048
	global_load_dwordx2 v[13:14], v[1:2], off
	global_load_dwordx2 v[11:12], v[1:2], off offset:2048
	v_add_co_u32_e32 v9, vcc, 0x2000, v3
	v_addc_co_u32_e32 v10, vcc, 0, v4, vcc
	v_add_co_u32_e32 v19, vcc, 0x3000, v3
	v_addc_co_u32_e32 v20, vcc, 0, v4, vcc
	global_load_dwordx2 v[7:8], v[9:10], off
	global_load_dwordx2 v[5:6], v[9:10], off offset:2048
	global_load_dwordx2 v[3:4], v[19:20], off
	global_load_dwordx2 v[1:2], v[19:20], off offset:2048
	s_waitcnt vmcnt(7)
	v_cmp_o_f64_e32 vcc, v[17:18], v[17:18]
	v_mov_b32_e32 v9, v17
	v_mov_b32_e32 v10, v18
	s_and_saveexec_b64 s[20:21], vcc
	s_cbranch_execnz .LBB167_13
; %bb.6:
	s_or_b64 exec, exec, s[20:21]
	v_cmp_o_f64_e32 vcc, v[9:10], v[9:10]
	s_and_saveexec_b64 s[20:21], vcc
	s_cbranch_execnz .LBB167_16
.LBB167_7:
	s_or_b64 exec, exec, s[20:21]
	v_cmp_o_f64_e32 vcc, v[9:10], v[9:10]
	s_and_saveexec_b64 s[20:21], vcc
	s_cbranch_execnz .LBB167_19
.LBB167_8:
	s_or_b64 exec, exec, s[20:21]
	v_cmp_o_f64_e32 vcc, v[9:10], v[9:10]
	s_and_saveexec_b64 s[20:21], vcc
	s_cbranch_execnz .LBB167_22
.LBB167_9:
	s_or_b64 exec, exec, s[20:21]
	v_cmp_o_f64_e32 vcc, v[9:10], v[9:10]
	s_and_saveexec_b64 s[20:21], vcc
	s_cbranch_execnz .LBB167_25
.LBB167_10:
	s_or_b64 exec, exec, s[20:21]
	v_cmp_o_f64_e32 vcc, v[9:10], v[9:10]
	s_and_saveexec_b64 s[20:21], vcc
	s_cbranch_execnz .LBB167_28
.LBB167_11:
	s_or_b64 exec, exec, s[20:21]
	v_cmp_o_f64_e32 vcc, v[9:10], v[9:10]
	s_and_saveexec_b64 s[20:21], vcc
	s_cbranch_execnz .LBB167_31
	s_branch .LBB167_34
.LBB167_12:
                                        ; implicit-def: $vgpr1_vgpr2
	s_cbranch_execnz .LBB167_156
	s_branch .LBB167_254
.LBB167_13:
	s_waitcnt vmcnt(6)
	v_cmp_o_f64_e32 vcc, v[15:16], v[15:16]
	v_mov_b32_e32 v9, v15
	v_mov_b32_e32 v10, v16
	s_and_saveexec_b64 s[22:23], vcc
	s_cbranch_execz .LBB167_15
; %bb.14:
	v_cmp_lt_f64_e32 vcc, v[15:16], v[17:18]
	v_cndmask_b32_e32 v10, v18, v16, vcc
	v_cndmask_b32_e32 v9, v17, v15, vcc
.LBB167_15:
	s_or_b64 exec, exec, s[22:23]
	s_or_b64 exec, exec, s[20:21]
	v_cmp_o_f64_e32 vcc, v[9:10], v[9:10]
	s_and_saveexec_b64 s[20:21], vcc
	s_cbranch_execz .LBB167_7
.LBB167_16:
	s_waitcnt vmcnt(5)
	v_cmp_o_f64_e32 vcc, v[13:14], v[13:14]
	v_mov_b32_e32 v20, v14
	v_mov_b32_e32 v19, v13
	s_and_saveexec_b64 s[22:23], vcc
	s_cbranch_execz .LBB167_18
; %bb.17:
	v_cmp_lt_f64_e32 vcc, v[13:14], v[9:10]
	v_cndmask_b32_e32 v20, v10, v14, vcc
	v_cndmask_b32_e32 v19, v9, v13, vcc
.LBB167_18:
	s_or_b64 exec, exec, s[22:23]
	v_mov_b32_e32 v9, v19
	v_mov_b32_e32 v10, v20
	s_or_b64 exec, exec, s[20:21]
	v_cmp_o_f64_e32 vcc, v[9:10], v[9:10]
	s_and_saveexec_b64 s[20:21], vcc
	s_cbranch_execz .LBB167_8
.LBB167_19:
	s_waitcnt vmcnt(4)
	v_cmp_o_f64_e32 vcc, v[11:12], v[11:12]
	v_mov_b32_e32 v20, v12
	v_mov_b32_e32 v19, v11
	s_and_saveexec_b64 s[22:23], vcc
	s_cbranch_execz .LBB167_21
; %bb.20:
	v_cmp_lt_f64_e32 vcc, v[11:12], v[9:10]
	v_cndmask_b32_e32 v20, v10, v12, vcc
	v_cndmask_b32_e32 v19, v9, v11, vcc
.LBB167_21:
	s_or_b64 exec, exec, s[22:23]
	v_mov_b32_e32 v9, v19
	v_mov_b32_e32 v10, v20
	s_or_b64 exec, exec, s[20:21]
	v_cmp_o_f64_e32 vcc, v[9:10], v[9:10]
	s_and_saveexec_b64 s[20:21], vcc
	s_cbranch_execz .LBB167_9
.LBB167_22:
	s_waitcnt vmcnt(3)
	v_cmp_o_f64_e32 vcc, v[7:8], v[7:8]
	v_mov_b32_e32 v20, v8
	v_mov_b32_e32 v19, v7
	s_and_saveexec_b64 s[22:23], vcc
	s_cbranch_execz .LBB167_24
; %bb.23:
	v_cmp_lt_f64_e32 vcc, v[7:8], v[9:10]
	v_cndmask_b32_e32 v20, v10, v8, vcc
	v_cndmask_b32_e32 v19, v9, v7, vcc
.LBB167_24:
	s_or_b64 exec, exec, s[22:23]
	v_mov_b32_e32 v9, v19
	v_mov_b32_e32 v10, v20
	s_or_b64 exec, exec, s[20:21]
	v_cmp_o_f64_e32 vcc, v[9:10], v[9:10]
	s_and_saveexec_b64 s[20:21], vcc
	s_cbranch_execz .LBB167_10
.LBB167_25:
	s_waitcnt vmcnt(2)
	v_cmp_o_f64_e32 vcc, v[5:6], v[5:6]
	v_mov_b32_e32 v20, v6
	v_mov_b32_e32 v19, v5
	s_and_saveexec_b64 s[22:23], vcc
	s_cbranch_execz .LBB167_27
; %bb.26:
	v_cmp_lt_f64_e32 vcc, v[5:6], v[9:10]
	v_cndmask_b32_e32 v20, v10, v6, vcc
	v_cndmask_b32_e32 v19, v9, v5, vcc
.LBB167_27:
	s_or_b64 exec, exec, s[22:23]
	v_mov_b32_e32 v9, v19
	v_mov_b32_e32 v10, v20
	s_or_b64 exec, exec, s[20:21]
	v_cmp_o_f64_e32 vcc, v[9:10], v[9:10]
	s_and_saveexec_b64 s[20:21], vcc
	s_cbranch_execz .LBB167_11
.LBB167_28:
	s_waitcnt vmcnt(1)
	v_cmp_o_f64_e32 vcc, v[3:4], v[3:4]
	v_mov_b32_e32 v20, v4
	v_mov_b32_e32 v19, v3
	s_and_saveexec_b64 s[22:23], vcc
	s_cbranch_execz .LBB167_30
; %bb.29:
	v_cmp_lt_f64_e32 vcc, v[3:4], v[9:10]
	v_cndmask_b32_e32 v20, v10, v4, vcc
	v_cndmask_b32_e32 v19, v9, v3, vcc
.LBB167_30:
	s_or_b64 exec, exec, s[22:23]
	v_mov_b32_e32 v9, v19
	v_mov_b32_e32 v10, v20
	s_or_b64 exec, exec, s[20:21]
	v_cmp_o_f64_e32 vcc, v[9:10], v[9:10]
	s_and_saveexec_b64 s[20:21], vcc
	s_cbranch_execz .LBB167_34
.LBB167_31:
	s_waitcnt vmcnt(0)
	v_cmp_o_f64_e32 vcc, v[1:2], v[1:2]
	v_mov_b32_e32 v20, v2
	v_mov_b32_e32 v19, v1
	s_and_saveexec_b64 s[22:23], vcc
	s_cbranch_execz .LBB167_33
; %bb.32:
	v_cmp_lt_f64_e32 vcc, v[1:2], v[9:10]
	v_cndmask_b32_e32 v20, v10, v2, vcc
	v_cndmask_b32_e32 v19, v9, v1, vcc
.LBB167_33:
	s_or_b64 exec, exec, s[22:23]
	v_mov_b32_e32 v9, v19
	v_mov_b32_e32 v10, v20
.LBB167_34:
	s_or_b64 exec, exec, s[20:21]
	s_add_u32 s20, s14, 0x1000
	v_mov_b32_e32 v20, s13
	s_addc_u32 s21, s15, 0
	v_mov_b32_e32 v19, s12
	v_cmp_ge_i64_e32 vcc, s[20:21], v[19:20]
	s_cbranch_vccnz .LBB167_71
; %bb.35:
	s_add_u32 s18, s8, s18
	s_addc_u32 s19, s9, s19
	s_waitcnt vmcnt(0)
	v_mov_b32_e32 v1, s19
	v_add_co_u32_e32 v2, vcc, s18, v23
	v_addc_co_u32_e32 v1, vcc, 0, v1, vcc
	v_add_co_u32_e32 v19, vcc, 0x4000, v2
	v_addc_co_u32_e32 v20, vcc, 0, v1, vcc
.LBB167_36:                             ; =>This Inner Loop Header: Depth=1
	s_waitcnt vmcnt(0)
	v_add_co_u32_e32 v1, vcc, 0x1000, v19
	v_addc_co_u32_e32 v2, vcc, 0, v20, vcc
	v_add_co_u32_e32 v3, vcc, 0x2000, v19
	v_addc_co_u32_e32 v4, vcc, 0, v20, vcc
	v_add_co_u32_e32 v21, vcc, 0x3000, v19
	global_load_dwordx2 v[13:14], v[1:2], off
	global_load_dwordx2 v[11:12], v[1:2], off offset:2048
	global_load_dwordx2 v[7:8], v[3:4], off
	global_load_dwordx2 v[5:6], v[3:4], off offset:2048
	v_addc_co_u32_e32 v22, vcc, 0, v20, vcc
	global_load_dwordx2 v[17:18], v[19:20], off
	global_load_dwordx2 v[15:16], v[19:20], off offset:2048
	global_load_dwordx2 v[3:4], v[21:22], off
	global_load_dwordx2 v[1:2], v[21:22], off offset:2048
	v_cmp_o_f64_e32 vcc, v[9:10], v[9:10]
	s_and_saveexec_b64 s[18:19], vcc
	s_cbranch_execnz .LBB167_44
; %bb.37:                               ;   in Loop: Header=BB167_36 Depth=1
	s_or_b64 exec, exec, s[18:19]
	v_cmp_o_f64_e32 vcc, v[9:10], v[9:10]
	s_and_saveexec_b64 s[18:19], vcc
	s_cbranch_execnz .LBB167_47
.LBB167_38:                             ;   in Loop: Header=BB167_36 Depth=1
	s_or_b64 exec, exec, s[18:19]
	v_cmp_o_f64_e32 vcc, v[9:10], v[9:10]
	s_and_saveexec_b64 s[18:19], vcc
	s_cbranch_execnz .LBB167_50
.LBB167_39:                             ;   in Loop: Header=BB167_36 Depth=1
	s_or_b64 exec, exec, s[18:19]
	v_cmp_o_f64_e32 vcc, v[9:10], v[9:10]
	s_and_saveexec_b64 s[18:19], vcc
	s_cbranch_execnz .LBB167_53
.LBB167_40:                             ;   in Loop: Header=BB167_36 Depth=1
	s_or_b64 exec, exec, s[18:19]
	v_cmp_o_f64_e32 vcc, v[9:10], v[9:10]
	s_and_saveexec_b64 s[18:19], vcc
	s_cbranch_execnz .LBB167_56
.LBB167_41:                             ;   in Loop: Header=BB167_36 Depth=1
	s_or_b64 exec, exec, s[18:19]
	v_cmp_o_f64_e32 vcc, v[9:10], v[9:10]
	s_and_saveexec_b64 s[18:19], vcc
	s_cbranch_execnz .LBB167_59
.LBB167_42:                             ;   in Loop: Header=BB167_36 Depth=1
	s_or_b64 exec, exec, s[18:19]
	v_cmp_o_f64_e32 vcc, v[9:10], v[9:10]
	s_and_saveexec_b64 s[18:19], vcc
	s_cbranch_execnz .LBB167_62
.LBB167_43:                             ;   in Loop: Header=BB167_36 Depth=1
	s_or_b64 exec, exec, s[18:19]
	v_cmp_o_f64_e32 vcc, v[9:10], v[9:10]
	s_and_saveexec_b64 s[18:19], vcc
	s_cbranch_execnz .LBB167_65
	s_branch .LBB167_68
.LBB167_44:                             ;   in Loop: Header=BB167_36 Depth=1
	s_waitcnt vmcnt(3)
	v_cmp_o_f64_e32 vcc, v[17:18], v[17:18]
	v_mov_b32_e32 v22, v18
	v_mov_b32_e32 v21, v17
	s_and_saveexec_b64 s[20:21], vcc
	s_cbranch_execz .LBB167_46
; %bb.45:                               ;   in Loop: Header=BB167_36 Depth=1
	v_cmp_lt_f64_e32 vcc, v[17:18], v[9:10]
	v_cndmask_b32_e32 v22, v10, v18, vcc
	v_cndmask_b32_e32 v21, v9, v17, vcc
.LBB167_46:                             ;   in Loop: Header=BB167_36 Depth=1
	s_or_b64 exec, exec, s[20:21]
	v_mov_b32_e32 v9, v21
	v_mov_b32_e32 v10, v22
	s_or_b64 exec, exec, s[18:19]
	v_cmp_o_f64_e32 vcc, v[9:10], v[9:10]
	s_and_saveexec_b64 s[18:19], vcc
	s_cbranch_execz .LBB167_38
.LBB167_47:                             ;   in Loop: Header=BB167_36 Depth=1
	s_waitcnt vmcnt(2)
	v_cmp_o_f64_e32 vcc, v[15:16], v[15:16]
	v_mov_b32_e32 v22, v16
	v_mov_b32_e32 v21, v15
	s_and_saveexec_b64 s[20:21], vcc
	s_cbranch_execz .LBB167_49
; %bb.48:                               ;   in Loop: Header=BB167_36 Depth=1
	v_cmp_lt_f64_e32 vcc, v[15:16], v[9:10]
	v_cndmask_b32_e32 v22, v10, v16, vcc
	v_cndmask_b32_e32 v21, v9, v15, vcc
.LBB167_49:                             ;   in Loop: Header=BB167_36 Depth=1
	s_or_b64 exec, exec, s[20:21]
	v_mov_b32_e32 v9, v21
	v_mov_b32_e32 v10, v22
	s_or_b64 exec, exec, s[18:19]
	v_cmp_o_f64_e32 vcc, v[9:10], v[9:10]
	s_and_saveexec_b64 s[18:19], vcc
	s_cbranch_execz .LBB167_39
.LBB167_50:                             ;   in Loop: Header=BB167_36 Depth=1
	s_waitcnt vmcnt(7)
	v_cmp_o_f64_e32 vcc, v[13:14], v[13:14]
	v_mov_b32_e32 v22, v14
	v_mov_b32_e32 v21, v13
	s_and_saveexec_b64 s[20:21], vcc
	s_cbranch_execz .LBB167_52
; %bb.51:                               ;   in Loop: Header=BB167_36 Depth=1
	v_cmp_lt_f64_e32 vcc, v[13:14], v[9:10]
	v_cndmask_b32_e32 v22, v10, v14, vcc
	v_cndmask_b32_e32 v21, v9, v13, vcc
.LBB167_52:                             ;   in Loop: Header=BB167_36 Depth=1
	s_or_b64 exec, exec, s[20:21]
	v_mov_b32_e32 v9, v21
	v_mov_b32_e32 v10, v22
	s_or_b64 exec, exec, s[18:19]
	v_cmp_o_f64_e32 vcc, v[9:10], v[9:10]
	s_and_saveexec_b64 s[18:19], vcc
	s_cbranch_execz .LBB167_40
.LBB167_53:                             ;   in Loop: Header=BB167_36 Depth=1
	s_waitcnt vmcnt(6)
	v_cmp_o_f64_e32 vcc, v[11:12], v[11:12]
	v_mov_b32_e32 v22, v12
	v_mov_b32_e32 v21, v11
	s_and_saveexec_b64 s[20:21], vcc
	s_cbranch_execz .LBB167_55
; %bb.54:                               ;   in Loop: Header=BB167_36 Depth=1
	v_cmp_lt_f64_e32 vcc, v[11:12], v[9:10]
	v_cndmask_b32_e32 v22, v10, v12, vcc
	v_cndmask_b32_e32 v21, v9, v11, vcc
.LBB167_55:                             ;   in Loop: Header=BB167_36 Depth=1
	s_or_b64 exec, exec, s[20:21]
	v_mov_b32_e32 v9, v21
	v_mov_b32_e32 v10, v22
	s_or_b64 exec, exec, s[18:19]
	v_cmp_o_f64_e32 vcc, v[9:10], v[9:10]
	s_and_saveexec_b64 s[18:19], vcc
	s_cbranch_execz .LBB167_41
.LBB167_56:                             ;   in Loop: Header=BB167_36 Depth=1
	s_waitcnt vmcnt(5)
	v_cmp_o_f64_e32 vcc, v[7:8], v[7:8]
	v_mov_b32_e32 v22, v8
	v_mov_b32_e32 v21, v7
	s_and_saveexec_b64 s[20:21], vcc
	s_cbranch_execz .LBB167_58
; %bb.57:                               ;   in Loop: Header=BB167_36 Depth=1
	v_cmp_lt_f64_e32 vcc, v[7:8], v[9:10]
	v_cndmask_b32_e32 v22, v10, v8, vcc
	v_cndmask_b32_e32 v21, v9, v7, vcc
.LBB167_58:                             ;   in Loop: Header=BB167_36 Depth=1
	s_or_b64 exec, exec, s[20:21]
	v_mov_b32_e32 v9, v21
	v_mov_b32_e32 v10, v22
	s_or_b64 exec, exec, s[18:19]
	v_cmp_o_f64_e32 vcc, v[9:10], v[9:10]
	s_and_saveexec_b64 s[18:19], vcc
	s_cbranch_execz .LBB167_42
.LBB167_59:                             ;   in Loop: Header=BB167_36 Depth=1
	s_waitcnt vmcnt(4)
	v_cmp_o_f64_e32 vcc, v[5:6], v[5:6]
	v_mov_b32_e32 v22, v6
	v_mov_b32_e32 v21, v5
	s_and_saveexec_b64 s[20:21], vcc
	s_cbranch_execz .LBB167_61
; %bb.60:                               ;   in Loop: Header=BB167_36 Depth=1
	v_cmp_lt_f64_e32 vcc, v[5:6], v[9:10]
	v_cndmask_b32_e32 v22, v10, v6, vcc
	v_cndmask_b32_e32 v21, v9, v5, vcc
.LBB167_61:                             ;   in Loop: Header=BB167_36 Depth=1
	s_or_b64 exec, exec, s[20:21]
	v_mov_b32_e32 v9, v21
	v_mov_b32_e32 v10, v22
	s_or_b64 exec, exec, s[18:19]
	v_cmp_o_f64_e32 vcc, v[9:10], v[9:10]
	s_and_saveexec_b64 s[18:19], vcc
	s_cbranch_execz .LBB167_43
.LBB167_62:                             ;   in Loop: Header=BB167_36 Depth=1
	s_waitcnt vmcnt(1)
	v_cmp_o_f64_e32 vcc, v[3:4], v[3:4]
	v_mov_b32_e32 v22, v4
	v_mov_b32_e32 v21, v3
	s_and_saveexec_b64 s[20:21], vcc
	s_cbranch_execz .LBB167_64
; %bb.63:                               ;   in Loop: Header=BB167_36 Depth=1
	v_cmp_lt_f64_e32 vcc, v[3:4], v[9:10]
	v_cndmask_b32_e32 v22, v10, v4, vcc
	v_cndmask_b32_e32 v21, v9, v3, vcc
.LBB167_64:                             ;   in Loop: Header=BB167_36 Depth=1
	s_or_b64 exec, exec, s[20:21]
	v_mov_b32_e32 v9, v21
	v_mov_b32_e32 v10, v22
	s_or_b64 exec, exec, s[18:19]
	v_cmp_o_f64_e32 vcc, v[9:10], v[9:10]
	s_and_saveexec_b64 s[18:19], vcc
	s_cbranch_execz .LBB167_68
.LBB167_65:                             ;   in Loop: Header=BB167_36 Depth=1
	s_waitcnt vmcnt(0)
	v_cmp_o_f64_e32 vcc, v[1:2], v[1:2]
	v_mov_b32_e32 v22, v2
	v_mov_b32_e32 v21, v1
	s_and_saveexec_b64 s[20:21], vcc
	s_cbranch_execz .LBB167_67
; %bb.66:                               ;   in Loop: Header=BB167_36 Depth=1
	v_cmp_lt_f64_e32 vcc, v[1:2], v[9:10]
	v_cndmask_b32_e32 v22, v10, v2, vcc
	v_cndmask_b32_e32 v21, v9, v1, vcc
.LBB167_67:                             ;   in Loop: Header=BB167_36 Depth=1
	s_or_b64 exec, exec, s[20:21]
	v_mov_b32_e32 v9, v21
	v_mov_b32_e32 v10, v22
.LBB167_68:                             ;   in Loop: Header=BB167_36 Depth=1
	s_or_b64 exec, exec, s[18:19]
	s_add_u32 s18, s0, 0x800
	s_addc_u32 s19, s1, 0
	s_add_u32 s0, s0, 0x1000
	v_mov_b32_e32 v22, s13
	s_addc_u32 s1, s1, 0
	v_mov_b32_e32 v21, s12
	v_add_co_u32_e32 v19, vcc, 0x4000, v19
	v_cmp_lt_i64_e64 s[0:1], s[0:1], v[21:22]
	v_addc_co_u32_e32 v20, vcc, 0, v20, vcc
	s_and_b64 vcc, exec, s[0:1]
	s_cbranch_vccz .LBB167_70
; %bb.69:                               ;   in Loop: Header=BB167_36 Depth=1
	s_mov_b64 s[0:1], s[18:19]
	s_branch .LBB167_36
.LBB167_70:
	s_mov_b64 s[0:1], s[18:19]
.LBB167_71:
	s_sub_i32 s20, s12, s0
	s_lshl_b64 s[0:1], s[0:1], 3
	s_add_u32 s0, s8, s0
	s_addc_u32 s1, s9, s1
	v_cmp_gt_u32_e32 vcc, s20, v0
	s_and_saveexec_b64 s[18:19], vcc
	s_cbranch_execz .LBB167_73
; %bb.72:
	global_load_dwordx2 v[17:18], v23, s[0:1]
.LBB167_73:
	s_or_b64 exec, exec, s[18:19]
	v_or_b32_e32 v25, 0x100, v0
	v_cmp_gt_u32_e32 vcc, s20, v25
	s_and_saveexec_b64 s[18:19], vcc
	s_cbranch_execz .LBB167_75
; %bb.74:
	global_load_dwordx2 v[15:16], v23, s[0:1] offset:2048
.LBB167_75:
	s_or_b64 exec, exec, s[18:19]
	v_or_b32_e32 v24, 0x200, v0
	v_cmp_gt_u32_e32 vcc, s20, v24
	s_and_saveexec_b64 s[18:19], vcc
	s_cbranch_execz .LBB167_77
; %bb.76:
	s_waitcnt vmcnt(5)
	v_lshlrev_b32_e32 v13, 3, v24
	global_load_dwordx2 v[13:14], v13, s[0:1]
.LBB167_77:
	s_or_b64 exec, exec, s[18:19]
	v_or_b32_e32 v23, 0x300, v0
	v_cmp_gt_u32_e32 vcc, s20, v23
	s_and_saveexec_b64 s[18:19], vcc
	s_cbranch_execz .LBB167_79
; %bb.78:
	s_waitcnt vmcnt(4)
	v_lshlrev_b32_e32 v11, 3, v23
	global_load_dwordx2 v[11:12], v11, s[0:1]
.LBB167_79:
	;; [unrolled: 10-line block ×6, first 2 shown]
	s_or_b64 exec, exec, s[18:19]
	v_cmp_o_f64_e32 vcc, v[9:10], v[9:10]
	v_cmp_gt_u32_e64 s[0:1], s20, v0
	s_and_b64 s[18:19], s[0:1], vcc
	s_and_saveexec_b64 s[0:1], s[18:19]
	s_cbranch_execz .LBB167_91
; %bb.88:
	s_waitcnt vmcnt(0)
	v_cmp_o_f64_e32 vcc, v[17:18], v[17:18]
	s_and_saveexec_b64 s[18:19], vcc
	s_cbranch_execz .LBB167_90
; %bb.89:
	v_cmp_lt_f64_e32 vcc, v[17:18], v[9:10]
	v_cndmask_b32_e32 v18, v10, v18, vcc
	v_cndmask_b32_e32 v17, v9, v17, vcc
.LBB167_90:
	s_or_b64 exec, exec, s[18:19]
	v_mov_b32_e32 v9, v17
	v_mov_b32_e32 v10, v18
.LBB167_91:
	s_or_b64 exec, exec, s[0:1]
	v_cmp_o_f64_e32 vcc, v[9:10], v[9:10]
	v_cmp_gt_u32_e64 s[0:1], s20, v25
	s_and_b64 s[18:19], s[0:1], vcc
	s_and_saveexec_b64 s[0:1], s[18:19]
	s_cbranch_execz .LBB167_95
; %bb.92:
	s_waitcnt vmcnt(0)
	v_cmp_o_f64_e32 vcc, v[15:16], v[15:16]
	s_and_saveexec_b64 s[18:19], vcc
	s_cbranch_execz .LBB167_94
; %bb.93:
	v_cmp_lt_f64_e32 vcc, v[15:16], v[9:10]
	v_cndmask_b32_e32 v16, v10, v16, vcc
	v_cndmask_b32_e32 v15, v9, v15, vcc
.LBB167_94:
	s_or_b64 exec, exec, s[18:19]
	v_mov_b32_e32 v9, v15
	v_mov_b32_e32 v10, v16
.LBB167_95:
	;; [unrolled: 20-line block ×8, first 2 shown]
	s_or_b64 exec, exec, s[0:1]
	s_waitcnt vmcnt(0)
	v_mov_b32_dpp v1, v9 quad_perm:[1,0,3,2] row_mask:0xf bank_mask:0xf bound_ctrl:1
	v_mov_b32_dpp v2, v10 quad_perm:[1,0,3,2] row_mask:0xf bank_mask:0xf bound_ctrl:1
	v_cmp_o_f64_e32 vcc, v[1:2], v[1:2]
	s_and_saveexec_b64 s[0:1], vcc
	s_xor_b64 s[0:1], exec, s[0:1]
	s_cbranch_execz .LBB167_123
; %bb.120:
	v_cmp_o_f64_e32 vcc, v[9:10], v[9:10]
	s_and_saveexec_b64 s[18:19], vcc
	s_cbranch_execz .LBB167_122
; %bb.121:
	v_cmp_lt_f64_e32 vcc, v[9:10], v[1:2]
	v_cndmask_b32_e32 v10, v2, v10, vcc
	v_cndmask_b32_e32 v9, v1, v9, vcc
.LBB167_122:
	s_or_b64 exec, exec, s[18:19]
	v_mov_b32_e32 v1, v9
	v_mov_b32_e32 v2, v10
.LBB167_123:
	s_or_b64 exec, exec, s[0:1]
	v_mov_b32_dpp v3, v1 quad_perm:[2,3,0,1] row_mask:0xf bank_mask:0xf bound_ctrl:1
	v_mov_b32_dpp v4, v2 quad_perm:[2,3,0,1] row_mask:0xf bank_mask:0xf bound_ctrl:1
	v_cmp_o_f64_e32 vcc, v[3:4], v[3:4]
	s_and_saveexec_b64 s[0:1], vcc
	s_cbranch_execz .LBB167_127
; %bb.124:
	v_cmp_o_f64_e32 vcc, v[1:2], v[1:2]
	s_and_saveexec_b64 s[18:19], vcc
	s_cbranch_execz .LBB167_126
; %bb.125:
	v_cmp_lt_f64_e32 vcc, v[1:2], v[3:4]
	v_cndmask_b32_e32 v2, v4, v2, vcc
	v_cndmask_b32_e32 v1, v3, v1, vcc
.LBB167_126:
	s_or_b64 exec, exec, s[18:19]
	v_mov_b32_e32 v4, v2
	v_mov_b32_e32 v3, v1
.LBB167_127:
	s_or_b64 exec, exec, s[0:1]
	s_nop 0
	v_mov_b32_dpp v1, v3 row_ror:4 row_mask:0xf bank_mask:0xf bound_ctrl:1
	v_mov_b32_dpp v2, v4 row_ror:4 row_mask:0xf bank_mask:0xf bound_ctrl:1
	v_cmp_o_f64_e32 vcc, v[1:2], v[1:2]
	s_and_saveexec_b64 s[0:1], vcc
	s_cbranch_execz .LBB167_131
; %bb.128:
	v_cmp_o_f64_e32 vcc, v[3:4], v[3:4]
	s_and_saveexec_b64 s[18:19], vcc
	s_cbranch_execz .LBB167_130
; %bb.129:
	v_cmp_lt_f64_e32 vcc, v[3:4], v[1:2]
	v_cndmask_b32_e32 v4, v2, v4, vcc
	v_cndmask_b32_e32 v3, v1, v3, vcc
.LBB167_130:
	s_or_b64 exec, exec, s[18:19]
	v_mov_b32_e32 v1, v3
	v_mov_b32_e32 v2, v4
.LBB167_131:
	s_or_b64 exec, exec, s[0:1]
	v_mov_b32_dpp v3, v1 row_ror:8 row_mask:0xf bank_mask:0xf bound_ctrl:1
	v_mov_b32_dpp v4, v2 row_ror:8 row_mask:0xf bank_mask:0xf bound_ctrl:1
	v_cmp_o_f64_e32 vcc, v[3:4], v[3:4]
	s_and_saveexec_b64 s[0:1], vcc
	s_cbranch_execz .LBB167_135
; %bb.132:
	v_cmp_o_f64_e32 vcc, v[1:2], v[1:2]
	s_and_saveexec_b64 s[18:19], vcc
	s_cbranch_execz .LBB167_134
; %bb.133:
	v_cmp_lt_f64_e32 vcc, v[1:2], v[3:4]
	v_cndmask_b32_e32 v2, v4, v2, vcc
	v_cndmask_b32_e32 v1, v3, v1, vcc
.LBB167_134:
	s_or_b64 exec, exec, s[18:19]
	v_mov_b32_e32 v4, v2
	v_mov_b32_e32 v3, v1
.LBB167_135:
	s_or_b64 exec, exec, s[0:1]
	s_nop 0
	v_mov_b32_dpp v1, v3 row_bcast:15 row_mask:0xf bank_mask:0xf bound_ctrl:1
	v_mov_b32_dpp v2, v4 row_bcast:15 row_mask:0xf bank_mask:0xf bound_ctrl:1
	v_cmp_o_f64_e32 vcc, v[1:2], v[1:2]
	s_and_saveexec_b64 s[0:1], vcc
	s_cbranch_execz .LBB167_139
; %bb.136:
	v_cmp_o_f64_e32 vcc, v[3:4], v[3:4]
	s_and_saveexec_b64 s[18:19], vcc
	s_cbranch_execz .LBB167_138
; %bb.137:
	v_cmp_lt_f64_e32 vcc, v[3:4], v[1:2]
	v_cndmask_b32_e32 v4, v2, v4, vcc
	v_cndmask_b32_e32 v3, v1, v3, vcc
.LBB167_138:
	s_or_b64 exec, exec, s[18:19]
	v_mov_b32_e32 v1, v3
	v_mov_b32_e32 v2, v4
.LBB167_139:
	s_or_b64 exec, exec, s[0:1]
	v_mov_b32_dpp v3, v1 row_bcast:31 row_mask:0xf bank_mask:0xf bound_ctrl:1
	v_mov_b32_dpp v4, v2 row_bcast:31 row_mask:0xf bank_mask:0xf bound_ctrl:1
	v_cmp_o_f64_e32 vcc, v[3:4], v[3:4]
	s_and_saveexec_b64 s[0:1], vcc
	s_cbranch_execz .LBB167_143
; %bb.140:
	v_cmp_o_f64_e32 vcc, v[1:2], v[1:2]
	s_and_saveexec_b64 s[18:19], vcc
	s_cbranch_execz .LBB167_142
; %bb.141:
	v_cmp_lt_f64_e32 vcc, v[1:2], v[3:4]
	v_cndmask_b32_e32 v2, v4, v2, vcc
	v_cndmask_b32_e32 v1, v3, v1, vcc
.LBB167_142:
	s_or_b64 exec, exec, s[18:19]
	v_mov_b32_e32 v4, v2
	v_mov_b32_e32 v3, v1
.LBB167_143:
	s_or_b64 exec, exec, s[0:1]
	v_mbcnt_lo_u32_b32 v1, -1, 0
	v_mbcnt_hi_u32_b32 v6, -1, v1
	v_lshlrev_b32_e32 v5, 2, v6
	v_or_b32_e32 v2, 0xfc, v5
	ds_bpermute_b32 v1, v2, v3
	ds_bpermute_b32 v2, v2, v4
	v_cmp_eq_u32_e32 vcc, 0, v6
	s_and_saveexec_b64 s[0:1], vcc
	s_cbranch_execz .LBB167_145
; %bb.144:
	v_lshrrev_b32_e32 v3, 3, v0
	v_and_b32_e32 v3, 24, v3
	s_waitcnt lgkmcnt(0)
	ds_write_b64 v3, v[1:2]
.LBB167_145:
	s_or_b64 exec, exec, s[0:1]
	v_cmp_gt_u32_e32 vcc, 64, v0
	s_waitcnt lgkmcnt(0)
	s_barrier
	s_and_saveexec_b64 s[0:1], vcc
	s_cbranch_execz .LBB167_155
; %bb.146:
	v_and_b32_e32 v3, 3, v6
	v_lshlrev_b32_e32 v1, 3, v3
	ds_read_b64 v[1:2], v1
	v_cmp_ne_u32_e32 vcc, 3, v3
	v_addc_co_u32_e32 v3, vcc, 0, v6, vcc
	v_lshlrev_b32_e32 v4, 2, v3
	s_waitcnt lgkmcnt(0)
	v_cmp_o_f64_e32 vcc, v[1:2], v[1:2]
	ds_bpermute_b32 v3, v4, v1
	ds_bpermute_b32 v4, v4, v2
	s_and_saveexec_b64 s[18:19], vcc
	s_cbranch_execz .LBB167_150
; %bb.147:
	s_waitcnt lgkmcnt(0)
	v_cmp_o_f64_e32 vcc, v[3:4], v[3:4]
	s_and_saveexec_b64 s[20:21], vcc
	s_cbranch_execz .LBB167_149
; %bb.148:
	v_cmp_gt_f64_e32 vcc, v[1:2], v[3:4]
	v_cndmask_b32_e32 v4, v2, v4, vcc
	v_cndmask_b32_e32 v3, v1, v3, vcc
.LBB167_149:
	s_or_b64 exec, exec, s[20:21]
	v_mov_b32_e32 v1, v3
	v_mov_b32_e32 v2, v4
.LBB167_150:
	s_or_b64 exec, exec, s[18:19]
	v_cmp_o_f64_e32 vcc, v[1:2], v[1:2]
	s_waitcnt lgkmcnt(0)
	v_or_b32_e32 v4, 8, v5
	ds_bpermute_b32 v3, v4, v1
	ds_bpermute_b32 v4, v4, v2
	s_and_saveexec_b64 s[18:19], vcc
	s_cbranch_execz .LBB167_154
; %bb.151:
	s_waitcnt lgkmcnt(0)
	v_cmp_o_f64_e32 vcc, v[3:4], v[3:4]
	s_and_saveexec_b64 s[20:21], vcc
	s_cbranch_execz .LBB167_153
; %bb.152:
	v_cmp_gt_f64_e32 vcc, v[1:2], v[3:4]
	v_cndmask_b32_e32 v4, v2, v4, vcc
	v_cndmask_b32_e32 v3, v1, v3, vcc
.LBB167_153:
	s_or_b64 exec, exec, s[20:21]
	v_mov_b32_e32 v1, v3
	v_mov_b32_e32 v2, v4
.LBB167_154:
	s_or_b64 exec, exec, s[18:19]
.LBB167_155:
	s_or_b64 exec, exec, s[0:1]
	s_branch .LBB167_254
.LBB167_156:
	s_sub_i32 s22, s12, s14
	v_cmp_gt_u32_e32 vcc, s22, v0
                                        ; implicit-def: $vgpr3_vgpr4
	s_and_saveexec_b64 s[18:19], vcc
	s_cbranch_execz .LBB167_166
; %bb.157:
	v_mov_b32_e32 v2, s15
	v_add_co_u32_e32 v1, vcc, s14, v0
	v_addc_co_u32_e32 v2, vcc, 0, v2, vcc
	s_waitcnt lgkmcnt(0)
	v_lshlrev_b64 v[4:5], 3, v[1:2]
	v_mov_b32_e32 v3, s9
	v_add_co_u32_e64 v6, s[0:1], s8, v4
	v_addc_co_u32_e64 v7, vcc, v3, v5, s[0:1]
	global_load_dwordx2 v[3:4], v[6:7], off
	v_add_co_u32_e32 v1, vcc, 0x100, v1
	v_addc_co_u32_e32 v2, vcc, 0, v2, vcc
	v_cmp_gt_i64_e32 vcc, s[12:13], v[1:2]
	s_and_saveexec_b64 s[14:15], vcc
	s_cbranch_execz .LBB167_165
; %bb.158:
	v_mov_b32_e32 v7, s9
	v_addc_co_u32_e64 v7, vcc, v7, v5, s[0:1]
	v_add_co_u32_e32 v5, vcc, 0x800, v6
	v_addc_co_u32_e32 v6, vcc, 0, v7, vcc
	s_mov_b64 s[8:9], 0
	s_branch .LBB167_161
.LBB167_159:                            ;   in Loop: Header=BB167_161 Depth=1
	s_or_b64 exec, exec, s[20:21]
	v_mov_b32_e32 v3, v7
	v_mov_b32_e32 v4, v8
.LBB167_160:                            ;   in Loop: Header=BB167_161 Depth=1
	s_or_b64 exec, exec, s[0:1]
	v_add_co_u32_e32 v1, vcc, 0x100, v1
	v_addc_co_u32_e32 v2, vcc, 0, v2, vcc
	v_cmp_le_i64_e64 s[0:1], s[12:13], v[1:2]
	v_add_co_u32_e32 v5, vcc, 0x800, v5
	s_or_b64 s[8:9], s[0:1], s[8:9]
	v_addc_co_u32_e32 v6, vcc, 0, v6, vcc
	s_andn2_b64 exec, exec, s[8:9]
	s_cbranch_execz .LBB167_164
.LBB167_161:                            ; =>This Inner Loop Header: Depth=1
	s_waitcnt vmcnt(0)
	v_cmp_o_f64_e32 vcc, v[3:4], v[3:4]
	s_and_saveexec_b64 s[0:1], vcc
	s_cbranch_execz .LBB167_160
; %bb.162:                              ;   in Loop: Header=BB167_161 Depth=1
	global_load_dwordx2 v[7:8], v[5:6], off
	s_waitcnt vmcnt(0)
	v_cmp_o_f64_e32 vcc, v[7:8], v[7:8]
	s_and_saveexec_b64 s[20:21], vcc
	s_cbranch_execz .LBB167_159
; %bb.163:                              ;   in Loop: Header=BB167_161 Depth=1
	v_cmp_lt_f64_e32 vcc, v[7:8], v[3:4]
	v_cndmask_b32_e32 v8, v4, v8, vcc
	v_cndmask_b32_e32 v7, v3, v7, vcc
	s_branch .LBB167_159
.LBB167_164:
	s_or_b64 exec, exec, s[8:9]
.LBB167_165:
	s_or_b64 exec, exec, s[14:15]
.LBB167_166:
	s_or_b64 exec, exec, s[18:19]
	v_mbcnt_lo_u32_b32 v1, -1, 0
	s_cmpk_lt_u32 s22, 0x100
	v_lshrrev_b32_e32 v10, 6, v0
	v_mbcnt_hi_u32_b32 v9, -1, v1
	s_cbranch_scc0 .LBB167_216
; %bb.167:
	v_and_b32_e32 v12, 63, v9
	v_cmp_ne_u32_e32 vcc, 63, v12
	v_addc_co_u32_e32 v2, vcc, 0, v9, vcc
	v_lshlrev_b32_e32 v2, 2, v2
	s_waitcnt vmcnt(0) lgkmcnt(1)
	ds_bpermute_b32 v7, v2, v3
	s_waitcnt lgkmcnt(1)
	ds_bpermute_b32 v8, v2, v4
	v_and_b32_e32 v1, 0xc0, v0
	v_sub_u32_e64 v11, s22, v1 clamp
	v_add_u32_e32 v1, 1, v12
	v_cmp_lt_u32_e32 vcc, v1, v11
	v_mov_b32_e32 v1, v3
	v_mov_b32_e32 v5, v3
	;; [unrolled: 1-line block ×4, first 2 shown]
	s_and_saveexec_b64 s[0:1], vcc
	s_cbranch_execz .LBB167_173
; %bb.168:
	v_cmp_o_f64_e32 vcc, v[3:4], v[3:4]
	v_mov_b32_e32 v6, v4
	v_mov_b32_e32 v5, v3
	s_and_saveexec_b64 s[8:9], vcc
	s_cbranch_execz .LBB167_172
; %bb.169:
	s_waitcnt lgkmcnt(0)
	v_cmp_o_f64_e32 vcc, v[7:8], v[7:8]
	s_and_saveexec_b64 s[12:13], vcc
	s_cbranch_execz .LBB167_171
; %bb.170:
	v_cmp_gt_f64_e32 vcc, v[3:4], v[7:8]
	v_cndmask_b32_e32 v8, v4, v8, vcc
	v_cndmask_b32_e32 v7, v3, v7, vcc
.LBB167_171:
	s_or_b64 exec, exec, s[12:13]
	v_mov_b32_e32 v5, v7
	v_mov_b32_e32 v6, v8
.LBB167_172:
	s_or_b64 exec, exec, s[8:9]
	v_mov_b32_e32 v1, v5
	v_mov_b32_e32 v2, v6
.LBB167_173:
	s_or_b64 exec, exec, s[0:1]
	v_cmp_gt_u32_e32 vcc, 62, v12
	s_waitcnt lgkmcnt(1)
	v_cndmask_b32_e64 v7, 0, 2, vcc
	s_waitcnt lgkmcnt(0)
	v_add_lshl_u32 v8, v7, v9, 2
	ds_bpermute_b32 v7, v8, v5
	ds_bpermute_b32 v8, v8, v6
	v_add_u32_e32 v13, 2, v12
	v_cmp_lt_u32_e32 vcc, v13, v11
	s_and_saveexec_b64 s[0:1], vcc
	s_cbranch_execz .LBB167_179
; %bb.174:
	v_cmp_o_f64_e32 vcc, v[1:2], v[1:2]
	s_and_saveexec_b64 s[8:9], vcc
	s_cbranch_execz .LBB167_178
; %bb.175:
	s_waitcnt lgkmcnt(0)
	v_cmp_o_f64_e32 vcc, v[7:8], v[7:8]
	s_and_saveexec_b64 s[12:13], vcc
	s_cbranch_execz .LBB167_177
; %bb.176:
	v_cmp_gt_f64_e32 vcc, v[1:2], v[7:8]
	v_cndmask_b32_e32 v8, v2, v8, vcc
	v_cndmask_b32_e32 v7, v1, v7, vcc
.LBB167_177:
	s_or_b64 exec, exec, s[12:13]
	v_mov_b32_e32 v1, v7
	v_mov_b32_e32 v2, v8
.LBB167_178:
	s_or_b64 exec, exec, s[8:9]
	v_mov_b32_e32 v5, v1
	v_mov_b32_e32 v6, v2
.LBB167_179:
	s_or_b64 exec, exec, s[0:1]
	v_cmp_gt_u32_e32 vcc, 60, v12
	s_waitcnt lgkmcnt(1)
	v_cndmask_b32_e64 v7, 0, 4, vcc
	s_waitcnt lgkmcnt(0)
	v_add_lshl_u32 v8, v7, v9, 2
	ds_bpermute_b32 v7, v8, v5
	ds_bpermute_b32 v8, v8, v6
	v_add_u32_e32 v13, 4, v12
	v_cmp_lt_u32_e32 vcc, v13, v11
	s_and_saveexec_b64 s[0:1], vcc
	s_cbranch_execz .LBB167_185
; %bb.180:
	v_cmp_o_f64_e32 vcc, v[1:2], v[1:2]
	s_and_saveexec_b64 s[8:9], vcc
	s_cbranch_execz .LBB167_184
; %bb.181:
	s_waitcnt lgkmcnt(0)
	v_cmp_o_f64_e32 vcc, v[7:8], v[7:8]
	s_and_saveexec_b64 s[12:13], vcc
	s_cbranch_execz .LBB167_183
; %bb.182:
	v_cmp_gt_f64_e32 vcc, v[1:2], v[7:8]
	v_cndmask_b32_e32 v8, v2, v8, vcc
	v_cndmask_b32_e32 v7, v1, v7, vcc
.LBB167_183:
	s_or_b64 exec, exec, s[12:13]
	v_mov_b32_e32 v1, v7
	v_mov_b32_e32 v2, v8
.LBB167_184:
	s_or_b64 exec, exec, s[8:9]
	v_mov_b32_e32 v5, v1
	v_mov_b32_e32 v6, v2
.LBB167_185:
	s_or_b64 exec, exec, s[0:1]
	v_cmp_gt_u32_e32 vcc, 56, v12
	s_waitcnt lgkmcnt(1)
	v_cndmask_b32_e64 v7, 0, 8, vcc
	s_waitcnt lgkmcnt(0)
	v_add_lshl_u32 v8, v7, v9, 2
	ds_bpermute_b32 v7, v8, v5
	ds_bpermute_b32 v8, v8, v6
	v_add_u32_e32 v13, 8, v12
	v_cmp_lt_u32_e32 vcc, v13, v11
	s_and_saveexec_b64 s[0:1], vcc
	s_cbranch_execz .LBB167_191
; %bb.186:
	v_cmp_o_f64_e32 vcc, v[1:2], v[1:2]
	s_and_saveexec_b64 s[8:9], vcc
	s_cbranch_execz .LBB167_190
; %bb.187:
	s_waitcnt lgkmcnt(0)
	v_cmp_o_f64_e32 vcc, v[7:8], v[7:8]
	s_and_saveexec_b64 s[12:13], vcc
	s_cbranch_execz .LBB167_189
; %bb.188:
	v_cmp_gt_f64_e32 vcc, v[1:2], v[7:8]
	v_cndmask_b32_e32 v8, v2, v8, vcc
	v_cndmask_b32_e32 v7, v1, v7, vcc
.LBB167_189:
	s_or_b64 exec, exec, s[12:13]
	v_mov_b32_e32 v1, v7
	v_mov_b32_e32 v2, v8
.LBB167_190:
	s_or_b64 exec, exec, s[8:9]
	v_mov_b32_e32 v5, v1
	v_mov_b32_e32 v6, v2
.LBB167_191:
	s_or_b64 exec, exec, s[0:1]
	v_cmp_gt_u32_e32 vcc, 48, v12
	s_waitcnt lgkmcnt(1)
	v_cndmask_b32_e64 v7, 0, 16, vcc
	s_waitcnt lgkmcnt(0)
	v_add_lshl_u32 v8, v7, v9, 2
	ds_bpermute_b32 v7, v8, v5
	ds_bpermute_b32 v8, v8, v6
	v_add_u32_e32 v13, 16, v12
	v_cmp_lt_u32_e32 vcc, v13, v11
	s_and_saveexec_b64 s[0:1], vcc
	s_cbranch_execz .LBB167_197
; %bb.192:
	v_cmp_o_f64_e32 vcc, v[1:2], v[1:2]
	s_and_saveexec_b64 s[8:9], vcc
	s_cbranch_execz .LBB167_196
; %bb.193:
	s_waitcnt lgkmcnt(0)
	v_cmp_o_f64_e32 vcc, v[7:8], v[7:8]
	s_and_saveexec_b64 s[12:13], vcc
	s_cbranch_execz .LBB167_195
; %bb.194:
	v_cmp_gt_f64_e32 vcc, v[1:2], v[7:8]
	v_cndmask_b32_e32 v8, v2, v8, vcc
	v_cndmask_b32_e32 v7, v1, v7, vcc
.LBB167_195:
	s_or_b64 exec, exec, s[12:13]
	v_mov_b32_e32 v1, v7
	v_mov_b32_e32 v2, v8
.LBB167_196:
	s_or_b64 exec, exec, s[8:9]
	v_mov_b32_e32 v5, v1
	v_mov_b32_e32 v6, v2
.LBB167_197:
	s_or_b64 exec, exec, s[0:1]
	v_cmp_o_f64_e32 vcc, v[1:2], v[1:2]
	s_waitcnt lgkmcnt(1)
	v_lshlrev_b32_e32 v7, 2, v9
	s_waitcnt lgkmcnt(0)
	v_or_b32_e32 v8, 0x80, v7
	ds_bpermute_b32 v5, v8, v5
	ds_bpermute_b32 v6, v8, v6
	v_add_u32_e32 v8, 32, v12
	v_cmp_lt_u32_e64 s[0:1], v8, v11
	s_and_b64 s[8:9], s[0:1], vcc
	s_and_saveexec_b64 s[0:1], s[8:9]
	s_cbranch_execz .LBB167_201
; %bb.198:
	s_waitcnt lgkmcnt(0)
	v_cmp_o_f64_e32 vcc, v[5:6], v[5:6]
	s_and_saveexec_b64 s[8:9], vcc
	s_cbranch_execz .LBB167_200
; %bb.199:
	v_cmp_gt_f64_e32 vcc, v[1:2], v[5:6]
	v_cndmask_b32_e32 v6, v2, v6, vcc
	v_cndmask_b32_e32 v5, v1, v5, vcc
.LBB167_200:
	s_or_b64 exec, exec, s[8:9]
	v_mov_b32_e32 v1, v5
	v_mov_b32_e32 v2, v6
.LBB167_201:
	s_or_b64 exec, exec, s[0:1]
	v_cmp_eq_u32_e32 vcc, 0, v9
	s_and_saveexec_b64 s[0:1], vcc
	s_cbranch_execz .LBB167_203
; %bb.202:
	s_waitcnt lgkmcnt(1)
	v_lshlrev_b32_e32 v5, 3, v10
	ds_write_b64 v5, v[1:2]
.LBB167_203:
	s_or_b64 exec, exec, s[0:1]
	v_cmp_gt_u32_e32 vcc, 4, v0
	s_waitcnt lgkmcnt(0)
	s_barrier
	s_and_saveexec_b64 s[8:9], vcc
	s_cbranch_execz .LBB167_215
; %bb.204:
	v_lshlrev_b32_e32 v1, 3, v9
	ds_read_b64 v[1:2], v1
	v_and_b32_e32 v8, 3, v9
	v_cmp_ne_u32_e32 vcc, 3, v8
	v_addc_co_u32_e32 v5, vcc, 0, v9, vcc
	v_lshlrev_b32_e32 v6, 2, v5
	s_waitcnt lgkmcnt(0)
	ds_bpermute_b32 v5, v6, v1
	ds_bpermute_b32 v6, v6, v2
	s_add_i32 s22, s22, 63
	s_lshr_b32 s18, s22, 6
	v_add_u32_e32 v11, 1, v8
	v_cmp_gt_u32_e32 vcc, s18, v11
	s_and_saveexec_b64 s[0:1], vcc
	s_cbranch_execz .LBB167_210
; %bb.205:
	v_cmp_o_f64_e32 vcc, v[1:2], v[1:2]
	s_and_saveexec_b64 s[12:13], vcc
	s_cbranch_execz .LBB167_209
; %bb.206:
	s_waitcnt lgkmcnt(0)
	v_cmp_o_f64_e32 vcc, v[5:6], v[5:6]
	s_and_saveexec_b64 s[14:15], vcc
	s_cbranch_execz .LBB167_208
; %bb.207:
	v_cmp_gt_f64_e32 vcc, v[1:2], v[5:6]
	v_cndmask_b32_e32 v6, v2, v6, vcc
	v_cndmask_b32_e32 v5, v1, v5, vcc
.LBB167_208:
	s_or_b64 exec, exec, s[14:15]
	v_mov_b32_e32 v1, v5
	v_mov_b32_e32 v2, v6
.LBB167_209:
	s_or_b64 exec, exec, s[12:13]
.LBB167_210:
	s_or_b64 exec, exec, s[0:1]
	v_cmp_o_f64_e32 vcc, v[1:2], v[1:2]
	s_waitcnt lgkmcnt(0)
	v_or_b32_e32 v6, 8, v7
	ds_bpermute_b32 v5, v6, v1
	ds_bpermute_b32 v6, v6, v2
	v_add_u32_e32 v7, 2, v8
	v_cmp_gt_u32_e64 s[0:1], s18, v7
	s_and_b64 s[12:13], s[0:1], vcc
	s_and_saveexec_b64 s[0:1], s[12:13]
	s_cbranch_execz .LBB167_214
; %bb.211:
	s_waitcnt lgkmcnt(0)
	v_cmp_o_f64_e32 vcc, v[5:6], v[5:6]
	s_and_saveexec_b64 s[12:13], vcc
	s_cbranch_execz .LBB167_213
; %bb.212:
	v_cmp_gt_f64_e32 vcc, v[1:2], v[5:6]
	v_cndmask_b32_e32 v6, v2, v6, vcc
	v_cndmask_b32_e32 v5, v1, v5, vcc
.LBB167_213:
	s_or_b64 exec, exec, s[12:13]
	v_mov_b32_e32 v1, v5
	v_mov_b32_e32 v2, v6
.LBB167_214:
	s_or_b64 exec, exec, s[0:1]
.LBB167_215:
	s_or_b64 exec, exec, s[8:9]
	s_branch .LBB167_254
.LBB167_216:
                                        ; implicit-def: $vgpr1_vgpr2
	s_cbranch_execz .LBB167_254
; %bb.217:
	s_waitcnt vmcnt(0) lgkmcnt(1)
	v_mov_b32_dpp v1, v3 quad_perm:[1,0,3,2] row_mask:0xf bank_mask:0xf bound_ctrl:1
	s_waitcnt lgkmcnt(0)
	v_mov_b32_dpp v2, v4 quad_perm:[1,0,3,2] row_mask:0xf bank_mask:0xf bound_ctrl:1
	v_cmp_o_f64_e32 vcc, v[1:2], v[1:2]
	s_and_saveexec_b64 s[0:1], vcc
	s_cbranch_execz .LBB167_221
; %bb.218:
	v_cmp_o_f64_e32 vcc, v[3:4], v[3:4]
	s_and_saveexec_b64 s[8:9], vcc
	s_cbranch_execz .LBB167_220
; %bb.219:
	v_cmp_lt_f64_e32 vcc, v[3:4], v[1:2]
	v_cndmask_b32_e32 v4, v2, v4, vcc
	v_cndmask_b32_e32 v3, v1, v3, vcc
.LBB167_220:
	s_or_b64 exec, exec, s[8:9]
	v_mov_b32_e32 v1, v3
	v_mov_b32_e32 v2, v4
.LBB167_221:
	s_or_b64 exec, exec, s[0:1]
	v_mov_b32_dpp v3, v1 quad_perm:[2,3,0,1] row_mask:0xf bank_mask:0xf bound_ctrl:1
	v_mov_b32_dpp v4, v2 quad_perm:[2,3,0,1] row_mask:0xf bank_mask:0xf bound_ctrl:1
	v_cmp_o_f64_e32 vcc, v[3:4], v[3:4]
	s_and_saveexec_b64 s[0:1], vcc
	s_cbranch_execz .LBB167_225
; %bb.222:
	v_cmp_o_f64_e32 vcc, v[1:2], v[1:2]
	s_and_saveexec_b64 s[8:9], vcc
	s_cbranch_execz .LBB167_224
; %bb.223:
	v_cmp_lt_f64_e32 vcc, v[1:2], v[3:4]
	v_cndmask_b32_e32 v2, v4, v2, vcc
	v_cndmask_b32_e32 v1, v3, v1, vcc
.LBB167_224:
	s_or_b64 exec, exec, s[8:9]
	v_mov_b32_e32 v4, v2
	v_mov_b32_e32 v3, v1
.LBB167_225:
	s_or_b64 exec, exec, s[0:1]
	s_nop 0
	v_mov_b32_dpp v1, v3 row_ror:4 row_mask:0xf bank_mask:0xf bound_ctrl:1
	v_mov_b32_dpp v2, v4 row_ror:4 row_mask:0xf bank_mask:0xf bound_ctrl:1
	v_cmp_o_f64_e32 vcc, v[1:2], v[1:2]
	s_and_saveexec_b64 s[0:1], vcc
	s_cbranch_execz .LBB167_229
; %bb.226:
	v_cmp_o_f64_e32 vcc, v[3:4], v[3:4]
	s_and_saveexec_b64 s[8:9], vcc
	s_cbranch_execz .LBB167_228
; %bb.227:
	v_cmp_lt_f64_e32 vcc, v[3:4], v[1:2]
	v_cndmask_b32_e32 v4, v2, v4, vcc
	v_cndmask_b32_e32 v3, v1, v3, vcc
.LBB167_228:
	s_or_b64 exec, exec, s[8:9]
	v_mov_b32_e32 v1, v3
	v_mov_b32_e32 v2, v4
.LBB167_229:
	s_or_b64 exec, exec, s[0:1]
	v_mov_b32_dpp v3, v1 row_ror:8 row_mask:0xf bank_mask:0xf bound_ctrl:1
	v_mov_b32_dpp v4, v2 row_ror:8 row_mask:0xf bank_mask:0xf bound_ctrl:1
	v_cmp_o_f64_e32 vcc, v[3:4], v[3:4]
	s_and_saveexec_b64 s[0:1], vcc
	s_cbranch_execz .LBB167_233
; %bb.230:
	v_cmp_o_f64_e32 vcc, v[1:2], v[1:2]
	s_and_saveexec_b64 s[8:9], vcc
	s_cbranch_execz .LBB167_232
; %bb.231:
	v_cmp_lt_f64_e32 vcc, v[1:2], v[3:4]
	v_cndmask_b32_e32 v2, v4, v2, vcc
	v_cndmask_b32_e32 v1, v3, v1, vcc
.LBB167_232:
	s_or_b64 exec, exec, s[8:9]
	v_mov_b32_e32 v4, v2
	v_mov_b32_e32 v3, v1
.LBB167_233:
	s_or_b64 exec, exec, s[0:1]
	s_nop 0
	v_mov_b32_dpp v1, v3 row_bcast:15 row_mask:0xf bank_mask:0xf bound_ctrl:1
	v_mov_b32_dpp v2, v4 row_bcast:15 row_mask:0xf bank_mask:0xf bound_ctrl:1
	v_cmp_o_f64_e32 vcc, v[1:2], v[1:2]
	s_and_saveexec_b64 s[0:1], vcc
	s_cbranch_execz .LBB167_237
; %bb.234:
	v_cmp_o_f64_e32 vcc, v[3:4], v[3:4]
	s_and_saveexec_b64 s[8:9], vcc
	s_cbranch_execz .LBB167_236
; %bb.235:
	v_cmp_lt_f64_e32 vcc, v[3:4], v[1:2]
	v_cndmask_b32_e32 v4, v2, v4, vcc
	v_cndmask_b32_e32 v3, v1, v3, vcc
.LBB167_236:
	s_or_b64 exec, exec, s[8:9]
	v_mov_b32_e32 v1, v3
	v_mov_b32_e32 v2, v4
.LBB167_237:
	s_or_b64 exec, exec, s[0:1]
	v_mov_b32_dpp v3, v1 row_bcast:31 row_mask:0xf bank_mask:0xf bound_ctrl:1
	v_mov_b32_dpp v4, v2 row_bcast:31 row_mask:0xf bank_mask:0xf bound_ctrl:1
	v_cmp_o_f64_e32 vcc, v[3:4], v[3:4]
	s_and_saveexec_b64 s[0:1], vcc
	s_cbranch_execz .LBB167_241
; %bb.238:
	v_cmp_o_f64_e32 vcc, v[1:2], v[1:2]
	s_and_saveexec_b64 s[8:9], vcc
	s_cbranch_execz .LBB167_240
; %bb.239:
	v_cmp_lt_f64_e32 vcc, v[1:2], v[3:4]
	v_cndmask_b32_e32 v2, v4, v2, vcc
	v_cndmask_b32_e32 v1, v3, v1, vcc
.LBB167_240:
	s_or_b64 exec, exec, s[8:9]
	v_mov_b32_e32 v4, v2
	v_mov_b32_e32 v3, v1
.LBB167_241:
	s_or_b64 exec, exec, s[0:1]
	v_lshlrev_b32_e32 v5, 2, v9
	v_or_b32_e32 v2, 0xfc, v5
	ds_bpermute_b32 v1, v2, v3
	ds_bpermute_b32 v2, v2, v4
	v_cmp_eq_u32_e32 vcc, 0, v9
	s_and_saveexec_b64 s[0:1], vcc
	s_cbranch_execz .LBB167_243
; %bb.242:
	v_lshlrev_b32_e32 v3, 3, v10
	s_waitcnt lgkmcnt(0)
	ds_write_b64 v3, v[1:2]
.LBB167_243:
	s_or_b64 exec, exec, s[0:1]
	v_cmp_gt_u32_e32 vcc, 64, v0
	s_waitcnt lgkmcnt(0)
	s_barrier
	s_and_saveexec_b64 s[0:1], vcc
	s_cbranch_execz .LBB167_253
; %bb.244:
	v_and_b32_e32 v3, 3, v9
	v_lshlrev_b32_e32 v1, 3, v3
	ds_read_b64 v[1:2], v1
	v_cmp_ne_u32_e32 vcc, 3, v3
	v_addc_co_u32_e32 v3, vcc, 0, v9, vcc
	v_lshlrev_b32_e32 v4, 2, v3
	s_waitcnt lgkmcnt(0)
	v_cmp_o_f64_e32 vcc, v[1:2], v[1:2]
	ds_bpermute_b32 v3, v4, v1
	ds_bpermute_b32 v4, v4, v2
	s_and_saveexec_b64 s[8:9], vcc
	s_cbranch_execz .LBB167_248
; %bb.245:
	s_waitcnt lgkmcnt(0)
	v_cmp_o_f64_e32 vcc, v[3:4], v[3:4]
	s_and_saveexec_b64 s[12:13], vcc
	s_cbranch_execz .LBB167_247
; %bb.246:
	v_cmp_gt_f64_e32 vcc, v[1:2], v[3:4]
	v_cndmask_b32_e32 v4, v2, v4, vcc
	v_cndmask_b32_e32 v3, v1, v3, vcc
.LBB167_247:
	s_or_b64 exec, exec, s[12:13]
	v_mov_b32_e32 v1, v3
	v_mov_b32_e32 v2, v4
.LBB167_248:
	s_or_b64 exec, exec, s[8:9]
	v_cmp_o_f64_e32 vcc, v[1:2], v[1:2]
	s_waitcnt lgkmcnt(0)
	v_or_b32_e32 v4, 8, v5
	ds_bpermute_b32 v3, v4, v1
	ds_bpermute_b32 v4, v4, v2
	s_and_saveexec_b64 s[8:9], vcc
	s_cbranch_execz .LBB167_252
; %bb.249:
	s_waitcnt lgkmcnt(0)
	v_cmp_o_f64_e32 vcc, v[3:4], v[3:4]
	s_and_saveexec_b64 s[12:13], vcc
	s_cbranch_execz .LBB167_251
; %bb.250:
	v_cmp_gt_f64_e32 vcc, v[1:2], v[3:4]
	v_cndmask_b32_e32 v4, v2, v4, vcc
	v_cndmask_b32_e32 v3, v1, v3, vcc
.LBB167_251:
	s_or_b64 exec, exec, s[12:13]
	v_mov_b32_e32 v1, v3
	v_mov_b32_e32 v2, v4
.LBB167_252:
	s_or_b64 exec, exec, s[8:9]
.LBB167_253:
	s_or_b64 exec, exec, s[0:1]
.LBB167_254:
	v_cmp_eq_u32_e32 vcc, 0, v0
                                        ; implicit-def: $vgpr3_vgpr4
	s_and_saveexec_b64 s[0:1], vcc
	s_cbranch_execz .LBB167_260
; %bb.255:
	v_cmp_u_f64_e64 s[8:9], s[16:17], s[16:17]
	s_waitcnt vmcnt(0) lgkmcnt(0)
	v_mov_b32_e32 v3, s16
	v_mov_b32_e32 v4, s17
	s_and_b64 vcc, exec, s[8:9]
	s_cbranch_vccnz .LBB167_259
; %bb.256:
	v_cmp_o_f64_e32 vcc, v[1:2], v[1:2]
	s_and_saveexec_b64 s[8:9], vcc
	s_cbranch_execz .LBB167_258
; %bb.257:
	v_cmp_gt_f64_e32 vcc, s[16:17], v[1:2]
	v_mov_b32_e32 v0, s17
	v_cndmask_b32_e32 v2, v0, v2, vcc
	v_mov_b32_e32 v0, s16
	v_cndmask_b32_e32 v1, v0, v1, vcc
.LBB167_258:
	s_or_b64 exec, exec, s[8:9]
	v_mov_b32_e32 v4, v2
	v_mov_b32_e32 v3, v1
.LBB167_259:
	s_or_b64 s[6:7], s[6:7], exec
.LBB167_260:
	s_or_b64 exec, exec, s[0:1]
	s_and_saveexec_b64 s[0:1], s[6:7]
	s_cbranch_execz .LBB167_262
.LBB167_261:
	s_add_u32 s0, s10, s2
	s_addc_u32 s1, s11, s3
	s_add_u32 s0, s0, s4
	s_addc_u32 s1, s1, s5
	v_mov_b32_e32 v0, 0
	s_waitcnt vmcnt(0) lgkmcnt(0)
	global_store_dwordx2 v0, v[3:4], s[0:1]
.LBB167_262:
	s_endpgm
	.section	.rodata,"a",@progbits
	.p2align	6, 0x0
	.amdhsa_kernel _ZN7rocprim17ROCPRIM_400000_NS6detail17trampoline_kernelINS0_14default_configENS1_32segmented_reduce_config_selectorIdEEZNS1_21segmented_reduce_implIS3_PKdPdPKldN6hipcub16HIPCUB_304000_NS6detail27convert_result_type_wrapperIS8_S9_N2at6native12_GLOBAL__N_19CustomMinEEEEE10hipError_tPvRmT0_T1_jT2_SQ_T4_T3_P12ihipStream_tbEUlT_E_NS1_11comp_targetILNS1_3genE2ELNS1_11target_archE906ELNS1_3gpuE6ELNS1_3repE0EEENS1_30default_config_static_selectorELNS0_4arch9wavefront6targetE1EEEvSP_
		.amdhsa_group_segment_fixed_size 32
		.amdhsa_private_segment_fixed_size 0
		.amdhsa_kernarg_size 56
		.amdhsa_user_sgpr_count 6
		.amdhsa_user_sgpr_private_segment_buffer 1
		.amdhsa_user_sgpr_dispatch_ptr 0
		.amdhsa_user_sgpr_queue_ptr 0
		.amdhsa_user_sgpr_kernarg_segment_ptr 1
		.amdhsa_user_sgpr_dispatch_id 0
		.amdhsa_user_sgpr_flat_scratch_init 0
		.amdhsa_user_sgpr_private_segment_size 0
		.amdhsa_uses_dynamic_stack 0
		.amdhsa_system_sgpr_private_segment_wavefront_offset 0
		.amdhsa_system_sgpr_workgroup_id_x 1
		.amdhsa_system_sgpr_workgroup_id_y 0
		.amdhsa_system_sgpr_workgroup_id_z 0
		.amdhsa_system_sgpr_workgroup_info 0
		.amdhsa_system_vgpr_workitem_id 0
		.amdhsa_next_free_vgpr 26
		.amdhsa_next_free_sgpr 24
		.amdhsa_reserve_vcc 1
		.amdhsa_reserve_flat_scratch 0
		.amdhsa_float_round_mode_32 0
		.amdhsa_float_round_mode_16_64 0
		.amdhsa_float_denorm_mode_32 3
		.amdhsa_float_denorm_mode_16_64 3
		.amdhsa_dx10_clamp 1
		.amdhsa_ieee_mode 1
		.amdhsa_fp16_overflow 0
		.amdhsa_exception_fp_ieee_invalid_op 0
		.amdhsa_exception_fp_denorm_src 0
		.amdhsa_exception_fp_ieee_div_zero 0
		.amdhsa_exception_fp_ieee_overflow 0
		.amdhsa_exception_fp_ieee_underflow 0
		.amdhsa_exception_fp_ieee_inexact 0
		.amdhsa_exception_int_div_zero 0
	.end_amdhsa_kernel
	.section	.text._ZN7rocprim17ROCPRIM_400000_NS6detail17trampoline_kernelINS0_14default_configENS1_32segmented_reduce_config_selectorIdEEZNS1_21segmented_reduce_implIS3_PKdPdPKldN6hipcub16HIPCUB_304000_NS6detail27convert_result_type_wrapperIS8_S9_N2at6native12_GLOBAL__N_19CustomMinEEEEE10hipError_tPvRmT0_T1_jT2_SQ_T4_T3_P12ihipStream_tbEUlT_E_NS1_11comp_targetILNS1_3genE2ELNS1_11target_archE906ELNS1_3gpuE6ELNS1_3repE0EEENS1_30default_config_static_selectorELNS0_4arch9wavefront6targetE1EEEvSP_,"axG",@progbits,_ZN7rocprim17ROCPRIM_400000_NS6detail17trampoline_kernelINS0_14default_configENS1_32segmented_reduce_config_selectorIdEEZNS1_21segmented_reduce_implIS3_PKdPdPKldN6hipcub16HIPCUB_304000_NS6detail27convert_result_type_wrapperIS8_S9_N2at6native12_GLOBAL__N_19CustomMinEEEEE10hipError_tPvRmT0_T1_jT2_SQ_T4_T3_P12ihipStream_tbEUlT_E_NS1_11comp_targetILNS1_3genE2ELNS1_11target_archE906ELNS1_3gpuE6ELNS1_3repE0EEENS1_30default_config_static_selectorELNS0_4arch9wavefront6targetE1EEEvSP_,comdat
.Lfunc_end167:
	.size	_ZN7rocprim17ROCPRIM_400000_NS6detail17trampoline_kernelINS0_14default_configENS1_32segmented_reduce_config_selectorIdEEZNS1_21segmented_reduce_implIS3_PKdPdPKldN6hipcub16HIPCUB_304000_NS6detail27convert_result_type_wrapperIS8_S9_N2at6native12_GLOBAL__N_19CustomMinEEEEE10hipError_tPvRmT0_T1_jT2_SQ_T4_T3_P12ihipStream_tbEUlT_E_NS1_11comp_targetILNS1_3genE2ELNS1_11target_archE906ELNS1_3gpuE6ELNS1_3repE0EEENS1_30default_config_static_selectorELNS0_4arch9wavefront6targetE1EEEvSP_, .Lfunc_end167-_ZN7rocprim17ROCPRIM_400000_NS6detail17trampoline_kernelINS0_14default_configENS1_32segmented_reduce_config_selectorIdEEZNS1_21segmented_reduce_implIS3_PKdPdPKldN6hipcub16HIPCUB_304000_NS6detail27convert_result_type_wrapperIS8_S9_N2at6native12_GLOBAL__N_19CustomMinEEEEE10hipError_tPvRmT0_T1_jT2_SQ_T4_T3_P12ihipStream_tbEUlT_E_NS1_11comp_targetILNS1_3genE2ELNS1_11target_archE906ELNS1_3gpuE6ELNS1_3repE0EEENS1_30default_config_static_selectorELNS0_4arch9wavefront6targetE1EEEvSP_
                                        ; -- End function
	.set _ZN7rocprim17ROCPRIM_400000_NS6detail17trampoline_kernelINS0_14default_configENS1_32segmented_reduce_config_selectorIdEEZNS1_21segmented_reduce_implIS3_PKdPdPKldN6hipcub16HIPCUB_304000_NS6detail27convert_result_type_wrapperIS8_S9_N2at6native12_GLOBAL__N_19CustomMinEEEEE10hipError_tPvRmT0_T1_jT2_SQ_T4_T3_P12ihipStream_tbEUlT_E_NS1_11comp_targetILNS1_3genE2ELNS1_11target_archE906ELNS1_3gpuE6ELNS1_3repE0EEENS1_30default_config_static_selectorELNS0_4arch9wavefront6targetE1EEEvSP_.num_vgpr, 26
	.set _ZN7rocprim17ROCPRIM_400000_NS6detail17trampoline_kernelINS0_14default_configENS1_32segmented_reduce_config_selectorIdEEZNS1_21segmented_reduce_implIS3_PKdPdPKldN6hipcub16HIPCUB_304000_NS6detail27convert_result_type_wrapperIS8_S9_N2at6native12_GLOBAL__N_19CustomMinEEEEE10hipError_tPvRmT0_T1_jT2_SQ_T4_T3_P12ihipStream_tbEUlT_E_NS1_11comp_targetILNS1_3genE2ELNS1_11target_archE906ELNS1_3gpuE6ELNS1_3repE0EEENS1_30default_config_static_selectorELNS0_4arch9wavefront6targetE1EEEvSP_.num_agpr, 0
	.set _ZN7rocprim17ROCPRIM_400000_NS6detail17trampoline_kernelINS0_14default_configENS1_32segmented_reduce_config_selectorIdEEZNS1_21segmented_reduce_implIS3_PKdPdPKldN6hipcub16HIPCUB_304000_NS6detail27convert_result_type_wrapperIS8_S9_N2at6native12_GLOBAL__N_19CustomMinEEEEE10hipError_tPvRmT0_T1_jT2_SQ_T4_T3_P12ihipStream_tbEUlT_E_NS1_11comp_targetILNS1_3genE2ELNS1_11target_archE906ELNS1_3gpuE6ELNS1_3repE0EEENS1_30default_config_static_selectorELNS0_4arch9wavefront6targetE1EEEvSP_.numbered_sgpr, 24
	.set _ZN7rocprim17ROCPRIM_400000_NS6detail17trampoline_kernelINS0_14default_configENS1_32segmented_reduce_config_selectorIdEEZNS1_21segmented_reduce_implIS3_PKdPdPKldN6hipcub16HIPCUB_304000_NS6detail27convert_result_type_wrapperIS8_S9_N2at6native12_GLOBAL__N_19CustomMinEEEEE10hipError_tPvRmT0_T1_jT2_SQ_T4_T3_P12ihipStream_tbEUlT_E_NS1_11comp_targetILNS1_3genE2ELNS1_11target_archE906ELNS1_3gpuE6ELNS1_3repE0EEENS1_30default_config_static_selectorELNS0_4arch9wavefront6targetE1EEEvSP_.num_named_barrier, 0
	.set _ZN7rocprim17ROCPRIM_400000_NS6detail17trampoline_kernelINS0_14default_configENS1_32segmented_reduce_config_selectorIdEEZNS1_21segmented_reduce_implIS3_PKdPdPKldN6hipcub16HIPCUB_304000_NS6detail27convert_result_type_wrapperIS8_S9_N2at6native12_GLOBAL__N_19CustomMinEEEEE10hipError_tPvRmT0_T1_jT2_SQ_T4_T3_P12ihipStream_tbEUlT_E_NS1_11comp_targetILNS1_3genE2ELNS1_11target_archE906ELNS1_3gpuE6ELNS1_3repE0EEENS1_30default_config_static_selectorELNS0_4arch9wavefront6targetE1EEEvSP_.private_seg_size, 0
	.set _ZN7rocprim17ROCPRIM_400000_NS6detail17trampoline_kernelINS0_14default_configENS1_32segmented_reduce_config_selectorIdEEZNS1_21segmented_reduce_implIS3_PKdPdPKldN6hipcub16HIPCUB_304000_NS6detail27convert_result_type_wrapperIS8_S9_N2at6native12_GLOBAL__N_19CustomMinEEEEE10hipError_tPvRmT0_T1_jT2_SQ_T4_T3_P12ihipStream_tbEUlT_E_NS1_11comp_targetILNS1_3genE2ELNS1_11target_archE906ELNS1_3gpuE6ELNS1_3repE0EEENS1_30default_config_static_selectorELNS0_4arch9wavefront6targetE1EEEvSP_.uses_vcc, 1
	.set _ZN7rocprim17ROCPRIM_400000_NS6detail17trampoline_kernelINS0_14default_configENS1_32segmented_reduce_config_selectorIdEEZNS1_21segmented_reduce_implIS3_PKdPdPKldN6hipcub16HIPCUB_304000_NS6detail27convert_result_type_wrapperIS8_S9_N2at6native12_GLOBAL__N_19CustomMinEEEEE10hipError_tPvRmT0_T1_jT2_SQ_T4_T3_P12ihipStream_tbEUlT_E_NS1_11comp_targetILNS1_3genE2ELNS1_11target_archE906ELNS1_3gpuE6ELNS1_3repE0EEENS1_30default_config_static_selectorELNS0_4arch9wavefront6targetE1EEEvSP_.uses_flat_scratch, 0
	.set _ZN7rocprim17ROCPRIM_400000_NS6detail17trampoline_kernelINS0_14default_configENS1_32segmented_reduce_config_selectorIdEEZNS1_21segmented_reduce_implIS3_PKdPdPKldN6hipcub16HIPCUB_304000_NS6detail27convert_result_type_wrapperIS8_S9_N2at6native12_GLOBAL__N_19CustomMinEEEEE10hipError_tPvRmT0_T1_jT2_SQ_T4_T3_P12ihipStream_tbEUlT_E_NS1_11comp_targetILNS1_3genE2ELNS1_11target_archE906ELNS1_3gpuE6ELNS1_3repE0EEENS1_30default_config_static_selectorELNS0_4arch9wavefront6targetE1EEEvSP_.has_dyn_sized_stack, 0
	.set _ZN7rocprim17ROCPRIM_400000_NS6detail17trampoline_kernelINS0_14default_configENS1_32segmented_reduce_config_selectorIdEEZNS1_21segmented_reduce_implIS3_PKdPdPKldN6hipcub16HIPCUB_304000_NS6detail27convert_result_type_wrapperIS8_S9_N2at6native12_GLOBAL__N_19CustomMinEEEEE10hipError_tPvRmT0_T1_jT2_SQ_T4_T3_P12ihipStream_tbEUlT_E_NS1_11comp_targetILNS1_3genE2ELNS1_11target_archE906ELNS1_3gpuE6ELNS1_3repE0EEENS1_30default_config_static_selectorELNS0_4arch9wavefront6targetE1EEEvSP_.has_recursion, 0
	.set _ZN7rocprim17ROCPRIM_400000_NS6detail17trampoline_kernelINS0_14default_configENS1_32segmented_reduce_config_selectorIdEEZNS1_21segmented_reduce_implIS3_PKdPdPKldN6hipcub16HIPCUB_304000_NS6detail27convert_result_type_wrapperIS8_S9_N2at6native12_GLOBAL__N_19CustomMinEEEEE10hipError_tPvRmT0_T1_jT2_SQ_T4_T3_P12ihipStream_tbEUlT_E_NS1_11comp_targetILNS1_3genE2ELNS1_11target_archE906ELNS1_3gpuE6ELNS1_3repE0EEENS1_30default_config_static_selectorELNS0_4arch9wavefront6targetE1EEEvSP_.has_indirect_call, 0
	.section	.AMDGPU.csdata,"",@progbits
; Kernel info:
; codeLenInByte = 5488
; TotalNumSgprs: 28
; NumVgprs: 26
; ScratchSize: 0
; MemoryBound: 0
; FloatMode: 240
; IeeeMode: 1
; LDSByteSize: 32 bytes/workgroup (compile time only)
; SGPRBlocks: 3
; VGPRBlocks: 6
; NumSGPRsForWavesPerEU: 28
; NumVGPRsForWavesPerEU: 26
; Occupancy: 9
; WaveLimiterHint : 1
; COMPUTE_PGM_RSRC2:SCRATCH_EN: 0
; COMPUTE_PGM_RSRC2:USER_SGPR: 6
; COMPUTE_PGM_RSRC2:TRAP_HANDLER: 0
; COMPUTE_PGM_RSRC2:TGID_X_EN: 1
; COMPUTE_PGM_RSRC2:TGID_Y_EN: 0
; COMPUTE_PGM_RSRC2:TGID_Z_EN: 0
; COMPUTE_PGM_RSRC2:TIDIG_COMP_CNT: 0
	.section	.text._ZN7rocprim17ROCPRIM_400000_NS6detail17trampoline_kernelINS0_14default_configENS1_32segmented_reduce_config_selectorIdEEZNS1_21segmented_reduce_implIS3_PKdPdPKldN6hipcub16HIPCUB_304000_NS6detail27convert_result_type_wrapperIS8_S9_N2at6native12_GLOBAL__N_19CustomMinEEEEE10hipError_tPvRmT0_T1_jT2_SQ_T4_T3_P12ihipStream_tbEUlT_E_NS1_11comp_targetILNS1_3genE9ELNS1_11target_archE1100ELNS1_3gpuE3ELNS1_3repE0EEENS1_30default_config_static_selectorELNS0_4arch9wavefront6targetE1EEEvSP_,"axG",@progbits,_ZN7rocprim17ROCPRIM_400000_NS6detail17trampoline_kernelINS0_14default_configENS1_32segmented_reduce_config_selectorIdEEZNS1_21segmented_reduce_implIS3_PKdPdPKldN6hipcub16HIPCUB_304000_NS6detail27convert_result_type_wrapperIS8_S9_N2at6native12_GLOBAL__N_19CustomMinEEEEE10hipError_tPvRmT0_T1_jT2_SQ_T4_T3_P12ihipStream_tbEUlT_E_NS1_11comp_targetILNS1_3genE9ELNS1_11target_archE1100ELNS1_3gpuE3ELNS1_3repE0EEENS1_30default_config_static_selectorELNS0_4arch9wavefront6targetE1EEEvSP_,comdat
	.globl	_ZN7rocprim17ROCPRIM_400000_NS6detail17trampoline_kernelINS0_14default_configENS1_32segmented_reduce_config_selectorIdEEZNS1_21segmented_reduce_implIS3_PKdPdPKldN6hipcub16HIPCUB_304000_NS6detail27convert_result_type_wrapperIS8_S9_N2at6native12_GLOBAL__N_19CustomMinEEEEE10hipError_tPvRmT0_T1_jT2_SQ_T4_T3_P12ihipStream_tbEUlT_E_NS1_11comp_targetILNS1_3genE9ELNS1_11target_archE1100ELNS1_3gpuE3ELNS1_3repE0EEENS1_30default_config_static_selectorELNS0_4arch9wavefront6targetE1EEEvSP_ ; -- Begin function _ZN7rocprim17ROCPRIM_400000_NS6detail17trampoline_kernelINS0_14default_configENS1_32segmented_reduce_config_selectorIdEEZNS1_21segmented_reduce_implIS3_PKdPdPKldN6hipcub16HIPCUB_304000_NS6detail27convert_result_type_wrapperIS8_S9_N2at6native12_GLOBAL__N_19CustomMinEEEEE10hipError_tPvRmT0_T1_jT2_SQ_T4_T3_P12ihipStream_tbEUlT_E_NS1_11comp_targetILNS1_3genE9ELNS1_11target_archE1100ELNS1_3gpuE3ELNS1_3repE0EEENS1_30default_config_static_selectorELNS0_4arch9wavefront6targetE1EEEvSP_
	.p2align	8
	.type	_ZN7rocprim17ROCPRIM_400000_NS6detail17trampoline_kernelINS0_14default_configENS1_32segmented_reduce_config_selectorIdEEZNS1_21segmented_reduce_implIS3_PKdPdPKldN6hipcub16HIPCUB_304000_NS6detail27convert_result_type_wrapperIS8_S9_N2at6native12_GLOBAL__N_19CustomMinEEEEE10hipError_tPvRmT0_T1_jT2_SQ_T4_T3_P12ihipStream_tbEUlT_E_NS1_11comp_targetILNS1_3genE9ELNS1_11target_archE1100ELNS1_3gpuE3ELNS1_3repE0EEENS1_30default_config_static_selectorELNS0_4arch9wavefront6targetE1EEEvSP_,@function
_ZN7rocprim17ROCPRIM_400000_NS6detail17trampoline_kernelINS0_14default_configENS1_32segmented_reduce_config_selectorIdEEZNS1_21segmented_reduce_implIS3_PKdPdPKldN6hipcub16HIPCUB_304000_NS6detail27convert_result_type_wrapperIS8_S9_N2at6native12_GLOBAL__N_19CustomMinEEEEE10hipError_tPvRmT0_T1_jT2_SQ_T4_T3_P12ihipStream_tbEUlT_E_NS1_11comp_targetILNS1_3genE9ELNS1_11target_archE1100ELNS1_3gpuE3ELNS1_3repE0EEENS1_30default_config_static_selectorELNS0_4arch9wavefront6targetE1EEEvSP_: ; @_ZN7rocprim17ROCPRIM_400000_NS6detail17trampoline_kernelINS0_14default_configENS1_32segmented_reduce_config_selectorIdEEZNS1_21segmented_reduce_implIS3_PKdPdPKldN6hipcub16HIPCUB_304000_NS6detail27convert_result_type_wrapperIS8_S9_N2at6native12_GLOBAL__N_19CustomMinEEEEE10hipError_tPvRmT0_T1_jT2_SQ_T4_T3_P12ihipStream_tbEUlT_E_NS1_11comp_targetILNS1_3genE9ELNS1_11target_archE1100ELNS1_3gpuE3ELNS1_3repE0EEENS1_30default_config_static_selectorELNS0_4arch9wavefront6targetE1EEEvSP_
; %bb.0:
	.section	.rodata,"a",@progbits
	.p2align	6, 0x0
	.amdhsa_kernel _ZN7rocprim17ROCPRIM_400000_NS6detail17trampoline_kernelINS0_14default_configENS1_32segmented_reduce_config_selectorIdEEZNS1_21segmented_reduce_implIS3_PKdPdPKldN6hipcub16HIPCUB_304000_NS6detail27convert_result_type_wrapperIS8_S9_N2at6native12_GLOBAL__N_19CustomMinEEEEE10hipError_tPvRmT0_T1_jT2_SQ_T4_T3_P12ihipStream_tbEUlT_E_NS1_11comp_targetILNS1_3genE9ELNS1_11target_archE1100ELNS1_3gpuE3ELNS1_3repE0EEENS1_30default_config_static_selectorELNS0_4arch9wavefront6targetE1EEEvSP_
		.amdhsa_group_segment_fixed_size 0
		.amdhsa_private_segment_fixed_size 0
		.amdhsa_kernarg_size 56
		.amdhsa_user_sgpr_count 6
		.amdhsa_user_sgpr_private_segment_buffer 1
		.amdhsa_user_sgpr_dispatch_ptr 0
		.amdhsa_user_sgpr_queue_ptr 0
		.amdhsa_user_sgpr_kernarg_segment_ptr 1
		.amdhsa_user_sgpr_dispatch_id 0
		.amdhsa_user_sgpr_flat_scratch_init 0
		.amdhsa_user_sgpr_private_segment_size 0
		.amdhsa_uses_dynamic_stack 0
		.amdhsa_system_sgpr_private_segment_wavefront_offset 0
		.amdhsa_system_sgpr_workgroup_id_x 1
		.amdhsa_system_sgpr_workgroup_id_y 0
		.amdhsa_system_sgpr_workgroup_id_z 0
		.amdhsa_system_sgpr_workgroup_info 0
		.amdhsa_system_vgpr_workitem_id 0
		.amdhsa_next_free_vgpr 1
		.amdhsa_next_free_sgpr 0
		.amdhsa_reserve_vcc 0
		.amdhsa_reserve_flat_scratch 0
		.amdhsa_float_round_mode_32 0
		.amdhsa_float_round_mode_16_64 0
		.amdhsa_float_denorm_mode_32 3
		.amdhsa_float_denorm_mode_16_64 3
		.amdhsa_dx10_clamp 1
		.amdhsa_ieee_mode 1
		.amdhsa_fp16_overflow 0
		.amdhsa_exception_fp_ieee_invalid_op 0
		.amdhsa_exception_fp_denorm_src 0
		.amdhsa_exception_fp_ieee_div_zero 0
		.amdhsa_exception_fp_ieee_overflow 0
		.amdhsa_exception_fp_ieee_underflow 0
		.amdhsa_exception_fp_ieee_inexact 0
		.amdhsa_exception_int_div_zero 0
	.end_amdhsa_kernel
	.section	.text._ZN7rocprim17ROCPRIM_400000_NS6detail17trampoline_kernelINS0_14default_configENS1_32segmented_reduce_config_selectorIdEEZNS1_21segmented_reduce_implIS3_PKdPdPKldN6hipcub16HIPCUB_304000_NS6detail27convert_result_type_wrapperIS8_S9_N2at6native12_GLOBAL__N_19CustomMinEEEEE10hipError_tPvRmT0_T1_jT2_SQ_T4_T3_P12ihipStream_tbEUlT_E_NS1_11comp_targetILNS1_3genE9ELNS1_11target_archE1100ELNS1_3gpuE3ELNS1_3repE0EEENS1_30default_config_static_selectorELNS0_4arch9wavefront6targetE1EEEvSP_,"axG",@progbits,_ZN7rocprim17ROCPRIM_400000_NS6detail17trampoline_kernelINS0_14default_configENS1_32segmented_reduce_config_selectorIdEEZNS1_21segmented_reduce_implIS3_PKdPdPKldN6hipcub16HIPCUB_304000_NS6detail27convert_result_type_wrapperIS8_S9_N2at6native12_GLOBAL__N_19CustomMinEEEEE10hipError_tPvRmT0_T1_jT2_SQ_T4_T3_P12ihipStream_tbEUlT_E_NS1_11comp_targetILNS1_3genE9ELNS1_11target_archE1100ELNS1_3gpuE3ELNS1_3repE0EEENS1_30default_config_static_selectorELNS0_4arch9wavefront6targetE1EEEvSP_,comdat
.Lfunc_end168:
	.size	_ZN7rocprim17ROCPRIM_400000_NS6detail17trampoline_kernelINS0_14default_configENS1_32segmented_reduce_config_selectorIdEEZNS1_21segmented_reduce_implIS3_PKdPdPKldN6hipcub16HIPCUB_304000_NS6detail27convert_result_type_wrapperIS8_S9_N2at6native12_GLOBAL__N_19CustomMinEEEEE10hipError_tPvRmT0_T1_jT2_SQ_T4_T3_P12ihipStream_tbEUlT_E_NS1_11comp_targetILNS1_3genE9ELNS1_11target_archE1100ELNS1_3gpuE3ELNS1_3repE0EEENS1_30default_config_static_selectorELNS0_4arch9wavefront6targetE1EEEvSP_, .Lfunc_end168-_ZN7rocprim17ROCPRIM_400000_NS6detail17trampoline_kernelINS0_14default_configENS1_32segmented_reduce_config_selectorIdEEZNS1_21segmented_reduce_implIS3_PKdPdPKldN6hipcub16HIPCUB_304000_NS6detail27convert_result_type_wrapperIS8_S9_N2at6native12_GLOBAL__N_19CustomMinEEEEE10hipError_tPvRmT0_T1_jT2_SQ_T4_T3_P12ihipStream_tbEUlT_E_NS1_11comp_targetILNS1_3genE9ELNS1_11target_archE1100ELNS1_3gpuE3ELNS1_3repE0EEENS1_30default_config_static_selectorELNS0_4arch9wavefront6targetE1EEEvSP_
                                        ; -- End function
	.set _ZN7rocprim17ROCPRIM_400000_NS6detail17trampoline_kernelINS0_14default_configENS1_32segmented_reduce_config_selectorIdEEZNS1_21segmented_reduce_implIS3_PKdPdPKldN6hipcub16HIPCUB_304000_NS6detail27convert_result_type_wrapperIS8_S9_N2at6native12_GLOBAL__N_19CustomMinEEEEE10hipError_tPvRmT0_T1_jT2_SQ_T4_T3_P12ihipStream_tbEUlT_E_NS1_11comp_targetILNS1_3genE9ELNS1_11target_archE1100ELNS1_3gpuE3ELNS1_3repE0EEENS1_30default_config_static_selectorELNS0_4arch9wavefront6targetE1EEEvSP_.num_vgpr, 0
	.set _ZN7rocprim17ROCPRIM_400000_NS6detail17trampoline_kernelINS0_14default_configENS1_32segmented_reduce_config_selectorIdEEZNS1_21segmented_reduce_implIS3_PKdPdPKldN6hipcub16HIPCUB_304000_NS6detail27convert_result_type_wrapperIS8_S9_N2at6native12_GLOBAL__N_19CustomMinEEEEE10hipError_tPvRmT0_T1_jT2_SQ_T4_T3_P12ihipStream_tbEUlT_E_NS1_11comp_targetILNS1_3genE9ELNS1_11target_archE1100ELNS1_3gpuE3ELNS1_3repE0EEENS1_30default_config_static_selectorELNS0_4arch9wavefront6targetE1EEEvSP_.num_agpr, 0
	.set _ZN7rocprim17ROCPRIM_400000_NS6detail17trampoline_kernelINS0_14default_configENS1_32segmented_reduce_config_selectorIdEEZNS1_21segmented_reduce_implIS3_PKdPdPKldN6hipcub16HIPCUB_304000_NS6detail27convert_result_type_wrapperIS8_S9_N2at6native12_GLOBAL__N_19CustomMinEEEEE10hipError_tPvRmT0_T1_jT2_SQ_T4_T3_P12ihipStream_tbEUlT_E_NS1_11comp_targetILNS1_3genE9ELNS1_11target_archE1100ELNS1_3gpuE3ELNS1_3repE0EEENS1_30default_config_static_selectorELNS0_4arch9wavefront6targetE1EEEvSP_.numbered_sgpr, 0
	.set _ZN7rocprim17ROCPRIM_400000_NS6detail17trampoline_kernelINS0_14default_configENS1_32segmented_reduce_config_selectorIdEEZNS1_21segmented_reduce_implIS3_PKdPdPKldN6hipcub16HIPCUB_304000_NS6detail27convert_result_type_wrapperIS8_S9_N2at6native12_GLOBAL__N_19CustomMinEEEEE10hipError_tPvRmT0_T1_jT2_SQ_T4_T3_P12ihipStream_tbEUlT_E_NS1_11comp_targetILNS1_3genE9ELNS1_11target_archE1100ELNS1_3gpuE3ELNS1_3repE0EEENS1_30default_config_static_selectorELNS0_4arch9wavefront6targetE1EEEvSP_.num_named_barrier, 0
	.set _ZN7rocprim17ROCPRIM_400000_NS6detail17trampoline_kernelINS0_14default_configENS1_32segmented_reduce_config_selectorIdEEZNS1_21segmented_reduce_implIS3_PKdPdPKldN6hipcub16HIPCUB_304000_NS6detail27convert_result_type_wrapperIS8_S9_N2at6native12_GLOBAL__N_19CustomMinEEEEE10hipError_tPvRmT0_T1_jT2_SQ_T4_T3_P12ihipStream_tbEUlT_E_NS1_11comp_targetILNS1_3genE9ELNS1_11target_archE1100ELNS1_3gpuE3ELNS1_3repE0EEENS1_30default_config_static_selectorELNS0_4arch9wavefront6targetE1EEEvSP_.private_seg_size, 0
	.set _ZN7rocprim17ROCPRIM_400000_NS6detail17trampoline_kernelINS0_14default_configENS1_32segmented_reduce_config_selectorIdEEZNS1_21segmented_reduce_implIS3_PKdPdPKldN6hipcub16HIPCUB_304000_NS6detail27convert_result_type_wrapperIS8_S9_N2at6native12_GLOBAL__N_19CustomMinEEEEE10hipError_tPvRmT0_T1_jT2_SQ_T4_T3_P12ihipStream_tbEUlT_E_NS1_11comp_targetILNS1_3genE9ELNS1_11target_archE1100ELNS1_3gpuE3ELNS1_3repE0EEENS1_30default_config_static_selectorELNS0_4arch9wavefront6targetE1EEEvSP_.uses_vcc, 0
	.set _ZN7rocprim17ROCPRIM_400000_NS6detail17trampoline_kernelINS0_14default_configENS1_32segmented_reduce_config_selectorIdEEZNS1_21segmented_reduce_implIS3_PKdPdPKldN6hipcub16HIPCUB_304000_NS6detail27convert_result_type_wrapperIS8_S9_N2at6native12_GLOBAL__N_19CustomMinEEEEE10hipError_tPvRmT0_T1_jT2_SQ_T4_T3_P12ihipStream_tbEUlT_E_NS1_11comp_targetILNS1_3genE9ELNS1_11target_archE1100ELNS1_3gpuE3ELNS1_3repE0EEENS1_30default_config_static_selectorELNS0_4arch9wavefront6targetE1EEEvSP_.uses_flat_scratch, 0
	.set _ZN7rocprim17ROCPRIM_400000_NS6detail17trampoline_kernelINS0_14default_configENS1_32segmented_reduce_config_selectorIdEEZNS1_21segmented_reduce_implIS3_PKdPdPKldN6hipcub16HIPCUB_304000_NS6detail27convert_result_type_wrapperIS8_S9_N2at6native12_GLOBAL__N_19CustomMinEEEEE10hipError_tPvRmT0_T1_jT2_SQ_T4_T3_P12ihipStream_tbEUlT_E_NS1_11comp_targetILNS1_3genE9ELNS1_11target_archE1100ELNS1_3gpuE3ELNS1_3repE0EEENS1_30default_config_static_selectorELNS0_4arch9wavefront6targetE1EEEvSP_.has_dyn_sized_stack, 0
	.set _ZN7rocprim17ROCPRIM_400000_NS6detail17trampoline_kernelINS0_14default_configENS1_32segmented_reduce_config_selectorIdEEZNS1_21segmented_reduce_implIS3_PKdPdPKldN6hipcub16HIPCUB_304000_NS6detail27convert_result_type_wrapperIS8_S9_N2at6native12_GLOBAL__N_19CustomMinEEEEE10hipError_tPvRmT0_T1_jT2_SQ_T4_T3_P12ihipStream_tbEUlT_E_NS1_11comp_targetILNS1_3genE9ELNS1_11target_archE1100ELNS1_3gpuE3ELNS1_3repE0EEENS1_30default_config_static_selectorELNS0_4arch9wavefront6targetE1EEEvSP_.has_recursion, 0
	.set _ZN7rocprim17ROCPRIM_400000_NS6detail17trampoline_kernelINS0_14default_configENS1_32segmented_reduce_config_selectorIdEEZNS1_21segmented_reduce_implIS3_PKdPdPKldN6hipcub16HIPCUB_304000_NS6detail27convert_result_type_wrapperIS8_S9_N2at6native12_GLOBAL__N_19CustomMinEEEEE10hipError_tPvRmT0_T1_jT2_SQ_T4_T3_P12ihipStream_tbEUlT_E_NS1_11comp_targetILNS1_3genE9ELNS1_11target_archE1100ELNS1_3gpuE3ELNS1_3repE0EEENS1_30default_config_static_selectorELNS0_4arch9wavefront6targetE1EEEvSP_.has_indirect_call, 0
	.section	.AMDGPU.csdata,"",@progbits
; Kernel info:
; codeLenInByte = 0
; TotalNumSgprs: 4
; NumVgprs: 0
; ScratchSize: 0
; MemoryBound: 0
; FloatMode: 240
; IeeeMode: 1
; LDSByteSize: 0 bytes/workgroup (compile time only)
; SGPRBlocks: 0
; VGPRBlocks: 0
; NumSGPRsForWavesPerEU: 4
; NumVGPRsForWavesPerEU: 1
; Occupancy: 10
; WaveLimiterHint : 0
; COMPUTE_PGM_RSRC2:SCRATCH_EN: 0
; COMPUTE_PGM_RSRC2:USER_SGPR: 6
; COMPUTE_PGM_RSRC2:TRAP_HANDLER: 0
; COMPUTE_PGM_RSRC2:TGID_X_EN: 1
; COMPUTE_PGM_RSRC2:TGID_Y_EN: 0
; COMPUTE_PGM_RSRC2:TGID_Z_EN: 0
; COMPUTE_PGM_RSRC2:TIDIG_COMP_CNT: 0
	.section	.text._ZN7rocprim17ROCPRIM_400000_NS6detail17trampoline_kernelINS0_14default_configENS1_32segmented_reduce_config_selectorIdEEZNS1_21segmented_reduce_implIS3_PKdPdPKldN6hipcub16HIPCUB_304000_NS6detail27convert_result_type_wrapperIS8_S9_N2at6native12_GLOBAL__N_19CustomMinEEEEE10hipError_tPvRmT0_T1_jT2_SQ_T4_T3_P12ihipStream_tbEUlT_E_NS1_11comp_targetILNS1_3genE8ELNS1_11target_archE1030ELNS1_3gpuE2ELNS1_3repE0EEENS1_30default_config_static_selectorELNS0_4arch9wavefront6targetE1EEEvSP_,"axG",@progbits,_ZN7rocprim17ROCPRIM_400000_NS6detail17trampoline_kernelINS0_14default_configENS1_32segmented_reduce_config_selectorIdEEZNS1_21segmented_reduce_implIS3_PKdPdPKldN6hipcub16HIPCUB_304000_NS6detail27convert_result_type_wrapperIS8_S9_N2at6native12_GLOBAL__N_19CustomMinEEEEE10hipError_tPvRmT0_T1_jT2_SQ_T4_T3_P12ihipStream_tbEUlT_E_NS1_11comp_targetILNS1_3genE8ELNS1_11target_archE1030ELNS1_3gpuE2ELNS1_3repE0EEENS1_30default_config_static_selectorELNS0_4arch9wavefront6targetE1EEEvSP_,comdat
	.globl	_ZN7rocprim17ROCPRIM_400000_NS6detail17trampoline_kernelINS0_14default_configENS1_32segmented_reduce_config_selectorIdEEZNS1_21segmented_reduce_implIS3_PKdPdPKldN6hipcub16HIPCUB_304000_NS6detail27convert_result_type_wrapperIS8_S9_N2at6native12_GLOBAL__N_19CustomMinEEEEE10hipError_tPvRmT0_T1_jT2_SQ_T4_T3_P12ihipStream_tbEUlT_E_NS1_11comp_targetILNS1_3genE8ELNS1_11target_archE1030ELNS1_3gpuE2ELNS1_3repE0EEENS1_30default_config_static_selectorELNS0_4arch9wavefront6targetE1EEEvSP_ ; -- Begin function _ZN7rocprim17ROCPRIM_400000_NS6detail17trampoline_kernelINS0_14default_configENS1_32segmented_reduce_config_selectorIdEEZNS1_21segmented_reduce_implIS3_PKdPdPKldN6hipcub16HIPCUB_304000_NS6detail27convert_result_type_wrapperIS8_S9_N2at6native12_GLOBAL__N_19CustomMinEEEEE10hipError_tPvRmT0_T1_jT2_SQ_T4_T3_P12ihipStream_tbEUlT_E_NS1_11comp_targetILNS1_3genE8ELNS1_11target_archE1030ELNS1_3gpuE2ELNS1_3repE0EEENS1_30default_config_static_selectorELNS0_4arch9wavefront6targetE1EEEvSP_
	.p2align	8
	.type	_ZN7rocprim17ROCPRIM_400000_NS6detail17trampoline_kernelINS0_14default_configENS1_32segmented_reduce_config_selectorIdEEZNS1_21segmented_reduce_implIS3_PKdPdPKldN6hipcub16HIPCUB_304000_NS6detail27convert_result_type_wrapperIS8_S9_N2at6native12_GLOBAL__N_19CustomMinEEEEE10hipError_tPvRmT0_T1_jT2_SQ_T4_T3_P12ihipStream_tbEUlT_E_NS1_11comp_targetILNS1_3genE8ELNS1_11target_archE1030ELNS1_3gpuE2ELNS1_3repE0EEENS1_30default_config_static_selectorELNS0_4arch9wavefront6targetE1EEEvSP_,@function
_ZN7rocprim17ROCPRIM_400000_NS6detail17trampoline_kernelINS0_14default_configENS1_32segmented_reduce_config_selectorIdEEZNS1_21segmented_reduce_implIS3_PKdPdPKldN6hipcub16HIPCUB_304000_NS6detail27convert_result_type_wrapperIS8_S9_N2at6native12_GLOBAL__N_19CustomMinEEEEE10hipError_tPvRmT0_T1_jT2_SQ_T4_T3_P12ihipStream_tbEUlT_E_NS1_11comp_targetILNS1_3genE8ELNS1_11target_archE1030ELNS1_3gpuE2ELNS1_3repE0EEENS1_30default_config_static_selectorELNS0_4arch9wavefront6targetE1EEEvSP_: ; @_ZN7rocprim17ROCPRIM_400000_NS6detail17trampoline_kernelINS0_14default_configENS1_32segmented_reduce_config_selectorIdEEZNS1_21segmented_reduce_implIS3_PKdPdPKldN6hipcub16HIPCUB_304000_NS6detail27convert_result_type_wrapperIS8_S9_N2at6native12_GLOBAL__N_19CustomMinEEEEE10hipError_tPvRmT0_T1_jT2_SQ_T4_T3_P12ihipStream_tbEUlT_E_NS1_11comp_targetILNS1_3genE8ELNS1_11target_archE1030ELNS1_3gpuE2ELNS1_3repE0EEENS1_30default_config_static_selectorELNS0_4arch9wavefront6targetE1EEEvSP_
; %bb.0:
	.section	.rodata,"a",@progbits
	.p2align	6, 0x0
	.amdhsa_kernel _ZN7rocprim17ROCPRIM_400000_NS6detail17trampoline_kernelINS0_14default_configENS1_32segmented_reduce_config_selectorIdEEZNS1_21segmented_reduce_implIS3_PKdPdPKldN6hipcub16HIPCUB_304000_NS6detail27convert_result_type_wrapperIS8_S9_N2at6native12_GLOBAL__N_19CustomMinEEEEE10hipError_tPvRmT0_T1_jT2_SQ_T4_T3_P12ihipStream_tbEUlT_E_NS1_11comp_targetILNS1_3genE8ELNS1_11target_archE1030ELNS1_3gpuE2ELNS1_3repE0EEENS1_30default_config_static_selectorELNS0_4arch9wavefront6targetE1EEEvSP_
		.amdhsa_group_segment_fixed_size 0
		.amdhsa_private_segment_fixed_size 0
		.amdhsa_kernarg_size 56
		.amdhsa_user_sgpr_count 6
		.amdhsa_user_sgpr_private_segment_buffer 1
		.amdhsa_user_sgpr_dispatch_ptr 0
		.amdhsa_user_sgpr_queue_ptr 0
		.amdhsa_user_sgpr_kernarg_segment_ptr 1
		.amdhsa_user_sgpr_dispatch_id 0
		.amdhsa_user_sgpr_flat_scratch_init 0
		.amdhsa_user_sgpr_private_segment_size 0
		.amdhsa_uses_dynamic_stack 0
		.amdhsa_system_sgpr_private_segment_wavefront_offset 0
		.amdhsa_system_sgpr_workgroup_id_x 1
		.amdhsa_system_sgpr_workgroup_id_y 0
		.amdhsa_system_sgpr_workgroup_id_z 0
		.amdhsa_system_sgpr_workgroup_info 0
		.amdhsa_system_vgpr_workitem_id 0
		.amdhsa_next_free_vgpr 1
		.amdhsa_next_free_sgpr 0
		.amdhsa_reserve_vcc 0
		.amdhsa_reserve_flat_scratch 0
		.amdhsa_float_round_mode_32 0
		.amdhsa_float_round_mode_16_64 0
		.amdhsa_float_denorm_mode_32 3
		.amdhsa_float_denorm_mode_16_64 3
		.amdhsa_dx10_clamp 1
		.amdhsa_ieee_mode 1
		.amdhsa_fp16_overflow 0
		.amdhsa_exception_fp_ieee_invalid_op 0
		.amdhsa_exception_fp_denorm_src 0
		.amdhsa_exception_fp_ieee_div_zero 0
		.amdhsa_exception_fp_ieee_overflow 0
		.amdhsa_exception_fp_ieee_underflow 0
		.amdhsa_exception_fp_ieee_inexact 0
		.amdhsa_exception_int_div_zero 0
	.end_amdhsa_kernel
	.section	.text._ZN7rocprim17ROCPRIM_400000_NS6detail17trampoline_kernelINS0_14default_configENS1_32segmented_reduce_config_selectorIdEEZNS1_21segmented_reduce_implIS3_PKdPdPKldN6hipcub16HIPCUB_304000_NS6detail27convert_result_type_wrapperIS8_S9_N2at6native12_GLOBAL__N_19CustomMinEEEEE10hipError_tPvRmT0_T1_jT2_SQ_T4_T3_P12ihipStream_tbEUlT_E_NS1_11comp_targetILNS1_3genE8ELNS1_11target_archE1030ELNS1_3gpuE2ELNS1_3repE0EEENS1_30default_config_static_selectorELNS0_4arch9wavefront6targetE1EEEvSP_,"axG",@progbits,_ZN7rocprim17ROCPRIM_400000_NS6detail17trampoline_kernelINS0_14default_configENS1_32segmented_reduce_config_selectorIdEEZNS1_21segmented_reduce_implIS3_PKdPdPKldN6hipcub16HIPCUB_304000_NS6detail27convert_result_type_wrapperIS8_S9_N2at6native12_GLOBAL__N_19CustomMinEEEEE10hipError_tPvRmT0_T1_jT2_SQ_T4_T3_P12ihipStream_tbEUlT_E_NS1_11comp_targetILNS1_3genE8ELNS1_11target_archE1030ELNS1_3gpuE2ELNS1_3repE0EEENS1_30default_config_static_selectorELNS0_4arch9wavefront6targetE1EEEvSP_,comdat
.Lfunc_end169:
	.size	_ZN7rocprim17ROCPRIM_400000_NS6detail17trampoline_kernelINS0_14default_configENS1_32segmented_reduce_config_selectorIdEEZNS1_21segmented_reduce_implIS3_PKdPdPKldN6hipcub16HIPCUB_304000_NS6detail27convert_result_type_wrapperIS8_S9_N2at6native12_GLOBAL__N_19CustomMinEEEEE10hipError_tPvRmT0_T1_jT2_SQ_T4_T3_P12ihipStream_tbEUlT_E_NS1_11comp_targetILNS1_3genE8ELNS1_11target_archE1030ELNS1_3gpuE2ELNS1_3repE0EEENS1_30default_config_static_selectorELNS0_4arch9wavefront6targetE1EEEvSP_, .Lfunc_end169-_ZN7rocprim17ROCPRIM_400000_NS6detail17trampoline_kernelINS0_14default_configENS1_32segmented_reduce_config_selectorIdEEZNS1_21segmented_reduce_implIS3_PKdPdPKldN6hipcub16HIPCUB_304000_NS6detail27convert_result_type_wrapperIS8_S9_N2at6native12_GLOBAL__N_19CustomMinEEEEE10hipError_tPvRmT0_T1_jT2_SQ_T4_T3_P12ihipStream_tbEUlT_E_NS1_11comp_targetILNS1_3genE8ELNS1_11target_archE1030ELNS1_3gpuE2ELNS1_3repE0EEENS1_30default_config_static_selectorELNS0_4arch9wavefront6targetE1EEEvSP_
                                        ; -- End function
	.set _ZN7rocprim17ROCPRIM_400000_NS6detail17trampoline_kernelINS0_14default_configENS1_32segmented_reduce_config_selectorIdEEZNS1_21segmented_reduce_implIS3_PKdPdPKldN6hipcub16HIPCUB_304000_NS6detail27convert_result_type_wrapperIS8_S9_N2at6native12_GLOBAL__N_19CustomMinEEEEE10hipError_tPvRmT0_T1_jT2_SQ_T4_T3_P12ihipStream_tbEUlT_E_NS1_11comp_targetILNS1_3genE8ELNS1_11target_archE1030ELNS1_3gpuE2ELNS1_3repE0EEENS1_30default_config_static_selectorELNS0_4arch9wavefront6targetE1EEEvSP_.num_vgpr, 0
	.set _ZN7rocprim17ROCPRIM_400000_NS6detail17trampoline_kernelINS0_14default_configENS1_32segmented_reduce_config_selectorIdEEZNS1_21segmented_reduce_implIS3_PKdPdPKldN6hipcub16HIPCUB_304000_NS6detail27convert_result_type_wrapperIS8_S9_N2at6native12_GLOBAL__N_19CustomMinEEEEE10hipError_tPvRmT0_T1_jT2_SQ_T4_T3_P12ihipStream_tbEUlT_E_NS1_11comp_targetILNS1_3genE8ELNS1_11target_archE1030ELNS1_3gpuE2ELNS1_3repE0EEENS1_30default_config_static_selectorELNS0_4arch9wavefront6targetE1EEEvSP_.num_agpr, 0
	.set _ZN7rocprim17ROCPRIM_400000_NS6detail17trampoline_kernelINS0_14default_configENS1_32segmented_reduce_config_selectorIdEEZNS1_21segmented_reduce_implIS3_PKdPdPKldN6hipcub16HIPCUB_304000_NS6detail27convert_result_type_wrapperIS8_S9_N2at6native12_GLOBAL__N_19CustomMinEEEEE10hipError_tPvRmT0_T1_jT2_SQ_T4_T3_P12ihipStream_tbEUlT_E_NS1_11comp_targetILNS1_3genE8ELNS1_11target_archE1030ELNS1_3gpuE2ELNS1_3repE0EEENS1_30default_config_static_selectorELNS0_4arch9wavefront6targetE1EEEvSP_.numbered_sgpr, 0
	.set _ZN7rocprim17ROCPRIM_400000_NS6detail17trampoline_kernelINS0_14default_configENS1_32segmented_reduce_config_selectorIdEEZNS1_21segmented_reduce_implIS3_PKdPdPKldN6hipcub16HIPCUB_304000_NS6detail27convert_result_type_wrapperIS8_S9_N2at6native12_GLOBAL__N_19CustomMinEEEEE10hipError_tPvRmT0_T1_jT2_SQ_T4_T3_P12ihipStream_tbEUlT_E_NS1_11comp_targetILNS1_3genE8ELNS1_11target_archE1030ELNS1_3gpuE2ELNS1_3repE0EEENS1_30default_config_static_selectorELNS0_4arch9wavefront6targetE1EEEvSP_.num_named_barrier, 0
	.set _ZN7rocprim17ROCPRIM_400000_NS6detail17trampoline_kernelINS0_14default_configENS1_32segmented_reduce_config_selectorIdEEZNS1_21segmented_reduce_implIS3_PKdPdPKldN6hipcub16HIPCUB_304000_NS6detail27convert_result_type_wrapperIS8_S9_N2at6native12_GLOBAL__N_19CustomMinEEEEE10hipError_tPvRmT0_T1_jT2_SQ_T4_T3_P12ihipStream_tbEUlT_E_NS1_11comp_targetILNS1_3genE8ELNS1_11target_archE1030ELNS1_3gpuE2ELNS1_3repE0EEENS1_30default_config_static_selectorELNS0_4arch9wavefront6targetE1EEEvSP_.private_seg_size, 0
	.set _ZN7rocprim17ROCPRIM_400000_NS6detail17trampoline_kernelINS0_14default_configENS1_32segmented_reduce_config_selectorIdEEZNS1_21segmented_reduce_implIS3_PKdPdPKldN6hipcub16HIPCUB_304000_NS6detail27convert_result_type_wrapperIS8_S9_N2at6native12_GLOBAL__N_19CustomMinEEEEE10hipError_tPvRmT0_T1_jT2_SQ_T4_T3_P12ihipStream_tbEUlT_E_NS1_11comp_targetILNS1_3genE8ELNS1_11target_archE1030ELNS1_3gpuE2ELNS1_3repE0EEENS1_30default_config_static_selectorELNS0_4arch9wavefront6targetE1EEEvSP_.uses_vcc, 0
	.set _ZN7rocprim17ROCPRIM_400000_NS6detail17trampoline_kernelINS0_14default_configENS1_32segmented_reduce_config_selectorIdEEZNS1_21segmented_reduce_implIS3_PKdPdPKldN6hipcub16HIPCUB_304000_NS6detail27convert_result_type_wrapperIS8_S9_N2at6native12_GLOBAL__N_19CustomMinEEEEE10hipError_tPvRmT0_T1_jT2_SQ_T4_T3_P12ihipStream_tbEUlT_E_NS1_11comp_targetILNS1_3genE8ELNS1_11target_archE1030ELNS1_3gpuE2ELNS1_3repE0EEENS1_30default_config_static_selectorELNS0_4arch9wavefront6targetE1EEEvSP_.uses_flat_scratch, 0
	.set _ZN7rocprim17ROCPRIM_400000_NS6detail17trampoline_kernelINS0_14default_configENS1_32segmented_reduce_config_selectorIdEEZNS1_21segmented_reduce_implIS3_PKdPdPKldN6hipcub16HIPCUB_304000_NS6detail27convert_result_type_wrapperIS8_S9_N2at6native12_GLOBAL__N_19CustomMinEEEEE10hipError_tPvRmT0_T1_jT2_SQ_T4_T3_P12ihipStream_tbEUlT_E_NS1_11comp_targetILNS1_3genE8ELNS1_11target_archE1030ELNS1_3gpuE2ELNS1_3repE0EEENS1_30default_config_static_selectorELNS0_4arch9wavefront6targetE1EEEvSP_.has_dyn_sized_stack, 0
	.set _ZN7rocprim17ROCPRIM_400000_NS6detail17trampoline_kernelINS0_14default_configENS1_32segmented_reduce_config_selectorIdEEZNS1_21segmented_reduce_implIS3_PKdPdPKldN6hipcub16HIPCUB_304000_NS6detail27convert_result_type_wrapperIS8_S9_N2at6native12_GLOBAL__N_19CustomMinEEEEE10hipError_tPvRmT0_T1_jT2_SQ_T4_T3_P12ihipStream_tbEUlT_E_NS1_11comp_targetILNS1_3genE8ELNS1_11target_archE1030ELNS1_3gpuE2ELNS1_3repE0EEENS1_30default_config_static_selectorELNS0_4arch9wavefront6targetE1EEEvSP_.has_recursion, 0
	.set _ZN7rocprim17ROCPRIM_400000_NS6detail17trampoline_kernelINS0_14default_configENS1_32segmented_reduce_config_selectorIdEEZNS1_21segmented_reduce_implIS3_PKdPdPKldN6hipcub16HIPCUB_304000_NS6detail27convert_result_type_wrapperIS8_S9_N2at6native12_GLOBAL__N_19CustomMinEEEEE10hipError_tPvRmT0_T1_jT2_SQ_T4_T3_P12ihipStream_tbEUlT_E_NS1_11comp_targetILNS1_3genE8ELNS1_11target_archE1030ELNS1_3gpuE2ELNS1_3repE0EEENS1_30default_config_static_selectorELNS0_4arch9wavefront6targetE1EEEvSP_.has_indirect_call, 0
	.section	.AMDGPU.csdata,"",@progbits
; Kernel info:
; codeLenInByte = 0
; TotalNumSgprs: 4
; NumVgprs: 0
; ScratchSize: 0
; MemoryBound: 0
; FloatMode: 240
; IeeeMode: 1
; LDSByteSize: 0 bytes/workgroup (compile time only)
; SGPRBlocks: 0
; VGPRBlocks: 0
; NumSGPRsForWavesPerEU: 4
; NumVGPRsForWavesPerEU: 1
; Occupancy: 10
; WaveLimiterHint : 0
; COMPUTE_PGM_RSRC2:SCRATCH_EN: 0
; COMPUTE_PGM_RSRC2:USER_SGPR: 6
; COMPUTE_PGM_RSRC2:TRAP_HANDLER: 0
; COMPUTE_PGM_RSRC2:TGID_X_EN: 1
; COMPUTE_PGM_RSRC2:TGID_Y_EN: 0
; COMPUTE_PGM_RSRC2:TGID_Z_EN: 0
; COMPUTE_PGM_RSRC2:TIDIG_COMP_CNT: 0
	.section	.text._ZN7rocprim17ROCPRIM_400000_NS6detail17trampoline_kernelINS0_14default_configENS1_32segmented_reduce_config_selectorIdEEZNS1_21segmented_reduce_implIS3_PKdPdPKldN6hipcub16HIPCUB_304000_NS6detail27convert_result_type_wrapperIS8_S9_N2at6native12_GLOBAL__N_110CustomProdEEEEE10hipError_tPvRmT0_T1_jT2_SQ_T4_T3_P12ihipStream_tbEUlT_E_NS1_11comp_targetILNS1_3genE0ELNS1_11target_archE4294967295ELNS1_3gpuE0ELNS1_3repE0EEENS1_30default_config_static_selectorELNS0_4arch9wavefront6targetE1EEEvSP_,"axG",@progbits,_ZN7rocprim17ROCPRIM_400000_NS6detail17trampoline_kernelINS0_14default_configENS1_32segmented_reduce_config_selectorIdEEZNS1_21segmented_reduce_implIS3_PKdPdPKldN6hipcub16HIPCUB_304000_NS6detail27convert_result_type_wrapperIS8_S9_N2at6native12_GLOBAL__N_110CustomProdEEEEE10hipError_tPvRmT0_T1_jT2_SQ_T4_T3_P12ihipStream_tbEUlT_E_NS1_11comp_targetILNS1_3genE0ELNS1_11target_archE4294967295ELNS1_3gpuE0ELNS1_3repE0EEENS1_30default_config_static_selectorELNS0_4arch9wavefront6targetE1EEEvSP_,comdat
	.globl	_ZN7rocprim17ROCPRIM_400000_NS6detail17trampoline_kernelINS0_14default_configENS1_32segmented_reduce_config_selectorIdEEZNS1_21segmented_reduce_implIS3_PKdPdPKldN6hipcub16HIPCUB_304000_NS6detail27convert_result_type_wrapperIS8_S9_N2at6native12_GLOBAL__N_110CustomProdEEEEE10hipError_tPvRmT0_T1_jT2_SQ_T4_T3_P12ihipStream_tbEUlT_E_NS1_11comp_targetILNS1_3genE0ELNS1_11target_archE4294967295ELNS1_3gpuE0ELNS1_3repE0EEENS1_30default_config_static_selectorELNS0_4arch9wavefront6targetE1EEEvSP_ ; -- Begin function _ZN7rocprim17ROCPRIM_400000_NS6detail17trampoline_kernelINS0_14default_configENS1_32segmented_reduce_config_selectorIdEEZNS1_21segmented_reduce_implIS3_PKdPdPKldN6hipcub16HIPCUB_304000_NS6detail27convert_result_type_wrapperIS8_S9_N2at6native12_GLOBAL__N_110CustomProdEEEEE10hipError_tPvRmT0_T1_jT2_SQ_T4_T3_P12ihipStream_tbEUlT_E_NS1_11comp_targetILNS1_3genE0ELNS1_11target_archE4294967295ELNS1_3gpuE0ELNS1_3repE0EEENS1_30default_config_static_selectorELNS0_4arch9wavefront6targetE1EEEvSP_
	.p2align	8
	.type	_ZN7rocprim17ROCPRIM_400000_NS6detail17trampoline_kernelINS0_14default_configENS1_32segmented_reduce_config_selectorIdEEZNS1_21segmented_reduce_implIS3_PKdPdPKldN6hipcub16HIPCUB_304000_NS6detail27convert_result_type_wrapperIS8_S9_N2at6native12_GLOBAL__N_110CustomProdEEEEE10hipError_tPvRmT0_T1_jT2_SQ_T4_T3_P12ihipStream_tbEUlT_E_NS1_11comp_targetILNS1_3genE0ELNS1_11target_archE4294967295ELNS1_3gpuE0ELNS1_3repE0EEENS1_30default_config_static_selectorELNS0_4arch9wavefront6targetE1EEEvSP_,@function
_ZN7rocprim17ROCPRIM_400000_NS6detail17trampoline_kernelINS0_14default_configENS1_32segmented_reduce_config_selectorIdEEZNS1_21segmented_reduce_implIS3_PKdPdPKldN6hipcub16HIPCUB_304000_NS6detail27convert_result_type_wrapperIS8_S9_N2at6native12_GLOBAL__N_110CustomProdEEEEE10hipError_tPvRmT0_T1_jT2_SQ_T4_T3_P12ihipStream_tbEUlT_E_NS1_11comp_targetILNS1_3genE0ELNS1_11target_archE4294967295ELNS1_3gpuE0ELNS1_3repE0EEENS1_30default_config_static_selectorELNS0_4arch9wavefront6targetE1EEEvSP_: ; @_ZN7rocprim17ROCPRIM_400000_NS6detail17trampoline_kernelINS0_14default_configENS1_32segmented_reduce_config_selectorIdEEZNS1_21segmented_reduce_implIS3_PKdPdPKldN6hipcub16HIPCUB_304000_NS6detail27convert_result_type_wrapperIS8_S9_N2at6native12_GLOBAL__N_110CustomProdEEEEE10hipError_tPvRmT0_T1_jT2_SQ_T4_T3_P12ihipStream_tbEUlT_E_NS1_11comp_targetILNS1_3genE0ELNS1_11target_archE4294967295ELNS1_3gpuE0ELNS1_3repE0EEENS1_30default_config_static_selectorELNS0_4arch9wavefront6targetE1EEEvSP_
; %bb.0:
	.section	.rodata,"a",@progbits
	.p2align	6, 0x0
	.amdhsa_kernel _ZN7rocprim17ROCPRIM_400000_NS6detail17trampoline_kernelINS0_14default_configENS1_32segmented_reduce_config_selectorIdEEZNS1_21segmented_reduce_implIS3_PKdPdPKldN6hipcub16HIPCUB_304000_NS6detail27convert_result_type_wrapperIS8_S9_N2at6native12_GLOBAL__N_110CustomProdEEEEE10hipError_tPvRmT0_T1_jT2_SQ_T4_T3_P12ihipStream_tbEUlT_E_NS1_11comp_targetILNS1_3genE0ELNS1_11target_archE4294967295ELNS1_3gpuE0ELNS1_3repE0EEENS1_30default_config_static_selectorELNS0_4arch9wavefront6targetE1EEEvSP_
		.amdhsa_group_segment_fixed_size 0
		.amdhsa_private_segment_fixed_size 0
		.amdhsa_kernarg_size 56
		.amdhsa_user_sgpr_count 6
		.amdhsa_user_sgpr_private_segment_buffer 1
		.amdhsa_user_sgpr_dispatch_ptr 0
		.amdhsa_user_sgpr_queue_ptr 0
		.amdhsa_user_sgpr_kernarg_segment_ptr 1
		.amdhsa_user_sgpr_dispatch_id 0
		.amdhsa_user_sgpr_flat_scratch_init 0
		.amdhsa_user_sgpr_private_segment_size 0
		.amdhsa_uses_dynamic_stack 0
		.amdhsa_system_sgpr_private_segment_wavefront_offset 0
		.amdhsa_system_sgpr_workgroup_id_x 1
		.amdhsa_system_sgpr_workgroup_id_y 0
		.amdhsa_system_sgpr_workgroup_id_z 0
		.amdhsa_system_sgpr_workgroup_info 0
		.amdhsa_system_vgpr_workitem_id 0
		.amdhsa_next_free_vgpr 1
		.amdhsa_next_free_sgpr 0
		.amdhsa_reserve_vcc 0
		.amdhsa_reserve_flat_scratch 0
		.amdhsa_float_round_mode_32 0
		.amdhsa_float_round_mode_16_64 0
		.amdhsa_float_denorm_mode_32 3
		.amdhsa_float_denorm_mode_16_64 3
		.amdhsa_dx10_clamp 1
		.amdhsa_ieee_mode 1
		.amdhsa_fp16_overflow 0
		.amdhsa_exception_fp_ieee_invalid_op 0
		.amdhsa_exception_fp_denorm_src 0
		.amdhsa_exception_fp_ieee_div_zero 0
		.amdhsa_exception_fp_ieee_overflow 0
		.amdhsa_exception_fp_ieee_underflow 0
		.amdhsa_exception_fp_ieee_inexact 0
		.amdhsa_exception_int_div_zero 0
	.end_amdhsa_kernel
	.section	.text._ZN7rocprim17ROCPRIM_400000_NS6detail17trampoline_kernelINS0_14default_configENS1_32segmented_reduce_config_selectorIdEEZNS1_21segmented_reduce_implIS3_PKdPdPKldN6hipcub16HIPCUB_304000_NS6detail27convert_result_type_wrapperIS8_S9_N2at6native12_GLOBAL__N_110CustomProdEEEEE10hipError_tPvRmT0_T1_jT2_SQ_T4_T3_P12ihipStream_tbEUlT_E_NS1_11comp_targetILNS1_3genE0ELNS1_11target_archE4294967295ELNS1_3gpuE0ELNS1_3repE0EEENS1_30default_config_static_selectorELNS0_4arch9wavefront6targetE1EEEvSP_,"axG",@progbits,_ZN7rocprim17ROCPRIM_400000_NS6detail17trampoline_kernelINS0_14default_configENS1_32segmented_reduce_config_selectorIdEEZNS1_21segmented_reduce_implIS3_PKdPdPKldN6hipcub16HIPCUB_304000_NS6detail27convert_result_type_wrapperIS8_S9_N2at6native12_GLOBAL__N_110CustomProdEEEEE10hipError_tPvRmT0_T1_jT2_SQ_T4_T3_P12ihipStream_tbEUlT_E_NS1_11comp_targetILNS1_3genE0ELNS1_11target_archE4294967295ELNS1_3gpuE0ELNS1_3repE0EEENS1_30default_config_static_selectorELNS0_4arch9wavefront6targetE1EEEvSP_,comdat
.Lfunc_end170:
	.size	_ZN7rocprim17ROCPRIM_400000_NS6detail17trampoline_kernelINS0_14default_configENS1_32segmented_reduce_config_selectorIdEEZNS1_21segmented_reduce_implIS3_PKdPdPKldN6hipcub16HIPCUB_304000_NS6detail27convert_result_type_wrapperIS8_S9_N2at6native12_GLOBAL__N_110CustomProdEEEEE10hipError_tPvRmT0_T1_jT2_SQ_T4_T3_P12ihipStream_tbEUlT_E_NS1_11comp_targetILNS1_3genE0ELNS1_11target_archE4294967295ELNS1_3gpuE0ELNS1_3repE0EEENS1_30default_config_static_selectorELNS0_4arch9wavefront6targetE1EEEvSP_, .Lfunc_end170-_ZN7rocprim17ROCPRIM_400000_NS6detail17trampoline_kernelINS0_14default_configENS1_32segmented_reduce_config_selectorIdEEZNS1_21segmented_reduce_implIS3_PKdPdPKldN6hipcub16HIPCUB_304000_NS6detail27convert_result_type_wrapperIS8_S9_N2at6native12_GLOBAL__N_110CustomProdEEEEE10hipError_tPvRmT0_T1_jT2_SQ_T4_T3_P12ihipStream_tbEUlT_E_NS1_11comp_targetILNS1_3genE0ELNS1_11target_archE4294967295ELNS1_3gpuE0ELNS1_3repE0EEENS1_30default_config_static_selectorELNS0_4arch9wavefront6targetE1EEEvSP_
                                        ; -- End function
	.set _ZN7rocprim17ROCPRIM_400000_NS6detail17trampoline_kernelINS0_14default_configENS1_32segmented_reduce_config_selectorIdEEZNS1_21segmented_reduce_implIS3_PKdPdPKldN6hipcub16HIPCUB_304000_NS6detail27convert_result_type_wrapperIS8_S9_N2at6native12_GLOBAL__N_110CustomProdEEEEE10hipError_tPvRmT0_T1_jT2_SQ_T4_T3_P12ihipStream_tbEUlT_E_NS1_11comp_targetILNS1_3genE0ELNS1_11target_archE4294967295ELNS1_3gpuE0ELNS1_3repE0EEENS1_30default_config_static_selectorELNS0_4arch9wavefront6targetE1EEEvSP_.num_vgpr, 0
	.set _ZN7rocprim17ROCPRIM_400000_NS6detail17trampoline_kernelINS0_14default_configENS1_32segmented_reduce_config_selectorIdEEZNS1_21segmented_reduce_implIS3_PKdPdPKldN6hipcub16HIPCUB_304000_NS6detail27convert_result_type_wrapperIS8_S9_N2at6native12_GLOBAL__N_110CustomProdEEEEE10hipError_tPvRmT0_T1_jT2_SQ_T4_T3_P12ihipStream_tbEUlT_E_NS1_11comp_targetILNS1_3genE0ELNS1_11target_archE4294967295ELNS1_3gpuE0ELNS1_3repE0EEENS1_30default_config_static_selectorELNS0_4arch9wavefront6targetE1EEEvSP_.num_agpr, 0
	.set _ZN7rocprim17ROCPRIM_400000_NS6detail17trampoline_kernelINS0_14default_configENS1_32segmented_reduce_config_selectorIdEEZNS1_21segmented_reduce_implIS3_PKdPdPKldN6hipcub16HIPCUB_304000_NS6detail27convert_result_type_wrapperIS8_S9_N2at6native12_GLOBAL__N_110CustomProdEEEEE10hipError_tPvRmT0_T1_jT2_SQ_T4_T3_P12ihipStream_tbEUlT_E_NS1_11comp_targetILNS1_3genE0ELNS1_11target_archE4294967295ELNS1_3gpuE0ELNS1_3repE0EEENS1_30default_config_static_selectorELNS0_4arch9wavefront6targetE1EEEvSP_.numbered_sgpr, 0
	.set _ZN7rocprim17ROCPRIM_400000_NS6detail17trampoline_kernelINS0_14default_configENS1_32segmented_reduce_config_selectorIdEEZNS1_21segmented_reduce_implIS3_PKdPdPKldN6hipcub16HIPCUB_304000_NS6detail27convert_result_type_wrapperIS8_S9_N2at6native12_GLOBAL__N_110CustomProdEEEEE10hipError_tPvRmT0_T1_jT2_SQ_T4_T3_P12ihipStream_tbEUlT_E_NS1_11comp_targetILNS1_3genE0ELNS1_11target_archE4294967295ELNS1_3gpuE0ELNS1_3repE0EEENS1_30default_config_static_selectorELNS0_4arch9wavefront6targetE1EEEvSP_.num_named_barrier, 0
	.set _ZN7rocprim17ROCPRIM_400000_NS6detail17trampoline_kernelINS0_14default_configENS1_32segmented_reduce_config_selectorIdEEZNS1_21segmented_reduce_implIS3_PKdPdPKldN6hipcub16HIPCUB_304000_NS6detail27convert_result_type_wrapperIS8_S9_N2at6native12_GLOBAL__N_110CustomProdEEEEE10hipError_tPvRmT0_T1_jT2_SQ_T4_T3_P12ihipStream_tbEUlT_E_NS1_11comp_targetILNS1_3genE0ELNS1_11target_archE4294967295ELNS1_3gpuE0ELNS1_3repE0EEENS1_30default_config_static_selectorELNS0_4arch9wavefront6targetE1EEEvSP_.private_seg_size, 0
	.set _ZN7rocprim17ROCPRIM_400000_NS6detail17trampoline_kernelINS0_14default_configENS1_32segmented_reduce_config_selectorIdEEZNS1_21segmented_reduce_implIS3_PKdPdPKldN6hipcub16HIPCUB_304000_NS6detail27convert_result_type_wrapperIS8_S9_N2at6native12_GLOBAL__N_110CustomProdEEEEE10hipError_tPvRmT0_T1_jT2_SQ_T4_T3_P12ihipStream_tbEUlT_E_NS1_11comp_targetILNS1_3genE0ELNS1_11target_archE4294967295ELNS1_3gpuE0ELNS1_3repE0EEENS1_30default_config_static_selectorELNS0_4arch9wavefront6targetE1EEEvSP_.uses_vcc, 0
	.set _ZN7rocprim17ROCPRIM_400000_NS6detail17trampoline_kernelINS0_14default_configENS1_32segmented_reduce_config_selectorIdEEZNS1_21segmented_reduce_implIS3_PKdPdPKldN6hipcub16HIPCUB_304000_NS6detail27convert_result_type_wrapperIS8_S9_N2at6native12_GLOBAL__N_110CustomProdEEEEE10hipError_tPvRmT0_T1_jT2_SQ_T4_T3_P12ihipStream_tbEUlT_E_NS1_11comp_targetILNS1_3genE0ELNS1_11target_archE4294967295ELNS1_3gpuE0ELNS1_3repE0EEENS1_30default_config_static_selectorELNS0_4arch9wavefront6targetE1EEEvSP_.uses_flat_scratch, 0
	.set _ZN7rocprim17ROCPRIM_400000_NS6detail17trampoline_kernelINS0_14default_configENS1_32segmented_reduce_config_selectorIdEEZNS1_21segmented_reduce_implIS3_PKdPdPKldN6hipcub16HIPCUB_304000_NS6detail27convert_result_type_wrapperIS8_S9_N2at6native12_GLOBAL__N_110CustomProdEEEEE10hipError_tPvRmT0_T1_jT2_SQ_T4_T3_P12ihipStream_tbEUlT_E_NS1_11comp_targetILNS1_3genE0ELNS1_11target_archE4294967295ELNS1_3gpuE0ELNS1_3repE0EEENS1_30default_config_static_selectorELNS0_4arch9wavefront6targetE1EEEvSP_.has_dyn_sized_stack, 0
	.set _ZN7rocprim17ROCPRIM_400000_NS6detail17trampoline_kernelINS0_14default_configENS1_32segmented_reduce_config_selectorIdEEZNS1_21segmented_reduce_implIS3_PKdPdPKldN6hipcub16HIPCUB_304000_NS6detail27convert_result_type_wrapperIS8_S9_N2at6native12_GLOBAL__N_110CustomProdEEEEE10hipError_tPvRmT0_T1_jT2_SQ_T4_T3_P12ihipStream_tbEUlT_E_NS1_11comp_targetILNS1_3genE0ELNS1_11target_archE4294967295ELNS1_3gpuE0ELNS1_3repE0EEENS1_30default_config_static_selectorELNS0_4arch9wavefront6targetE1EEEvSP_.has_recursion, 0
	.set _ZN7rocprim17ROCPRIM_400000_NS6detail17trampoline_kernelINS0_14default_configENS1_32segmented_reduce_config_selectorIdEEZNS1_21segmented_reduce_implIS3_PKdPdPKldN6hipcub16HIPCUB_304000_NS6detail27convert_result_type_wrapperIS8_S9_N2at6native12_GLOBAL__N_110CustomProdEEEEE10hipError_tPvRmT0_T1_jT2_SQ_T4_T3_P12ihipStream_tbEUlT_E_NS1_11comp_targetILNS1_3genE0ELNS1_11target_archE4294967295ELNS1_3gpuE0ELNS1_3repE0EEENS1_30default_config_static_selectorELNS0_4arch9wavefront6targetE1EEEvSP_.has_indirect_call, 0
	.section	.AMDGPU.csdata,"",@progbits
; Kernel info:
; codeLenInByte = 0
; TotalNumSgprs: 4
; NumVgprs: 0
; ScratchSize: 0
; MemoryBound: 0
; FloatMode: 240
; IeeeMode: 1
; LDSByteSize: 0 bytes/workgroup (compile time only)
; SGPRBlocks: 0
; VGPRBlocks: 0
; NumSGPRsForWavesPerEU: 4
; NumVGPRsForWavesPerEU: 1
; Occupancy: 10
; WaveLimiterHint : 0
; COMPUTE_PGM_RSRC2:SCRATCH_EN: 0
; COMPUTE_PGM_RSRC2:USER_SGPR: 6
; COMPUTE_PGM_RSRC2:TRAP_HANDLER: 0
; COMPUTE_PGM_RSRC2:TGID_X_EN: 1
; COMPUTE_PGM_RSRC2:TGID_Y_EN: 0
; COMPUTE_PGM_RSRC2:TGID_Z_EN: 0
; COMPUTE_PGM_RSRC2:TIDIG_COMP_CNT: 0
	.section	.text._ZN7rocprim17ROCPRIM_400000_NS6detail17trampoline_kernelINS0_14default_configENS1_32segmented_reduce_config_selectorIdEEZNS1_21segmented_reduce_implIS3_PKdPdPKldN6hipcub16HIPCUB_304000_NS6detail27convert_result_type_wrapperIS8_S9_N2at6native12_GLOBAL__N_110CustomProdEEEEE10hipError_tPvRmT0_T1_jT2_SQ_T4_T3_P12ihipStream_tbEUlT_E_NS1_11comp_targetILNS1_3genE5ELNS1_11target_archE942ELNS1_3gpuE9ELNS1_3repE0EEENS1_30default_config_static_selectorELNS0_4arch9wavefront6targetE1EEEvSP_,"axG",@progbits,_ZN7rocprim17ROCPRIM_400000_NS6detail17trampoline_kernelINS0_14default_configENS1_32segmented_reduce_config_selectorIdEEZNS1_21segmented_reduce_implIS3_PKdPdPKldN6hipcub16HIPCUB_304000_NS6detail27convert_result_type_wrapperIS8_S9_N2at6native12_GLOBAL__N_110CustomProdEEEEE10hipError_tPvRmT0_T1_jT2_SQ_T4_T3_P12ihipStream_tbEUlT_E_NS1_11comp_targetILNS1_3genE5ELNS1_11target_archE942ELNS1_3gpuE9ELNS1_3repE0EEENS1_30default_config_static_selectorELNS0_4arch9wavefront6targetE1EEEvSP_,comdat
	.globl	_ZN7rocprim17ROCPRIM_400000_NS6detail17trampoline_kernelINS0_14default_configENS1_32segmented_reduce_config_selectorIdEEZNS1_21segmented_reduce_implIS3_PKdPdPKldN6hipcub16HIPCUB_304000_NS6detail27convert_result_type_wrapperIS8_S9_N2at6native12_GLOBAL__N_110CustomProdEEEEE10hipError_tPvRmT0_T1_jT2_SQ_T4_T3_P12ihipStream_tbEUlT_E_NS1_11comp_targetILNS1_3genE5ELNS1_11target_archE942ELNS1_3gpuE9ELNS1_3repE0EEENS1_30default_config_static_selectorELNS0_4arch9wavefront6targetE1EEEvSP_ ; -- Begin function _ZN7rocprim17ROCPRIM_400000_NS6detail17trampoline_kernelINS0_14default_configENS1_32segmented_reduce_config_selectorIdEEZNS1_21segmented_reduce_implIS3_PKdPdPKldN6hipcub16HIPCUB_304000_NS6detail27convert_result_type_wrapperIS8_S9_N2at6native12_GLOBAL__N_110CustomProdEEEEE10hipError_tPvRmT0_T1_jT2_SQ_T4_T3_P12ihipStream_tbEUlT_E_NS1_11comp_targetILNS1_3genE5ELNS1_11target_archE942ELNS1_3gpuE9ELNS1_3repE0EEENS1_30default_config_static_selectorELNS0_4arch9wavefront6targetE1EEEvSP_
	.p2align	8
	.type	_ZN7rocprim17ROCPRIM_400000_NS6detail17trampoline_kernelINS0_14default_configENS1_32segmented_reduce_config_selectorIdEEZNS1_21segmented_reduce_implIS3_PKdPdPKldN6hipcub16HIPCUB_304000_NS6detail27convert_result_type_wrapperIS8_S9_N2at6native12_GLOBAL__N_110CustomProdEEEEE10hipError_tPvRmT0_T1_jT2_SQ_T4_T3_P12ihipStream_tbEUlT_E_NS1_11comp_targetILNS1_3genE5ELNS1_11target_archE942ELNS1_3gpuE9ELNS1_3repE0EEENS1_30default_config_static_selectorELNS0_4arch9wavefront6targetE1EEEvSP_,@function
_ZN7rocprim17ROCPRIM_400000_NS6detail17trampoline_kernelINS0_14default_configENS1_32segmented_reduce_config_selectorIdEEZNS1_21segmented_reduce_implIS3_PKdPdPKldN6hipcub16HIPCUB_304000_NS6detail27convert_result_type_wrapperIS8_S9_N2at6native12_GLOBAL__N_110CustomProdEEEEE10hipError_tPvRmT0_T1_jT2_SQ_T4_T3_P12ihipStream_tbEUlT_E_NS1_11comp_targetILNS1_3genE5ELNS1_11target_archE942ELNS1_3gpuE9ELNS1_3repE0EEENS1_30default_config_static_selectorELNS0_4arch9wavefront6targetE1EEEvSP_: ; @_ZN7rocprim17ROCPRIM_400000_NS6detail17trampoline_kernelINS0_14default_configENS1_32segmented_reduce_config_selectorIdEEZNS1_21segmented_reduce_implIS3_PKdPdPKldN6hipcub16HIPCUB_304000_NS6detail27convert_result_type_wrapperIS8_S9_N2at6native12_GLOBAL__N_110CustomProdEEEEE10hipError_tPvRmT0_T1_jT2_SQ_T4_T3_P12ihipStream_tbEUlT_E_NS1_11comp_targetILNS1_3genE5ELNS1_11target_archE942ELNS1_3gpuE9ELNS1_3repE0EEENS1_30default_config_static_selectorELNS0_4arch9wavefront6targetE1EEEvSP_
; %bb.0:
	.section	.rodata,"a",@progbits
	.p2align	6, 0x0
	.amdhsa_kernel _ZN7rocprim17ROCPRIM_400000_NS6detail17trampoline_kernelINS0_14default_configENS1_32segmented_reduce_config_selectorIdEEZNS1_21segmented_reduce_implIS3_PKdPdPKldN6hipcub16HIPCUB_304000_NS6detail27convert_result_type_wrapperIS8_S9_N2at6native12_GLOBAL__N_110CustomProdEEEEE10hipError_tPvRmT0_T1_jT2_SQ_T4_T3_P12ihipStream_tbEUlT_E_NS1_11comp_targetILNS1_3genE5ELNS1_11target_archE942ELNS1_3gpuE9ELNS1_3repE0EEENS1_30default_config_static_selectorELNS0_4arch9wavefront6targetE1EEEvSP_
		.amdhsa_group_segment_fixed_size 0
		.amdhsa_private_segment_fixed_size 0
		.amdhsa_kernarg_size 56
		.amdhsa_user_sgpr_count 6
		.amdhsa_user_sgpr_private_segment_buffer 1
		.amdhsa_user_sgpr_dispatch_ptr 0
		.amdhsa_user_sgpr_queue_ptr 0
		.amdhsa_user_sgpr_kernarg_segment_ptr 1
		.amdhsa_user_sgpr_dispatch_id 0
		.amdhsa_user_sgpr_flat_scratch_init 0
		.amdhsa_user_sgpr_private_segment_size 0
		.amdhsa_uses_dynamic_stack 0
		.amdhsa_system_sgpr_private_segment_wavefront_offset 0
		.amdhsa_system_sgpr_workgroup_id_x 1
		.amdhsa_system_sgpr_workgroup_id_y 0
		.amdhsa_system_sgpr_workgroup_id_z 0
		.amdhsa_system_sgpr_workgroup_info 0
		.amdhsa_system_vgpr_workitem_id 0
		.amdhsa_next_free_vgpr 1
		.amdhsa_next_free_sgpr 0
		.amdhsa_reserve_vcc 0
		.amdhsa_reserve_flat_scratch 0
		.amdhsa_float_round_mode_32 0
		.amdhsa_float_round_mode_16_64 0
		.amdhsa_float_denorm_mode_32 3
		.amdhsa_float_denorm_mode_16_64 3
		.amdhsa_dx10_clamp 1
		.amdhsa_ieee_mode 1
		.amdhsa_fp16_overflow 0
		.amdhsa_exception_fp_ieee_invalid_op 0
		.amdhsa_exception_fp_denorm_src 0
		.amdhsa_exception_fp_ieee_div_zero 0
		.amdhsa_exception_fp_ieee_overflow 0
		.amdhsa_exception_fp_ieee_underflow 0
		.amdhsa_exception_fp_ieee_inexact 0
		.amdhsa_exception_int_div_zero 0
	.end_amdhsa_kernel
	.section	.text._ZN7rocprim17ROCPRIM_400000_NS6detail17trampoline_kernelINS0_14default_configENS1_32segmented_reduce_config_selectorIdEEZNS1_21segmented_reduce_implIS3_PKdPdPKldN6hipcub16HIPCUB_304000_NS6detail27convert_result_type_wrapperIS8_S9_N2at6native12_GLOBAL__N_110CustomProdEEEEE10hipError_tPvRmT0_T1_jT2_SQ_T4_T3_P12ihipStream_tbEUlT_E_NS1_11comp_targetILNS1_3genE5ELNS1_11target_archE942ELNS1_3gpuE9ELNS1_3repE0EEENS1_30default_config_static_selectorELNS0_4arch9wavefront6targetE1EEEvSP_,"axG",@progbits,_ZN7rocprim17ROCPRIM_400000_NS6detail17trampoline_kernelINS0_14default_configENS1_32segmented_reduce_config_selectorIdEEZNS1_21segmented_reduce_implIS3_PKdPdPKldN6hipcub16HIPCUB_304000_NS6detail27convert_result_type_wrapperIS8_S9_N2at6native12_GLOBAL__N_110CustomProdEEEEE10hipError_tPvRmT0_T1_jT2_SQ_T4_T3_P12ihipStream_tbEUlT_E_NS1_11comp_targetILNS1_3genE5ELNS1_11target_archE942ELNS1_3gpuE9ELNS1_3repE0EEENS1_30default_config_static_selectorELNS0_4arch9wavefront6targetE1EEEvSP_,comdat
.Lfunc_end171:
	.size	_ZN7rocprim17ROCPRIM_400000_NS6detail17trampoline_kernelINS0_14default_configENS1_32segmented_reduce_config_selectorIdEEZNS1_21segmented_reduce_implIS3_PKdPdPKldN6hipcub16HIPCUB_304000_NS6detail27convert_result_type_wrapperIS8_S9_N2at6native12_GLOBAL__N_110CustomProdEEEEE10hipError_tPvRmT0_T1_jT2_SQ_T4_T3_P12ihipStream_tbEUlT_E_NS1_11comp_targetILNS1_3genE5ELNS1_11target_archE942ELNS1_3gpuE9ELNS1_3repE0EEENS1_30default_config_static_selectorELNS0_4arch9wavefront6targetE1EEEvSP_, .Lfunc_end171-_ZN7rocprim17ROCPRIM_400000_NS6detail17trampoline_kernelINS0_14default_configENS1_32segmented_reduce_config_selectorIdEEZNS1_21segmented_reduce_implIS3_PKdPdPKldN6hipcub16HIPCUB_304000_NS6detail27convert_result_type_wrapperIS8_S9_N2at6native12_GLOBAL__N_110CustomProdEEEEE10hipError_tPvRmT0_T1_jT2_SQ_T4_T3_P12ihipStream_tbEUlT_E_NS1_11comp_targetILNS1_3genE5ELNS1_11target_archE942ELNS1_3gpuE9ELNS1_3repE0EEENS1_30default_config_static_selectorELNS0_4arch9wavefront6targetE1EEEvSP_
                                        ; -- End function
	.set _ZN7rocprim17ROCPRIM_400000_NS6detail17trampoline_kernelINS0_14default_configENS1_32segmented_reduce_config_selectorIdEEZNS1_21segmented_reduce_implIS3_PKdPdPKldN6hipcub16HIPCUB_304000_NS6detail27convert_result_type_wrapperIS8_S9_N2at6native12_GLOBAL__N_110CustomProdEEEEE10hipError_tPvRmT0_T1_jT2_SQ_T4_T3_P12ihipStream_tbEUlT_E_NS1_11comp_targetILNS1_3genE5ELNS1_11target_archE942ELNS1_3gpuE9ELNS1_3repE0EEENS1_30default_config_static_selectorELNS0_4arch9wavefront6targetE1EEEvSP_.num_vgpr, 0
	.set _ZN7rocprim17ROCPRIM_400000_NS6detail17trampoline_kernelINS0_14default_configENS1_32segmented_reduce_config_selectorIdEEZNS1_21segmented_reduce_implIS3_PKdPdPKldN6hipcub16HIPCUB_304000_NS6detail27convert_result_type_wrapperIS8_S9_N2at6native12_GLOBAL__N_110CustomProdEEEEE10hipError_tPvRmT0_T1_jT2_SQ_T4_T3_P12ihipStream_tbEUlT_E_NS1_11comp_targetILNS1_3genE5ELNS1_11target_archE942ELNS1_3gpuE9ELNS1_3repE0EEENS1_30default_config_static_selectorELNS0_4arch9wavefront6targetE1EEEvSP_.num_agpr, 0
	.set _ZN7rocprim17ROCPRIM_400000_NS6detail17trampoline_kernelINS0_14default_configENS1_32segmented_reduce_config_selectorIdEEZNS1_21segmented_reduce_implIS3_PKdPdPKldN6hipcub16HIPCUB_304000_NS6detail27convert_result_type_wrapperIS8_S9_N2at6native12_GLOBAL__N_110CustomProdEEEEE10hipError_tPvRmT0_T1_jT2_SQ_T4_T3_P12ihipStream_tbEUlT_E_NS1_11comp_targetILNS1_3genE5ELNS1_11target_archE942ELNS1_3gpuE9ELNS1_3repE0EEENS1_30default_config_static_selectorELNS0_4arch9wavefront6targetE1EEEvSP_.numbered_sgpr, 0
	.set _ZN7rocprim17ROCPRIM_400000_NS6detail17trampoline_kernelINS0_14default_configENS1_32segmented_reduce_config_selectorIdEEZNS1_21segmented_reduce_implIS3_PKdPdPKldN6hipcub16HIPCUB_304000_NS6detail27convert_result_type_wrapperIS8_S9_N2at6native12_GLOBAL__N_110CustomProdEEEEE10hipError_tPvRmT0_T1_jT2_SQ_T4_T3_P12ihipStream_tbEUlT_E_NS1_11comp_targetILNS1_3genE5ELNS1_11target_archE942ELNS1_3gpuE9ELNS1_3repE0EEENS1_30default_config_static_selectorELNS0_4arch9wavefront6targetE1EEEvSP_.num_named_barrier, 0
	.set _ZN7rocprim17ROCPRIM_400000_NS6detail17trampoline_kernelINS0_14default_configENS1_32segmented_reduce_config_selectorIdEEZNS1_21segmented_reduce_implIS3_PKdPdPKldN6hipcub16HIPCUB_304000_NS6detail27convert_result_type_wrapperIS8_S9_N2at6native12_GLOBAL__N_110CustomProdEEEEE10hipError_tPvRmT0_T1_jT2_SQ_T4_T3_P12ihipStream_tbEUlT_E_NS1_11comp_targetILNS1_3genE5ELNS1_11target_archE942ELNS1_3gpuE9ELNS1_3repE0EEENS1_30default_config_static_selectorELNS0_4arch9wavefront6targetE1EEEvSP_.private_seg_size, 0
	.set _ZN7rocprim17ROCPRIM_400000_NS6detail17trampoline_kernelINS0_14default_configENS1_32segmented_reduce_config_selectorIdEEZNS1_21segmented_reduce_implIS3_PKdPdPKldN6hipcub16HIPCUB_304000_NS6detail27convert_result_type_wrapperIS8_S9_N2at6native12_GLOBAL__N_110CustomProdEEEEE10hipError_tPvRmT0_T1_jT2_SQ_T4_T3_P12ihipStream_tbEUlT_E_NS1_11comp_targetILNS1_3genE5ELNS1_11target_archE942ELNS1_3gpuE9ELNS1_3repE0EEENS1_30default_config_static_selectorELNS0_4arch9wavefront6targetE1EEEvSP_.uses_vcc, 0
	.set _ZN7rocprim17ROCPRIM_400000_NS6detail17trampoline_kernelINS0_14default_configENS1_32segmented_reduce_config_selectorIdEEZNS1_21segmented_reduce_implIS3_PKdPdPKldN6hipcub16HIPCUB_304000_NS6detail27convert_result_type_wrapperIS8_S9_N2at6native12_GLOBAL__N_110CustomProdEEEEE10hipError_tPvRmT0_T1_jT2_SQ_T4_T3_P12ihipStream_tbEUlT_E_NS1_11comp_targetILNS1_3genE5ELNS1_11target_archE942ELNS1_3gpuE9ELNS1_3repE0EEENS1_30default_config_static_selectorELNS0_4arch9wavefront6targetE1EEEvSP_.uses_flat_scratch, 0
	.set _ZN7rocprim17ROCPRIM_400000_NS6detail17trampoline_kernelINS0_14default_configENS1_32segmented_reduce_config_selectorIdEEZNS1_21segmented_reduce_implIS3_PKdPdPKldN6hipcub16HIPCUB_304000_NS6detail27convert_result_type_wrapperIS8_S9_N2at6native12_GLOBAL__N_110CustomProdEEEEE10hipError_tPvRmT0_T1_jT2_SQ_T4_T3_P12ihipStream_tbEUlT_E_NS1_11comp_targetILNS1_3genE5ELNS1_11target_archE942ELNS1_3gpuE9ELNS1_3repE0EEENS1_30default_config_static_selectorELNS0_4arch9wavefront6targetE1EEEvSP_.has_dyn_sized_stack, 0
	.set _ZN7rocprim17ROCPRIM_400000_NS6detail17trampoline_kernelINS0_14default_configENS1_32segmented_reduce_config_selectorIdEEZNS1_21segmented_reduce_implIS3_PKdPdPKldN6hipcub16HIPCUB_304000_NS6detail27convert_result_type_wrapperIS8_S9_N2at6native12_GLOBAL__N_110CustomProdEEEEE10hipError_tPvRmT0_T1_jT2_SQ_T4_T3_P12ihipStream_tbEUlT_E_NS1_11comp_targetILNS1_3genE5ELNS1_11target_archE942ELNS1_3gpuE9ELNS1_3repE0EEENS1_30default_config_static_selectorELNS0_4arch9wavefront6targetE1EEEvSP_.has_recursion, 0
	.set _ZN7rocprim17ROCPRIM_400000_NS6detail17trampoline_kernelINS0_14default_configENS1_32segmented_reduce_config_selectorIdEEZNS1_21segmented_reduce_implIS3_PKdPdPKldN6hipcub16HIPCUB_304000_NS6detail27convert_result_type_wrapperIS8_S9_N2at6native12_GLOBAL__N_110CustomProdEEEEE10hipError_tPvRmT0_T1_jT2_SQ_T4_T3_P12ihipStream_tbEUlT_E_NS1_11comp_targetILNS1_3genE5ELNS1_11target_archE942ELNS1_3gpuE9ELNS1_3repE0EEENS1_30default_config_static_selectorELNS0_4arch9wavefront6targetE1EEEvSP_.has_indirect_call, 0
	.section	.AMDGPU.csdata,"",@progbits
; Kernel info:
; codeLenInByte = 0
; TotalNumSgprs: 4
; NumVgprs: 0
; ScratchSize: 0
; MemoryBound: 0
; FloatMode: 240
; IeeeMode: 1
; LDSByteSize: 0 bytes/workgroup (compile time only)
; SGPRBlocks: 0
; VGPRBlocks: 0
; NumSGPRsForWavesPerEU: 4
; NumVGPRsForWavesPerEU: 1
; Occupancy: 10
; WaveLimiterHint : 0
; COMPUTE_PGM_RSRC2:SCRATCH_EN: 0
; COMPUTE_PGM_RSRC2:USER_SGPR: 6
; COMPUTE_PGM_RSRC2:TRAP_HANDLER: 0
; COMPUTE_PGM_RSRC2:TGID_X_EN: 1
; COMPUTE_PGM_RSRC2:TGID_Y_EN: 0
; COMPUTE_PGM_RSRC2:TGID_Z_EN: 0
; COMPUTE_PGM_RSRC2:TIDIG_COMP_CNT: 0
	.section	.text._ZN7rocprim17ROCPRIM_400000_NS6detail17trampoline_kernelINS0_14default_configENS1_32segmented_reduce_config_selectorIdEEZNS1_21segmented_reduce_implIS3_PKdPdPKldN6hipcub16HIPCUB_304000_NS6detail27convert_result_type_wrapperIS8_S9_N2at6native12_GLOBAL__N_110CustomProdEEEEE10hipError_tPvRmT0_T1_jT2_SQ_T4_T3_P12ihipStream_tbEUlT_E_NS1_11comp_targetILNS1_3genE10ELNS1_11target_archE1201ELNS1_3gpuE5ELNS1_3repE0EEENS1_30default_config_static_selectorELNS0_4arch9wavefront6targetE1EEEvSP_,"axG",@progbits,_ZN7rocprim17ROCPRIM_400000_NS6detail17trampoline_kernelINS0_14default_configENS1_32segmented_reduce_config_selectorIdEEZNS1_21segmented_reduce_implIS3_PKdPdPKldN6hipcub16HIPCUB_304000_NS6detail27convert_result_type_wrapperIS8_S9_N2at6native12_GLOBAL__N_110CustomProdEEEEE10hipError_tPvRmT0_T1_jT2_SQ_T4_T3_P12ihipStream_tbEUlT_E_NS1_11comp_targetILNS1_3genE10ELNS1_11target_archE1201ELNS1_3gpuE5ELNS1_3repE0EEENS1_30default_config_static_selectorELNS0_4arch9wavefront6targetE1EEEvSP_,comdat
	.globl	_ZN7rocprim17ROCPRIM_400000_NS6detail17trampoline_kernelINS0_14default_configENS1_32segmented_reduce_config_selectorIdEEZNS1_21segmented_reduce_implIS3_PKdPdPKldN6hipcub16HIPCUB_304000_NS6detail27convert_result_type_wrapperIS8_S9_N2at6native12_GLOBAL__N_110CustomProdEEEEE10hipError_tPvRmT0_T1_jT2_SQ_T4_T3_P12ihipStream_tbEUlT_E_NS1_11comp_targetILNS1_3genE10ELNS1_11target_archE1201ELNS1_3gpuE5ELNS1_3repE0EEENS1_30default_config_static_selectorELNS0_4arch9wavefront6targetE1EEEvSP_ ; -- Begin function _ZN7rocprim17ROCPRIM_400000_NS6detail17trampoline_kernelINS0_14default_configENS1_32segmented_reduce_config_selectorIdEEZNS1_21segmented_reduce_implIS3_PKdPdPKldN6hipcub16HIPCUB_304000_NS6detail27convert_result_type_wrapperIS8_S9_N2at6native12_GLOBAL__N_110CustomProdEEEEE10hipError_tPvRmT0_T1_jT2_SQ_T4_T3_P12ihipStream_tbEUlT_E_NS1_11comp_targetILNS1_3genE10ELNS1_11target_archE1201ELNS1_3gpuE5ELNS1_3repE0EEENS1_30default_config_static_selectorELNS0_4arch9wavefront6targetE1EEEvSP_
	.p2align	8
	.type	_ZN7rocprim17ROCPRIM_400000_NS6detail17trampoline_kernelINS0_14default_configENS1_32segmented_reduce_config_selectorIdEEZNS1_21segmented_reduce_implIS3_PKdPdPKldN6hipcub16HIPCUB_304000_NS6detail27convert_result_type_wrapperIS8_S9_N2at6native12_GLOBAL__N_110CustomProdEEEEE10hipError_tPvRmT0_T1_jT2_SQ_T4_T3_P12ihipStream_tbEUlT_E_NS1_11comp_targetILNS1_3genE10ELNS1_11target_archE1201ELNS1_3gpuE5ELNS1_3repE0EEENS1_30default_config_static_selectorELNS0_4arch9wavefront6targetE1EEEvSP_,@function
_ZN7rocprim17ROCPRIM_400000_NS6detail17trampoline_kernelINS0_14default_configENS1_32segmented_reduce_config_selectorIdEEZNS1_21segmented_reduce_implIS3_PKdPdPKldN6hipcub16HIPCUB_304000_NS6detail27convert_result_type_wrapperIS8_S9_N2at6native12_GLOBAL__N_110CustomProdEEEEE10hipError_tPvRmT0_T1_jT2_SQ_T4_T3_P12ihipStream_tbEUlT_E_NS1_11comp_targetILNS1_3genE10ELNS1_11target_archE1201ELNS1_3gpuE5ELNS1_3repE0EEENS1_30default_config_static_selectorELNS0_4arch9wavefront6targetE1EEEvSP_: ; @_ZN7rocprim17ROCPRIM_400000_NS6detail17trampoline_kernelINS0_14default_configENS1_32segmented_reduce_config_selectorIdEEZNS1_21segmented_reduce_implIS3_PKdPdPKldN6hipcub16HIPCUB_304000_NS6detail27convert_result_type_wrapperIS8_S9_N2at6native12_GLOBAL__N_110CustomProdEEEEE10hipError_tPvRmT0_T1_jT2_SQ_T4_T3_P12ihipStream_tbEUlT_E_NS1_11comp_targetILNS1_3genE10ELNS1_11target_archE1201ELNS1_3gpuE5ELNS1_3repE0EEENS1_30default_config_static_selectorELNS0_4arch9wavefront6targetE1EEEvSP_
; %bb.0:
	.section	.rodata,"a",@progbits
	.p2align	6, 0x0
	.amdhsa_kernel _ZN7rocprim17ROCPRIM_400000_NS6detail17trampoline_kernelINS0_14default_configENS1_32segmented_reduce_config_selectorIdEEZNS1_21segmented_reduce_implIS3_PKdPdPKldN6hipcub16HIPCUB_304000_NS6detail27convert_result_type_wrapperIS8_S9_N2at6native12_GLOBAL__N_110CustomProdEEEEE10hipError_tPvRmT0_T1_jT2_SQ_T4_T3_P12ihipStream_tbEUlT_E_NS1_11comp_targetILNS1_3genE10ELNS1_11target_archE1201ELNS1_3gpuE5ELNS1_3repE0EEENS1_30default_config_static_selectorELNS0_4arch9wavefront6targetE1EEEvSP_
		.amdhsa_group_segment_fixed_size 0
		.amdhsa_private_segment_fixed_size 0
		.amdhsa_kernarg_size 56
		.amdhsa_user_sgpr_count 6
		.amdhsa_user_sgpr_private_segment_buffer 1
		.amdhsa_user_sgpr_dispatch_ptr 0
		.amdhsa_user_sgpr_queue_ptr 0
		.amdhsa_user_sgpr_kernarg_segment_ptr 1
		.amdhsa_user_sgpr_dispatch_id 0
		.amdhsa_user_sgpr_flat_scratch_init 0
		.amdhsa_user_sgpr_private_segment_size 0
		.amdhsa_uses_dynamic_stack 0
		.amdhsa_system_sgpr_private_segment_wavefront_offset 0
		.amdhsa_system_sgpr_workgroup_id_x 1
		.amdhsa_system_sgpr_workgroup_id_y 0
		.amdhsa_system_sgpr_workgroup_id_z 0
		.amdhsa_system_sgpr_workgroup_info 0
		.amdhsa_system_vgpr_workitem_id 0
		.amdhsa_next_free_vgpr 1
		.amdhsa_next_free_sgpr 0
		.amdhsa_reserve_vcc 0
		.amdhsa_reserve_flat_scratch 0
		.amdhsa_float_round_mode_32 0
		.amdhsa_float_round_mode_16_64 0
		.amdhsa_float_denorm_mode_32 3
		.amdhsa_float_denorm_mode_16_64 3
		.amdhsa_dx10_clamp 1
		.amdhsa_ieee_mode 1
		.amdhsa_fp16_overflow 0
		.amdhsa_exception_fp_ieee_invalid_op 0
		.amdhsa_exception_fp_denorm_src 0
		.amdhsa_exception_fp_ieee_div_zero 0
		.amdhsa_exception_fp_ieee_overflow 0
		.amdhsa_exception_fp_ieee_underflow 0
		.amdhsa_exception_fp_ieee_inexact 0
		.amdhsa_exception_int_div_zero 0
	.end_amdhsa_kernel
	.section	.text._ZN7rocprim17ROCPRIM_400000_NS6detail17trampoline_kernelINS0_14default_configENS1_32segmented_reduce_config_selectorIdEEZNS1_21segmented_reduce_implIS3_PKdPdPKldN6hipcub16HIPCUB_304000_NS6detail27convert_result_type_wrapperIS8_S9_N2at6native12_GLOBAL__N_110CustomProdEEEEE10hipError_tPvRmT0_T1_jT2_SQ_T4_T3_P12ihipStream_tbEUlT_E_NS1_11comp_targetILNS1_3genE10ELNS1_11target_archE1201ELNS1_3gpuE5ELNS1_3repE0EEENS1_30default_config_static_selectorELNS0_4arch9wavefront6targetE1EEEvSP_,"axG",@progbits,_ZN7rocprim17ROCPRIM_400000_NS6detail17trampoline_kernelINS0_14default_configENS1_32segmented_reduce_config_selectorIdEEZNS1_21segmented_reduce_implIS3_PKdPdPKldN6hipcub16HIPCUB_304000_NS6detail27convert_result_type_wrapperIS8_S9_N2at6native12_GLOBAL__N_110CustomProdEEEEE10hipError_tPvRmT0_T1_jT2_SQ_T4_T3_P12ihipStream_tbEUlT_E_NS1_11comp_targetILNS1_3genE10ELNS1_11target_archE1201ELNS1_3gpuE5ELNS1_3repE0EEENS1_30default_config_static_selectorELNS0_4arch9wavefront6targetE1EEEvSP_,comdat
.Lfunc_end172:
	.size	_ZN7rocprim17ROCPRIM_400000_NS6detail17trampoline_kernelINS0_14default_configENS1_32segmented_reduce_config_selectorIdEEZNS1_21segmented_reduce_implIS3_PKdPdPKldN6hipcub16HIPCUB_304000_NS6detail27convert_result_type_wrapperIS8_S9_N2at6native12_GLOBAL__N_110CustomProdEEEEE10hipError_tPvRmT0_T1_jT2_SQ_T4_T3_P12ihipStream_tbEUlT_E_NS1_11comp_targetILNS1_3genE10ELNS1_11target_archE1201ELNS1_3gpuE5ELNS1_3repE0EEENS1_30default_config_static_selectorELNS0_4arch9wavefront6targetE1EEEvSP_, .Lfunc_end172-_ZN7rocprim17ROCPRIM_400000_NS6detail17trampoline_kernelINS0_14default_configENS1_32segmented_reduce_config_selectorIdEEZNS1_21segmented_reduce_implIS3_PKdPdPKldN6hipcub16HIPCUB_304000_NS6detail27convert_result_type_wrapperIS8_S9_N2at6native12_GLOBAL__N_110CustomProdEEEEE10hipError_tPvRmT0_T1_jT2_SQ_T4_T3_P12ihipStream_tbEUlT_E_NS1_11comp_targetILNS1_3genE10ELNS1_11target_archE1201ELNS1_3gpuE5ELNS1_3repE0EEENS1_30default_config_static_selectorELNS0_4arch9wavefront6targetE1EEEvSP_
                                        ; -- End function
	.set _ZN7rocprim17ROCPRIM_400000_NS6detail17trampoline_kernelINS0_14default_configENS1_32segmented_reduce_config_selectorIdEEZNS1_21segmented_reduce_implIS3_PKdPdPKldN6hipcub16HIPCUB_304000_NS6detail27convert_result_type_wrapperIS8_S9_N2at6native12_GLOBAL__N_110CustomProdEEEEE10hipError_tPvRmT0_T1_jT2_SQ_T4_T3_P12ihipStream_tbEUlT_E_NS1_11comp_targetILNS1_3genE10ELNS1_11target_archE1201ELNS1_3gpuE5ELNS1_3repE0EEENS1_30default_config_static_selectorELNS0_4arch9wavefront6targetE1EEEvSP_.num_vgpr, 0
	.set _ZN7rocprim17ROCPRIM_400000_NS6detail17trampoline_kernelINS0_14default_configENS1_32segmented_reduce_config_selectorIdEEZNS1_21segmented_reduce_implIS3_PKdPdPKldN6hipcub16HIPCUB_304000_NS6detail27convert_result_type_wrapperIS8_S9_N2at6native12_GLOBAL__N_110CustomProdEEEEE10hipError_tPvRmT0_T1_jT2_SQ_T4_T3_P12ihipStream_tbEUlT_E_NS1_11comp_targetILNS1_3genE10ELNS1_11target_archE1201ELNS1_3gpuE5ELNS1_3repE0EEENS1_30default_config_static_selectorELNS0_4arch9wavefront6targetE1EEEvSP_.num_agpr, 0
	.set _ZN7rocprim17ROCPRIM_400000_NS6detail17trampoline_kernelINS0_14default_configENS1_32segmented_reduce_config_selectorIdEEZNS1_21segmented_reduce_implIS3_PKdPdPKldN6hipcub16HIPCUB_304000_NS6detail27convert_result_type_wrapperIS8_S9_N2at6native12_GLOBAL__N_110CustomProdEEEEE10hipError_tPvRmT0_T1_jT2_SQ_T4_T3_P12ihipStream_tbEUlT_E_NS1_11comp_targetILNS1_3genE10ELNS1_11target_archE1201ELNS1_3gpuE5ELNS1_3repE0EEENS1_30default_config_static_selectorELNS0_4arch9wavefront6targetE1EEEvSP_.numbered_sgpr, 0
	.set _ZN7rocprim17ROCPRIM_400000_NS6detail17trampoline_kernelINS0_14default_configENS1_32segmented_reduce_config_selectorIdEEZNS1_21segmented_reduce_implIS3_PKdPdPKldN6hipcub16HIPCUB_304000_NS6detail27convert_result_type_wrapperIS8_S9_N2at6native12_GLOBAL__N_110CustomProdEEEEE10hipError_tPvRmT0_T1_jT2_SQ_T4_T3_P12ihipStream_tbEUlT_E_NS1_11comp_targetILNS1_3genE10ELNS1_11target_archE1201ELNS1_3gpuE5ELNS1_3repE0EEENS1_30default_config_static_selectorELNS0_4arch9wavefront6targetE1EEEvSP_.num_named_barrier, 0
	.set _ZN7rocprim17ROCPRIM_400000_NS6detail17trampoline_kernelINS0_14default_configENS1_32segmented_reduce_config_selectorIdEEZNS1_21segmented_reduce_implIS3_PKdPdPKldN6hipcub16HIPCUB_304000_NS6detail27convert_result_type_wrapperIS8_S9_N2at6native12_GLOBAL__N_110CustomProdEEEEE10hipError_tPvRmT0_T1_jT2_SQ_T4_T3_P12ihipStream_tbEUlT_E_NS1_11comp_targetILNS1_3genE10ELNS1_11target_archE1201ELNS1_3gpuE5ELNS1_3repE0EEENS1_30default_config_static_selectorELNS0_4arch9wavefront6targetE1EEEvSP_.private_seg_size, 0
	.set _ZN7rocprim17ROCPRIM_400000_NS6detail17trampoline_kernelINS0_14default_configENS1_32segmented_reduce_config_selectorIdEEZNS1_21segmented_reduce_implIS3_PKdPdPKldN6hipcub16HIPCUB_304000_NS6detail27convert_result_type_wrapperIS8_S9_N2at6native12_GLOBAL__N_110CustomProdEEEEE10hipError_tPvRmT0_T1_jT2_SQ_T4_T3_P12ihipStream_tbEUlT_E_NS1_11comp_targetILNS1_3genE10ELNS1_11target_archE1201ELNS1_3gpuE5ELNS1_3repE0EEENS1_30default_config_static_selectorELNS0_4arch9wavefront6targetE1EEEvSP_.uses_vcc, 0
	.set _ZN7rocprim17ROCPRIM_400000_NS6detail17trampoline_kernelINS0_14default_configENS1_32segmented_reduce_config_selectorIdEEZNS1_21segmented_reduce_implIS3_PKdPdPKldN6hipcub16HIPCUB_304000_NS6detail27convert_result_type_wrapperIS8_S9_N2at6native12_GLOBAL__N_110CustomProdEEEEE10hipError_tPvRmT0_T1_jT2_SQ_T4_T3_P12ihipStream_tbEUlT_E_NS1_11comp_targetILNS1_3genE10ELNS1_11target_archE1201ELNS1_3gpuE5ELNS1_3repE0EEENS1_30default_config_static_selectorELNS0_4arch9wavefront6targetE1EEEvSP_.uses_flat_scratch, 0
	.set _ZN7rocprim17ROCPRIM_400000_NS6detail17trampoline_kernelINS0_14default_configENS1_32segmented_reduce_config_selectorIdEEZNS1_21segmented_reduce_implIS3_PKdPdPKldN6hipcub16HIPCUB_304000_NS6detail27convert_result_type_wrapperIS8_S9_N2at6native12_GLOBAL__N_110CustomProdEEEEE10hipError_tPvRmT0_T1_jT2_SQ_T4_T3_P12ihipStream_tbEUlT_E_NS1_11comp_targetILNS1_3genE10ELNS1_11target_archE1201ELNS1_3gpuE5ELNS1_3repE0EEENS1_30default_config_static_selectorELNS0_4arch9wavefront6targetE1EEEvSP_.has_dyn_sized_stack, 0
	.set _ZN7rocprim17ROCPRIM_400000_NS6detail17trampoline_kernelINS0_14default_configENS1_32segmented_reduce_config_selectorIdEEZNS1_21segmented_reduce_implIS3_PKdPdPKldN6hipcub16HIPCUB_304000_NS6detail27convert_result_type_wrapperIS8_S9_N2at6native12_GLOBAL__N_110CustomProdEEEEE10hipError_tPvRmT0_T1_jT2_SQ_T4_T3_P12ihipStream_tbEUlT_E_NS1_11comp_targetILNS1_3genE10ELNS1_11target_archE1201ELNS1_3gpuE5ELNS1_3repE0EEENS1_30default_config_static_selectorELNS0_4arch9wavefront6targetE1EEEvSP_.has_recursion, 0
	.set _ZN7rocprim17ROCPRIM_400000_NS6detail17trampoline_kernelINS0_14default_configENS1_32segmented_reduce_config_selectorIdEEZNS1_21segmented_reduce_implIS3_PKdPdPKldN6hipcub16HIPCUB_304000_NS6detail27convert_result_type_wrapperIS8_S9_N2at6native12_GLOBAL__N_110CustomProdEEEEE10hipError_tPvRmT0_T1_jT2_SQ_T4_T3_P12ihipStream_tbEUlT_E_NS1_11comp_targetILNS1_3genE10ELNS1_11target_archE1201ELNS1_3gpuE5ELNS1_3repE0EEENS1_30default_config_static_selectorELNS0_4arch9wavefront6targetE1EEEvSP_.has_indirect_call, 0
	.section	.AMDGPU.csdata,"",@progbits
; Kernel info:
; codeLenInByte = 0
; TotalNumSgprs: 4
; NumVgprs: 0
; ScratchSize: 0
; MemoryBound: 0
; FloatMode: 240
; IeeeMode: 1
; LDSByteSize: 0 bytes/workgroup (compile time only)
; SGPRBlocks: 0
; VGPRBlocks: 0
; NumSGPRsForWavesPerEU: 4
; NumVGPRsForWavesPerEU: 1
; Occupancy: 10
; WaveLimiterHint : 0
; COMPUTE_PGM_RSRC2:SCRATCH_EN: 0
; COMPUTE_PGM_RSRC2:USER_SGPR: 6
; COMPUTE_PGM_RSRC2:TRAP_HANDLER: 0
; COMPUTE_PGM_RSRC2:TGID_X_EN: 1
; COMPUTE_PGM_RSRC2:TGID_Y_EN: 0
; COMPUTE_PGM_RSRC2:TGID_Z_EN: 0
; COMPUTE_PGM_RSRC2:TIDIG_COMP_CNT: 0
	.section	.text._ZN7rocprim17ROCPRIM_400000_NS6detail17trampoline_kernelINS0_14default_configENS1_32segmented_reduce_config_selectorIdEEZNS1_21segmented_reduce_implIS3_PKdPdPKldN6hipcub16HIPCUB_304000_NS6detail27convert_result_type_wrapperIS8_S9_N2at6native12_GLOBAL__N_110CustomProdEEEEE10hipError_tPvRmT0_T1_jT2_SQ_T4_T3_P12ihipStream_tbEUlT_E_NS1_11comp_targetILNS1_3genE4ELNS1_11target_archE910ELNS1_3gpuE8ELNS1_3repE0EEENS1_30default_config_static_selectorELNS0_4arch9wavefront6targetE1EEEvSP_,"axG",@progbits,_ZN7rocprim17ROCPRIM_400000_NS6detail17trampoline_kernelINS0_14default_configENS1_32segmented_reduce_config_selectorIdEEZNS1_21segmented_reduce_implIS3_PKdPdPKldN6hipcub16HIPCUB_304000_NS6detail27convert_result_type_wrapperIS8_S9_N2at6native12_GLOBAL__N_110CustomProdEEEEE10hipError_tPvRmT0_T1_jT2_SQ_T4_T3_P12ihipStream_tbEUlT_E_NS1_11comp_targetILNS1_3genE4ELNS1_11target_archE910ELNS1_3gpuE8ELNS1_3repE0EEENS1_30default_config_static_selectorELNS0_4arch9wavefront6targetE1EEEvSP_,comdat
	.globl	_ZN7rocprim17ROCPRIM_400000_NS6detail17trampoline_kernelINS0_14default_configENS1_32segmented_reduce_config_selectorIdEEZNS1_21segmented_reduce_implIS3_PKdPdPKldN6hipcub16HIPCUB_304000_NS6detail27convert_result_type_wrapperIS8_S9_N2at6native12_GLOBAL__N_110CustomProdEEEEE10hipError_tPvRmT0_T1_jT2_SQ_T4_T3_P12ihipStream_tbEUlT_E_NS1_11comp_targetILNS1_3genE4ELNS1_11target_archE910ELNS1_3gpuE8ELNS1_3repE0EEENS1_30default_config_static_selectorELNS0_4arch9wavefront6targetE1EEEvSP_ ; -- Begin function _ZN7rocprim17ROCPRIM_400000_NS6detail17trampoline_kernelINS0_14default_configENS1_32segmented_reduce_config_selectorIdEEZNS1_21segmented_reduce_implIS3_PKdPdPKldN6hipcub16HIPCUB_304000_NS6detail27convert_result_type_wrapperIS8_S9_N2at6native12_GLOBAL__N_110CustomProdEEEEE10hipError_tPvRmT0_T1_jT2_SQ_T4_T3_P12ihipStream_tbEUlT_E_NS1_11comp_targetILNS1_3genE4ELNS1_11target_archE910ELNS1_3gpuE8ELNS1_3repE0EEENS1_30default_config_static_selectorELNS0_4arch9wavefront6targetE1EEEvSP_
	.p2align	8
	.type	_ZN7rocprim17ROCPRIM_400000_NS6detail17trampoline_kernelINS0_14default_configENS1_32segmented_reduce_config_selectorIdEEZNS1_21segmented_reduce_implIS3_PKdPdPKldN6hipcub16HIPCUB_304000_NS6detail27convert_result_type_wrapperIS8_S9_N2at6native12_GLOBAL__N_110CustomProdEEEEE10hipError_tPvRmT0_T1_jT2_SQ_T4_T3_P12ihipStream_tbEUlT_E_NS1_11comp_targetILNS1_3genE4ELNS1_11target_archE910ELNS1_3gpuE8ELNS1_3repE0EEENS1_30default_config_static_selectorELNS0_4arch9wavefront6targetE1EEEvSP_,@function
_ZN7rocprim17ROCPRIM_400000_NS6detail17trampoline_kernelINS0_14default_configENS1_32segmented_reduce_config_selectorIdEEZNS1_21segmented_reduce_implIS3_PKdPdPKldN6hipcub16HIPCUB_304000_NS6detail27convert_result_type_wrapperIS8_S9_N2at6native12_GLOBAL__N_110CustomProdEEEEE10hipError_tPvRmT0_T1_jT2_SQ_T4_T3_P12ihipStream_tbEUlT_E_NS1_11comp_targetILNS1_3genE4ELNS1_11target_archE910ELNS1_3gpuE8ELNS1_3repE0EEENS1_30default_config_static_selectorELNS0_4arch9wavefront6targetE1EEEvSP_: ; @_ZN7rocprim17ROCPRIM_400000_NS6detail17trampoline_kernelINS0_14default_configENS1_32segmented_reduce_config_selectorIdEEZNS1_21segmented_reduce_implIS3_PKdPdPKldN6hipcub16HIPCUB_304000_NS6detail27convert_result_type_wrapperIS8_S9_N2at6native12_GLOBAL__N_110CustomProdEEEEE10hipError_tPvRmT0_T1_jT2_SQ_T4_T3_P12ihipStream_tbEUlT_E_NS1_11comp_targetILNS1_3genE4ELNS1_11target_archE910ELNS1_3gpuE8ELNS1_3repE0EEENS1_30default_config_static_selectorELNS0_4arch9wavefront6targetE1EEEvSP_
; %bb.0:
	.section	.rodata,"a",@progbits
	.p2align	6, 0x0
	.amdhsa_kernel _ZN7rocprim17ROCPRIM_400000_NS6detail17trampoline_kernelINS0_14default_configENS1_32segmented_reduce_config_selectorIdEEZNS1_21segmented_reduce_implIS3_PKdPdPKldN6hipcub16HIPCUB_304000_NS6detail27convert_result_type_wrapperIS8_S9_N2at6native12_GLOBAL__N_110CustomProdEEEEE10hipError_tPvRmT0_T1_jT2_SQ_T4_T3_P12ihipStream_tbEUlT_E_NS1_11comp_targetILNS1_3genE4ELNS1_11target_archE910ELNS1_3gpuE8ELNS1_3repE0EEENS1_30default_config_static_selectorELNS0_4arch9wavefront6targetE1EEEvSP_
		.amdhsa_group_segment_fixed_size 0
		.amdhsa_private_segment_fixed_size 0
		.amdhsa_kernarg_size 56
		.amdhsa_user_sgpr_count 6
		.amdhsa_user_sgpr_private_segment_buffer 1
		.amdhsa_user_sgpr_dispatch_ptr 0
		.amdhsa_user_sgpr_queue_ptr 0
		.amdhsa_user_sgpr_kernarg_segment_ptr 1
		.amdhsa_user_sgpr_dispatch_id 0
		.amdhsa_user_sgpr_flat_scratch_init 0
		.amdhsa_user_sgpr_private_segment_size 0
		.amdhsa_uses_dynamic_stack 0
		.amdhsa_system_sgpr_private_segment_wavefront_offset 0
		.amdhsa_system_sgpr_workgroup_id_x 1
		.amdhsa_system_sgpr_workgroup_id_y 0
		.amdhsa_system_sgpr_workgroup_id_z 0
		.amdhsa_system_sgpr_workgroup_info 0
		.amdhsa_system_vgpr_workitem_id 0
		.amdhsa_next_free_vgpr 1
		.amdhsa_next_free_sgpr 0
		.amdhsa_reserve_vcc 0
		.amdhsa_reserve_flat_scratch 0
		.amdhsa_float_round_mode_32 0
		.amdhsa_float_round_mode_16_64 0
		.amdhsa_float_denorm_mode_32 3
		.amdhsa_float_denorm_mode_16_64 3
		.amdhsa_dx10_clamp 1
		.amdhsa_ieee_mode 1
		.amdhsa_fp16_overflow 0
		.amdhsa_exception_fp_ieee_invalid_op 0
		.amdhsa_exception_fp_denorm_src 0
		.amdhsa_exception_fp_ieee_div_zero 0
		.amdhsa_exception_fp_ieee_overflow 0
		.amdhsa_exception_fp_ieee_underflow 0
		.amdhsa_exception_fp_ieee_inexact 0
		.amdhsa_exception_int_div_zero 0
	.end_amdhsa_kernel
	.section	.text._ZN7rocprim17ROCPRIM_400000_NS6detail17trampoline_kernelINS0_14default_configENS1_32segmented_reduce_config_selectorIdEEZNS1_21segmented_reduce_implIS3_PKdPdPKldN6hipcub16HIPCUB_304000_NS6detail27convert_result_type_wrapperIS8_S9_N2at6native12_GLOBAL__N_110CustomProdEEEEE10hipError_tPvRmT0_T1_jT2_SQ_T4_T3_P12ihipStream_tbEUlT_E_NS1_11comp_targetILNS1_3genE4ELNS1_11target_archE910ELNS1_3gpuE8ELNS1_3repE0EEENS1_30default_config_static_selectorELNS0_4arch9wavefront6targetE1EEEvSP_,"axG",@progbits,_ZN7rocprim17ROCPRIM_400000_NS6detail17trampoline_kernelINS0_14default_configENS1_32segmented_reduce_config_selectorIdEEZNS1_21segmented_reduce_implIS3_PKdPdPKldN6hipcub16HIPCUB_304000_NS6detail27convert_result_type_wrapperIS8_S9_N2at6native12_GLOBAL__N_110CustomProdEEEEE10hipError_tPvRmT0_T1_jT2_SQ_T4_T3_P12ihipStream_tbEUlT_E_NS1_11comp_targetILNS1_3genE4ELNS1_11target_archE910ELNS1_3gpuE8ELNS1_3repE0EEENS1_30default_config_static_selectorELNS0_4arch9wavefront6targetE1EEEvSP_,comdat
.Lfunc_end173:
	.size	_ZN7rocprim17ROCPRIM_400000_NS6detail17trampoline_kernelINS0_14default_configENS1_32segmented_reduce_config_selectorIdEEZNS1_21segmented_reduce_implIS3_PKdPdPKldN6hipcub16HIPCUB_304000_NS6detail27convert_result_type_wrapperIS8_S9_N2at6native12_GLOBAL__N_110CustomProdEEEEE10hipError_tPvRmT0_T1_jT2_SQ_T4_T3_P12ihipStream_tbEUlT_E_NS1_11comp_targetILNS1_3genE4ELNS1_11target_archE910ELNS1_3gpuE8ELNS1_3repE0EEENS1_30default_config_static_selectorELNS0_4arch9wavefront6targetE1EEEvSP_, .Lfunc_end173-_ZN7rocprim17ROCPRIM_400000_NS6detail17trampoline_kernelINS0_14default_configENS1_32segmented_reduce_config_selectorIdEEZNS1_21segmented_reduce_implIS3_PKdPdPKldN6hipcub16HIPCUB_304000_NS6detail27convert_result_type_wrapperIS8_S9_N2at6native12_GLOBAL__N_110CustomProdEEEEE10hipError_tPvRmT0_T1_jT2_SQ_T4_T3_P12ihipStream_tbEUlT_E_NS1_11comp_targetILNS1_3genE4ELNS1_11target_archE910ELNS1_3gpuE8ELNS1_3repE0EEENS1_30default_config_static_selectorELNS0_4arch9wavefront6targetE1EEEvSP_
                                        ; -- End function
	.set _ZN7rocprim17ROCPRIM_400000_NS6detail17trampoline_kernelINS0_14default_configENS1_32segmented_reduce_config_selectorIdEEZNS1_21segmented_reduce_implIS3_PKdPdPKldN6hipcub16HIPCUB_304000_NS6detail27convert_result_type_wrapperIS8_S9_N2at6native12_GLOBAL__N_110CustomProdEEEEE10hipError_tPvRmT0_T1_jT2_SQ_T4_T3_P12ihipStream_tbEUlT_E_NS1_11comp_targetILNS1_3genE4ELNS1_11target_archE910ELNS1_3gpuE8ELNS1_3repE0EEENS1_30default_config_static_selectorELNS0_4arch9wavefront6targetE1EEEvSP_.num_vgpr, 0
	.set _ZN7rocprim17ROCPRIM_400000_NS6detail17trampoline_kernelINS0_14default_configENS1_32segmented_reduce_config_selectorIdEEZNS1_21segmented_reduce_implIS3_PKdPdPKldN6hipcub16HIPCUB_304000_NS6detail27convert_result_type_wrapperIS8_S9_N2at6native12_GLOBAL__N_110CustomProdEEEEE10hipError_tPvRmT0_T1_jT2_SQ_T4_T3_P12ihipStream_tbEUlT_E_NS1_11comp_targetILNS1_3genE4ELNS1_11target_archE910ELNS1_3gpuE8ELNS1_3repE0EEENS1_30default_config_static_selectorELNS0_4arch9wavefront6targetE1EEEvSP_.num_agpr, 0
	.set _ZN7rocprim17ROCPRIM_400000_NS6detail17trampoline_kernelINS0_14default_configENS1_32segmented_reduce_config_selectorIdEEZNS1_21segmented_reduce_implIS3_PKdPdPKldN6hipcub16HIPCUB_304000_NS6detail27convert_result_type_wrapperIS8_S9_N2at6native12_GLOBAL__N_110CustomProdEEEEE10hipError_tPvRmT0_T1_jT2_SQ_T4_T3_P12ihipStream_tbEUlT_E_NS1_11comp_targetILNS1_3genE4ELNS1_11target_archE910ELNS1_3gpuE8ELNS1_3repE0EEENS1_30default_config_static_selectorELNS0_4arch9wavefront6targetE1EEEvSP_.numbered_sgpr, 0
	.set _ZN7rocprim17ROCPRIM_400000_NS6detail17trampoline_kernelINS0_14default_configENS1_32segmented_reduce_config_selectorIdEEZNS1_21segmented_reduce_implIS3_PKdPdPKldN6hipcub16HIPCUB_304000_NS6detail27convert_result_type_wrapperIS8_S9_N2at6native12_GLOBAL__N_110CustomProdEEEEE10hipError_tPvRmT0_T1_jT2_SQ_T4_T3_P12ihipStream_tbEUlT_E_NS1_11comp_targetILNS1_3genE4ELNS1_11target_archE910ELNS1_3gpuE8ELNS1_3repE0EEENS1_30default_config_static_selectorELNS0_4arch9wavefront6targetE1EEEvSP_.num_named_barrier, 0
	.set _ZN7rocprim17ROCPRIM_400000_NS6detail17trampoline_kernelINS0_14default_configENS1_32segmented_reduce_config_selectorIdEEZNS1_21segmented_reduce_implIS3_PKdPdPKldN6hipcub16HIPCUB_304000_NS6detail27convert_result_type_wrapperIS8_S9_N2at6native12_GLOBAL__N_110CustomProdEEEEE10hipError_tPvRmT0_T1_jT2_SQ_T4_T3_P12ihipStream_tbEUlT_E_NS1_11comp_targetILNS1_3genE4ELNS1_11target_archE910ELNS1_3gpuE8ELNS1_3repE0EEENS1_30default_config_static_selectorELNS0_4arch9wavefront6targetE1EEEvSP_.private_seg_size, 0
	.set _ZN7rocprim17ROCPRIM_400000_NS6detail17trampoline_kernelINS0_14default_configENS1_32segmented_reduce_config_selectorIdEEZNS1_21segmented_reduce_implIS3_PKdPdPKldN6hipcub16HIPCUB_304000_NS6detail27convert_result_type_wrapperIS8_S9_N2at6native12_GLOBAL__N_110CustomProdEEEEE10hipError_tPvRmT0_T1_jT2_SQ_T4_T3_P12ihipStream_tbEUlT_E_NS1_11comp_targetILNS1_3genE4ELNS1_11target_archE910ELNS1_3gpuE8ELNS1_3repE0EEENS1_30default_config_static_selectorELNS0_4arch9wavefront6targetE1EEEvSP_.uses_vcc, 0
	.set _ZN7rocprim17ROCPRIM_400000_NS6detail17trampoline_kernelINS0_14default_configENS1_32segmented_reduce_config_selectorIdEEZNS1_21segmented_reduce_implIS3_PKdPdPKldN6hipcub16HIPCUB_304000_NS6detail27convert_result_type_wrapperIS8_S9_N2at6native12_GLOBAL__N_110CustomProdEEEEE10hipError_tPvRmT0_T1_jT2_SQ_T4_T3_P12ihipStream_tbEUlT_E_NS1_11comp_targetILNS1_3genE4ELNS1_11target_archE910ELNS1_3gpuE8ELNS1_3repE0EEENS1_30default_config_static_selectorELNS0_4arch9wavefront6targetE1EEEvSP_.uses_flat_scratch, 0
	.set _ZN7rocprim17ROCPRIM_400000_NS6detail17trampoline_kernelINS0_14default_configENS1_32segmented_reduce_config_selectorIdEEZNS1_21segmented_reduce_implIS3_PKdPdPKldN6hipcub16HIPCUB_304000_NS6detail27convert_result_type_wrapperIS8_S9_N2at6native12_GLOBAL__N_110CustomProdEEEEE10hipError_tPvRmT0_T1_jT2_SQ_T4_T3_P12ihipStream_tbEUlT_E_NS1_11comp_targetILNS1_3genE4ELNS1_11target_archE910ELNS1_3gpuE8ELNS1_3repE0EEENS1_30default_config_static_selectorELNS0_4arch9wavefront6targetE1EEEvSP_.has_dyn_sized_stack, 0
	.set _ZN7rocprim17ROCPRIM_400000_NS6detail17trampoline_kernelINS0_14default_configENS1_32segmented_reduce_config_selectorIdEEZNS1_21segmented_reduce_implIS3_PKdPdPKldN6hipcub16HIPCUB_304000_NS6detail27convert_result_type_wrapperIS8_S9_N2at6native12_GLOBAL__N_110CustomProdEEEEE10hipError_tPvRmT0_T1_jT2_SQ_T4_T3_P12ihipStream_tbEUlT_E_NS1_11comp_targetILNS1_3genE4ELNS1_11target_archE910ELNS1_3gpuE8ELNS1_3repE0EEENS1_30default_config_static_selectorELNS0_4arch9wavefront6targetE1EEEvSP_.has_recursion, 0
	.set _ZN7rocprim17ROCPRIM_400000_NS6detail17trampoline_kernelINS0_14default_configENS1_32segmented_reduce_config_selectorIdEEZNS1_21segmented_reduce_implIS3_PKdPdPKldN6hipcub16HIPCUB_304000_NS6detail27convert_result_type_wrapperIS8_S9_N2at6native12_GLOBAL__N_110CustomProdEEEEE10hipError_tPvRmT0_T1_jT2_SQ_T4_T3_P12ihipStream_tbEUlT_E_NS1_11comp_targetILNS1_3genE4ELNS1_11target_archE910ELNS1_3gpuE8ELNS1_3repE0EEENS1_30default_config_static_selectorELNS0_4arch9wavefront6targetE1EEEvSP_.has_indirect_call, 0
	.section	.AMDGPU.csdata,"",@progbits
; Kernel info:
; codeLenInByte = 0
; TotalNumSgprs: 4
; NumVgprs: 0
; ScratchSize: 0
; MemoryBound: 0
; FloatMode: 240
; IeeeMode: 1
; LDSByteSize: 0 bytes/workgroup (compile time only)
; SGPRBlocks: 0
; VGPRBlocks: 0
; NumSGPRsForWavesPerEU: 4
; NumVGPRsForWavesPerEU: 1
; Occupancy: 10
; WaveLimiterHint : 0
; COMPUTE_PGM_RSRC2:SCRATCH_EN: 0
; COMPUTE_PGM_RSRC2:USER_SGPR: 6
; COMPUTE_PGM_RSRC2:TRAP_HANDLER: 0
; COMPUTE_PGM_RSRC2:TGID_X_EN: 1
; COMPUTE_PGM_RSRC2:TGID_Y_EN: 0
; COMPUTE_PGM_RSRC2:TGID_Z_EN: 0
; COMPUTE_PGM_RSRC2:TIDIG_COMP_CNT: 0
	.section	.text._ZN7rocprim17ROCPRIM_400000_NS6detail17trampoline_kernelINS0_14default_configENS1_32segmented_reduce_config_selectorIdEEZNS1_21segmented_reduce_implIS3_PKdPdPKldN6hipcub16HIPCUB_304000_NS6detail27convert_result_type_wrapperIS8_S9_N2at6native12_GLOBAL__N_110CustomProdEEEEE10hipError_tPvRmT0_T1_jT2_SQ_T4_T3_P12ihipStream_tbEUlT_E_NS1_11comp_targetILNS1_3genE3ELNS1_11target_archE908ELNS1_3gpuE7ELNS1_3repE0EEENS1_30default_config_static_selectorELNS0_4arch9wavefront6targetE1EEEvSP_,"axG",@progbits,_ZN7rocprim17ROCPRIM_400000_NS6detail17trampoline_kernelINS0_14default_configENS1_32segmented_reduce_config_selectorIdEEZNS1_21segmented_reduce_implIS3_PKdPdPKldN6hipcub16HIPCUB_304000_NS6detail27convert_result_type_wrapperIS8_S9_N2at6native12_GLOBAL__N_110CustomProdEEEEE10hipError_tPvRmT0_T1_jT2_SQ_T4_T3_P12ihipStream_tbEUlT_E_NS1_11comp_targetILNS1_3genE3ELNS1_11target_archE908ELNS1_3gpuE7ELNS1_3repE0EEENS1_30default_config_static_selectorELNS0_4arch9wavefront6targetE1EEEvSP_,comdat
	.globl	_ZN7rocprim17ROCPRIM_400000_NS6detail17trampoline_kernelINS0_14default_configENS1_32segmented_reduce_config_selectorIdEEZNS1_21segmented_reduce_implIS3_PKdPdPKldN6hipcub16HIPCUB_304000_NS6detail27convert_result_type_wrapperIS8_S9_N2at6native12_GLOBAL__N_110CustomProdEEEEE10hipError_tPvRmT0_T1_jT2_SQ_T4_T3_P12ihipStream_tbEUlT_E_NS1_11comp_targetILNS1_3genE3ELNS1_11target_archE908ELNS1_3gpuE7ELNS1_3repE0EEENS1_30default_config_static_selectorELNS0_4arch9wavefront6targetE1EEEvSP_ ; -- Begin function _ZN7rocprim17ROCPRIM_400000_NS6detail17trampoline_kernelINS0_14default_configENS1_32segmented_reduce_config_selectorIdEEZNS1_21segmented_reduce_implIS3_PKdPdPKldN6hipcub16HIPCUB_304000_NS6detail27convert_result_type_wrapperIS8_S9_N2at6native12_GLOBAL__N_110CustomProdEEEEE10hipError_tPvRmT0_T1_jT2_SQ_T4_T3_P12ihipStream_tbEUlT_E_NS1_11comp_targetILNS1_3genE3ELNS1_11target_archE908ELNS1_3gpuE7ELNS1_3repE0EEENS1_30default_config_static_selectorELNS0_4arch9wavefront6targetE1EEEvSP_
	.p2align	8
	.type	_ZN7rocprim17ROCPRIM_400000_NS6detail17trampoline_kernelINS0_14default_configENS1_32segmented_reduce_config_selectorIdEEZNS1_21segmented_reduce_implIS3_PKdPdPKldN6hipcub16HIPCUB_304000_NS6detail27convert_result_type_wrapperIS8_S9_N2at6native12_GLOBAL__N_110CustomProdEEEEE10hipError_tPvRmT0_T1_jT2_SQ_T4_T3_P12ihipStream_tbEUlT_E_NS1_11comp_targetILNS1_3genE3ELNS1_11target_archE908ELNS1_3gpuE7ELNS1_3repE0EEENS1_30default_config_static_selectorELNS0_4arch9wavefront6targetE1EEEvSP_,@function
_ZN7rocprim17ROCPRIM_400000_NS6detail17trampoline_kernelINS0_14default_configENS1_32segmented_reduce_config_selectorIdEEZNS1_21segmented_reduce_implIS3_PKdPdPKldN6hipcub16HIPCUB_304000_NS6detail27convert_result_type_wrapperIS8_S9_N2at6native12_GLOBAL__N_110CustomProdEEEEE10hipError_tPvRmT0_T1_jT2_SQ_T4_T3_P12ihipStream_tbEUlT_E_NS1_11comp_targetILNS1_3genE3ELNS1_11target_archE908ELNS1_3gpuE7ELNS1_3repE0EEENS1_30default_config_static_selectorELNS0_4arch9wavefront6targetE1EEEvSP_: ; @_ZN7rocprim17ROCPRIM_400000_NS6detail17trampoline_kernelINS0_14default_configENS1_32segmented_reduce_config_selectorIdEEZNS1_21segmented_reduce_implIS3_PKdPdPKldN6hipcub16HIPCUB_304000_NS6detail27convert_result_type_wrapperIS8_S9_N2at6native12_GLOBAL__N_110CustomProdEEEEE10hipError_tPvRmT0_T1_jT2_SQ_T4_T3_P12ihipStream_tbEUlT_E_NS1_11comp_targetILNS1_3genE3ELNS1_11target_archE908ELNS1_3gpuE7ELNS1_3repE0EEENS1_30default_config_static_selectorELNS0_4arch9wavefront6targetE1EEEvSP_
; %bb.0:
	.section	.rodata,"a",@progbits
	.p2align	6, 0x0
	.amdhsa_kernel _ZN7rocprim17ROCPRIM_400000_NS6detail17trampoline_kernelINS0_14default_configENS1_32segmented_reduce_config_selectorIdEEZNS1_21segmented_reduce_implIS3_PKdPdPKldN6hipcub16HIPCUB_304000_NS6detail27convert_result_type_wrapperIS8_S9_N2at6native12_GLOBAL__N_110CustomProdEEEEE10hipError_tPvRmT0_T1_jT2_SQ_T4_T3_P12ihipStream_tbEUlT_E_NS1_11comp_targetILNS1_3genE3ELNS1_11target_archE908ELNS1_3gpuE7ELNS1_3repE0EEENS1_30default_config_static_selectorELNS0_4arch9wavefront6targetE1EEEvSP_
		.amdhsa_group_segment_fixed_size 0
		.amdhsa_private_segment_fixed_size 0
		.amdhsa_kernarg_size 56
		.amdhsa_user_sgpr_count 6
		.amdhsa_user_sgpr_private_segment_buffer 1
		.amdhsa_user_sgpr_dispatch_ptr 0
		.amdhsa_user_sgpr_queue_ptr 0
		.amdhsa_user_sgpr_kernarg_segment_ptr 1
		.amdhsa_user_sgpr_dispatch_id 0
		.amdhsa_user_sgpr_flat_scratch_init 0
		.amdhsa_user_sgpr_private_segment_size 0
		.amdhsa_uses_dynamic_stack 0
		.amdhsa_system_sgpr_private_segment_wavefront_offset 0
		.amdhsa_system_sgpr_workgroup_id_x 1
		.amdhsa_system_sgpr_workgroup_id_y 0
		.amdhsa_system_sgpr_workgroup_id_z 0
		.amdhsa_system_sgpr_workgroup_info 0
		.amdhsa_system_vgpr_workitem_id 0
		.amdhsa_next_free_vgpr 1
		.amdhsa_next_free_sgpr 0
		.amdhsa_reserve_vcc 0
		.amdhsa_reserve_flat_scratch 0
		.amdhsa_float_round_mode_32 0
		.amdhsa_float_round_mode_16_64 0
		.amdhsa_float_denorm_mode_32 3
		.amdhsa_float_denorm_mode_16_64 3
		.amdhsa_dx10_clamp 1
		.amdhsa_ieee_mode 1
		.amdhsa_fp16_overflow 0
		.amdhsa_exception_fp_ieee_invalid_op 0
		.amdhsa_exception_fp_denorm_src 0
		.amdhsa_exception_fp_ieee_div_zero 0
		.amdhsa_exception_fp_ieee_overflow 0
		.amdhsa_exception_fp_ieee_underflow 0
		.amdhsa_exception_fp_ieee_inexact 0
		.amdhsa_exception_int_div_zero 0
	.end_amdhsa_kernel
	.section	.text._ZN7rocprim17ROCPRIM_400000_NS6detail17trampoline_kernelINS0_14default_configENS1_32segmented_reduce_config_selectorIdEEZNS1_21segmented_reduce_implIS3_PKdPdPKldN6hipcub16HIPCUB_304000_NS6detail27convert_result_type_wrapperIS8_S9_N2at6native12_GLOBAL__N_110CustomProdEEEEE10hipError_tPvRmT0_T1_jT2_SQ_T4_T3_P12ihipStream_tbEUlT_E_NS1_11comp_targetILNS1_3genE3ELNS1_11target_archE908ELNS1_3gpuE7ELNS1_3repE0EEENS1_30default_config_static_selectorELNS0_4arch9wavefront6targetE1EEEvSP_,"axG",@progbits,_ZN7rocprim17ROCPRIM_400000_NS6detail17trampoline_kernelINS0_14default_configENS1_32segmented_reduce_config_selectorIdEEZNS1_21segmented_reduce_implIS3_PKdPdPKldN6hipcub16HIPCUB_304000_NS6detail27convert_result_type_wrapperIS8_S9_N2at6native12_GLOBAL__N_110CustomProdEEEEE10hipError_tPvRmT0_T1_jT2_SQ_T4_T3_P12ihipStream_tbEUlT_E_NS1_11comp_targetILNS1_3genE3ELNS1_11target_archE908ELNS1_3gpuE7ELNS1_3repE0EEENS1_30default_config_static_selectorELNS0_4arch9wavefront6targetE1EEEvSP_,comdat
.Lfunc_end174:
	.size	_ZN7rocprim17ROCPRIM_400000_NS6detail17trampoline_kernelINS0_14default_configENS1_32segmented_reduce_config_selectorIdEEZNS1_21segmented_reduce_implIS3_PKdPdPKldN6hipcub16HIPCUB_304000_NS6detail27convert_result_type_wrapperIS8_S9_N2at6native12_GLOBAL__N_110CustomProdEEEEE10hipError_tPvRmT0_T1_jT2_SQ_T4_T3_P12ihipStream_tbEUlT_E_NS1_11comp_targetILNS1_3genE3ELNS1_11target_archE908ELNS1_3gpuE7ELNS1_3repE0EEENS1_30default_config_static_selectorELNS0_4arch9wavefront6targetE1EEEvSP_, .Lfunc_end174-_ZN7rocprim17ROCPRIM_400000_NS6detail17trampoline_kernelINS0_14default_configENS1_32segmented_reduce_config_selectorIdEEZNS1_21segmented_reduce_implIS3_PKdPdPKldN6hipcub16HIPCUB_304000_NS6detail27convert_result_type_wrapperIS8_S9_N2at6native12_GLOBAL__N_110CustomProdEEEEE10hipError_tPvRmT0_T1_jT2_SQ_T4_T3_P12ihipStream_tbEUlT_E_NS1_11comp_targetILNS1_3genE3ELNS1_11target_archE908ELNS1_3gpuE7ELNS1_3repE0EEENS1_30default_config_static_selectorELNS0_4arch9wavefront6targetE1EEEvSP_
                                        ; -- End function
	.set _ZN7rocprim17ROCPRIM_400000_NS6detail17trampoline_kernelINS0_14default_configENS1_32segmented_reduce_config_selectorIdEEZNS1_21segmented_reduce_implIS3_PKdPdPKldN6hipcub16HIPCUB_304000_NS6detail27convert_result_type_wrapperIS8_S9_N2at6native12_GLOBAL__N_110CustomProdEEEEE10hipError_tPvRmT0_T1_jT2_SQ_T4_T3_P12ihipStream_tbEUlT_E_NS1_11comp_targetILNS1_3genE3ELNS1_11target_archE908ELNS1_3gpuE7ELNS1_3repE0EEENS1_30default_config_static_selectorELNS0_4arch9wavefront6targetE1EEEvSP_.num_vgpr, 0
	.set _ZN7rocprim17ROCPRIM_400000_NS6detail17trampoline_kernelINS0_14default_configENS1_32segmented_reduce_config_selectorIdEEZNS1_21segmented_reduce_implIS3_PKdPdPKldN6hipcub16HIPCUB_304000_NS6detail27convert_result_type_wrapperIS8_S9_N2at6native12_GLOBAL__N_110CustomProdEEEEE10hipError_tPvRmT0_T1_jT2_SQ_T4_T3_P12ihipStream_tbEUlT_E_NS1_11comp_targetILNS1_3genE3ELNS1_11target_archE908ELNS1_3gpuE7ELNS1_3repE0EEENS1_30default_config_static_selectorELNS0_4arch9wavefront6targetE1EEEvSP_.num_agpr, 0
	.set _ZN7rocprim17ROCPRIM_400000_NS6detail17trampoline_kernelINS0_14default_configENS1_32segmented_reduce_config_selectorIdEEZNS1_21segmented_reduce_implIS3_PKdPdPKldN6hipcub16HIPCUB_304000_NS6detail27convert_result_type_wrapperIS8_S9_N2at6native12_GLOBAL__N_110CustomProdEEEEE10hipError_tPvRmT0_T1_jT2_SQ_T4_T3_P12ihipStream_tbEUlT_E_NS1_11comp_targetILNS1_3genE3ELNS1_11target_archE908ELNS1_3gpuE7ELNS1_3repE0EEENS1_30default_config_static_selectorELNS0_4arch9wavefront6targetE1EEEvSP_.numbered_sgpr, 0
	.set _ZN7rocprim17ROCPRIM_400000_NS6detail17trampoline_kernelINS0_14default_configENS1_32segmented_reduce_config_selectorIdEEZNS1_21segmented_reduce_implIS3_PKdPdPKldN6hipcub16HIPCUB_304000_NS6detail27convert_result_type_wrapperIS8_S9_N2at6native12_GLOBAL__N_110CustomProdEEEEE10hipError_tPvRmT0_T1_jT2_SQ_T4_T3_P12ihipStream_tbEUlT_E_NS1_11comp_targetILNS1_3genE3ELNS1_11target_archE908ELNS1_3gpuE7ELNS1_3repE0EEENS1_30default_config_static_selectorELNS0_4arch9wavefront6targetE1EEEvSP_.num_named_barrier, 0
	.set _ZN7rocprim17ROCPRIM_400000_NS6detail17trampoline_kernelINS0_14default_configENS1_32segmented_reduce_config_selectorIdEEZNS1_21segmented_reduce_implIS3_PKdPdPKldN6hipcub16HIPCUB_304000_NS6detail27convert_result_type_wrapperIS8_S9_N2at6native12_GLOBAL__N_110CustomProdEEEEE10hipError_tPvRmT0_T1_jT2_SQ_T4_T3_P12ihipStream_tbEUlT_E_NS1_11comp_targetILNS1_3genE3ELNS1_11target_archE908ELNS1_3gpuE7ELNS1_3repE0EEENS1_30default_config_static_selectorELNS0_4arch9wavefront6targetE1EEEvSP_.private_seg_size, 0
	.set _ZN7rocprim17ROCPRIM_400000_NS6detail17trampoline_kernelINS0_14default_configENS1_32segmented_reduce_config_selectorIdEEZNS1_21segmented_reduce_implIS3_PKdPdPKldN6hipcub16HIPCUB_304000_NS6detail27convert_result_type_wrapperIS8_S9_N2at6native12_GLOBAL__N_110CustomProdEEEEE10hipError_tPvRmT0_T1_jT2_SQ_T4_T3_P12ihipStream_tbEUlT_E_NS1_11comp_targetILNS1_3genE3ELNS1_11target_archE908ELNS1_3gpuE7ELNS1_3repE0EEENS1_30default_config_static_selectorELNS0_4arch9wavefront6targetE1EEEvSP_.uses_vcc, 0
	.set _ZN7rocprim17ROCPRIM_400000_NS6detail17trampoline_kernelINS0_14default_configENS1_32segmented_reduce_config_selectorIdEEZNS1_21segmented_reduce_implIS3_PKdPdPKldN6hipcub16HIPCUB_304000_NS6detail27convert_result_type_wrapperIS8_S9_N2at6native12_GLOBAL__N_110CustomProdEEEEE10hipError_tPvRmT0_T1_jT2_SQ_T4_T3_P12ihipStream_tbEUlT_E_NS1_11comp_targetILNS1_3genE3ELNS1_11target_archE908ELNS1_3gpuE7ELNS1_3repE0EEENS1_30default_config_static_selectorELNS0_4arch9wavefront6targetE1EEEvSP_.uses_flat_scratch, 0
	.set _ZN7rocprim17ROCPRIM_400000_NS6detail17trampoline_kernelINS0_14default_configENS1_32segmented_reduce_config_selectorIdEEZNS1_21segmented_reduce_implIS3_PKdPdPKldN6hipcub16HIPCUB_304000_NS6detail27convert_result_type_wrapperIS8_S9_N2at6native12_GLOBAL__N_110CustomProdEEEEE10hipError_tPvRmT0_T1_jT2_SQ_T4_T3_P12ihipStream_tbEUlT_E_NS1_11comp_targetILNS1_3genE3ELNS1_11target_archE908ELNS1_3gpuE7ELNS1_3repE0EEENS1_30default_config_static_selectorELNS0_4arch9wavefront6targetE1EEEvSP_.has_dyn_sized_stack, 0
	.set _ZN7rocprim17ROCPRIM_400000_NS6detail17trampoline_kernelINS0_14default_configENS1_32segmented_reduce_config_selectorIdEEZNS1_21segmented_reduce_implIS3_PKdPdPKldN6hipcub16HIPCUB_304000_NS6detail27convert_result_type_wrapperIS8_S9_N2at6native12_GLOBAL__N_110CustomProdEEEEE10hipError_tPvRmT0_T1_jT2_SQ_T4_T3_P12ihipStream_tbEUlT_E_NS1_11comp_targetILNS1_3genE3ELNS1_11target_archE908ELNS1_3gpuE7ELNS1_3repE0EEENS1_30default_config_static_selectorELNS0_4arch9wavefront6targetE1EEEvSP_.has_recursion, 0
	.set _ZN7rocprim17ROCPRIM_400000_NS6detail17trampoline_kernelINS0_14default_configENS1_32segmented_reduce_config_selectorIdEEZNS1_21segmented_reduce_implIS3_PKdPdPKldN6hipcub16HIPCUB_304000_NS6detail27convert_result_type_wrapperIS8_S9_N2at6native12_GLOBAL__N_110CustomProdEEEEE10hipError_tPvRmT0_T1_jT2_SQ_T4_T3_P12ihipStream_tbEUlT_E_NS1_11comp_targetILNS1_3genE3ELNS1_11target_archE908ELNS1_3gpuE7ELNS1_3repE0EEENS1_30default_config_static_selectorELNS0_4arch9wavefront6targetE1EEEvSP_.has_indirect_call, 0
	.section	.AMDGPU.csdata,"",@progbits
; Kernel info:
; codeLenInByte = 0
; TotalNumSgprs: 4
; NumVgprs: 0
; ScratchSize: 0
; MemoryBound: 0
; FloatMode: 240
; IeeeMode: 1
; LDSByteSize: 0 bytes/workgroup (compile time only)
; SGPRBlocks: 0
; VGPRBlocks: 0
; NumSGPRsForWavesPerEU: 4
; NumVGPRsForWavesPerEU: 1
; Occupancy: 10
; WaveLimiterHint : 0
; COMPUTE_PGM_RSRC2:SCRATCH_EN: 0
; COMPUTE_PGM_RSRC2:USER_SGPR: 6
; COMPUTE_PGM_RSRC2:TRAP_HANDLER: 0
; COMPUTE_PGM_RSRC2:TGID_X_EN: 1
; COMPUTE_PGM_RSRC2:TGID_Y_EN: 0
; COMPUTE_PGM_RSRC2:TGID_Z_EN: 0
; COMPUTE_PGM_RSRC2:TIDIG_COMP_CNT: 0
	.section	.text._ZN7rocprim17ROCPRIM_400000_NS6detail17trampoline_kernelINS0_14default_configENS1_32segmented_reduce_config_selectorIdEEZNS1_21segmented_reduce_implIS3_PKdPdPKldN6hipcub16HIPCUB_304000_NS6detail27convert_result_type_wrapperIS8_S9_N2at6native12_GLOBAL__N_110CustomProdEEEEE10hipError_tPvRmT0_T1_jT2_SQ_T4_T3_P12ihipStream_tbEUlT_E_NS1_11comp_targetILNS1_3genE2ELNS1_11target_archE906ELNS1_3gpuE6ELNS1_3repE0EEENS1_30default_config_static_selectorELNS0_4arch9wavefront6targetE1EEEvSP_,"axG",@progbits,_ZN7rocprim17ROCPRIM_400000_NS6detail17trampoline_kernelINS0_14default_configENS1_32segmented_reduce_config_selectorIdEEZNS1_21segmented_reduce_implIS3_PKdPdPKldN6hipcub16HIPCUB_304000_NS6detail27convert_result_type_wrapperIS8_S9_N2at6native12_GLOBAL__N_110CustomProdEEEEE10hipError_tPvRmT0_T1_jT2_SQ_T4_T3_P12ihipStream_tbEUlT_E_NS1_11comp_targetILNS1_3genE2ELNS1_11target_archE906ELNS1_3gpuE6ELNS1_3repE0EEENS1_30default_config_static_selectorELNS0_4arch9wavefront6targetE1EEEvSP_,comdat
	.globl	_ZN7rocprim17ROCPRIM_400000_NS6detail17trampoline_kernelINS0_14default_configENS1_32segmented_reduce_config_selectorIdEEZNS1_21segmented_reduce_implIS3_PKdPdPKldN6hipcub16HIPCUB_304000_NS6detail27convert_result_type_wrapperIS8_S9_N2at6native12_GLOBAL__N_110CustomProdEEEEE10hipError_tPvRmT0_T1_jT2_SQ_T4_T3_P12ihipStream_tbEUlT_E_NS1_11comp_targetILNS1_3genE2ELNS1_11target_archE906ELNS1_3gpuE6ELNS1_3repE0EEENS1_30default_config_static_selectorELNS0_4arch9wavefront6targetE1EEEvSP_ ; -- Begin function _ZN7rocprim17ROCPRIM_400000_NS6detail17trampoline_kernelINS0_14default_configENS1_32segmented_reduce_config_selectorIdEEZNS1_21segmented_reduce_implIS3_PKdPdPKldN6hipcub16HIPCUB_304000_NS6detail27convert_result_type_wrapperIS8_S9_N2at6native12_GLOBAL__N_110CustomProdEEEEE10hipError_tPvRmT0_T1_jT2_SQ_T4_T3_P12ihipStream_tbEUlT_E_NS1_11comp_targetILNS1_3genE2ELNS1_11target_archE906ELNS1_3gpuE6ELNS1_3repE0EEENS1_30default_config_static_selectorELNS0_4arch9wavefront6targetE1EEEvSP_
	.p2align	8
	.type	_ZN7rocprim17ROCPRIM_400000_NS6detail17trampoline_kernelINS0_14default_configENS1_32segmented_reduce_config_selectorIdEEZNS1_21segmented_reduce_implIS3_PKdPdPKldN6hipcub16HIPCUB_304000_NS6detail27convert_result_type_wrapperIS8_S9_N2at6native12_GLOBAL__N_110CustomProdEEEEE10hipError_tPvRmT0_T1_jT2_SQ_T4_T3_P12ihipStream_tbEUlT_E_NS1_11comp_targetILNS1_3genE2ELNS1_11target_archE906ELNS1_3gpuE6ELNS1_3repE0EEENS1_30default_config_static_selectorELNS0_4arch9wavefront6targetE1EEEvSP_,@function
_ZN7rocprim17ROCPRIM_400000_NS6detail17trampoline_kernelINS0_14default_configENS1_32segmented_reduce_config_selectorIdEEZNS1_21segmented_reduce_implIS3_PKdPdPKldN6hipcub16HIPCUB_304000_NS6detail27convert_result_type_wrapperIS8_S9_N2at6native12_GLOBAL__N_110CustomProdEEEEE10hipError_tPvRmT0_T1_jT2_SQ_T4_T3_P12ihipStream_tbEUlT_E_NS1_11comp_targetILNS1_3genE2ELNS1_11target_archE906ELNS1_3gpuE6ELNS1_3repE0EEENS1_30default_config_static_selectorELNS0_4arch9wavefront6targetE1EEEvSP_: ; @_ZN7rocprim17ROCPRIM_400000_NS6detail17trampoline_kernelINS0_14default_configENS1_32segmented_reduce_config_selectorIdEEZNS1_21segmented_reduce_implIS3_PKdPdPKldN6hipcub16HIPCUB_304000_NS6detail27convert_result_type_wrapperIS8_S9_N2at6native12_GLOBAL__N_110CustomProdEEEEE10hipError_tPvRmT0_T1_jT2_SQ_T4_T3_P12ihipStream_tbEUlT_E_NS1_11comp_targetILNS1_3genE2ELNS1_11target_archE906ELNS1_3gpuE6ELNS1_3repE0EEENS1_30default_config_static_selectorELNS0_4arch9wavefront6targetE1EEEvSP_
; %bb.0:
	s_load_dwordx8 s[16:23], s[4:5], 0x0
	s_load_dwordx2 s[0:1], s[4:5], 0x20
	s_load_dwordx2 s[24:25], s[4:5], 0x30
	s_mov_b32 s7, 0
	s_waitcnt lgkmcnt(0)
	s_lshl_b64 s[14:15], s[20:21], 3
	s_add_u32 s2, s22, s14
	s_addc_u32 s3, s23, s15
	s_add_u32 s4, s0, s14
	s_addc_u32 s5, s1, s15
	s_lshl_b64 s[20:21], s[6:7], 3
	s_add_u32 s0, s2, s20
	s_addc_u32 s1, s3, s21
	s_load_dwordx2 s[28:29], s[0:1], 0x0
	s_add_u32 s0, s4, s20
	s_addc_u32 s1, s5, s21
	s_load_dwordx2 s[26:27], s[0:1], 0x0
	v_cmp_eq_u32_e64 s[0:1], 0, v0
	s_waitcnt lgkmcnt(0)
	v_mov_b32_e32 v1, s28
	v_mov_b32_e32 v2, s29
	v_cmp_gt_i64_e32 vcc, s[26:27], v[1:2]
	s_cbranch_vccnz .LBB175_3
; %bb.1:
	s_and_b64 s[22:23], s[0:1], exec
	s_cbranch_execz .LBB175_4
; %bb.2:
	v_mov_b32_e32 v1, s24
	v_mov_b32_e32 v2, s25
	s_and_saveexec_b64 s[0:1], s[22:23]
	s_cbranch_execnz .LBB175_63
	s_branch .LBB175_64
.LBB175_3:
	s_mov_b64 s[22:23], 0
.LBB175_4:
	s_add_u32 s2, s28, 0x800
	v_mov_b32_e32 v1, s26
	s_addc_u32 s3, s29, 0
	v_mov_b32_e32 v2, s27
	v_cmp_le_i64_e32 vcc, s[2:3], v[1:2]
	s_cbranch_vccz .LBB175_29
; %bb.5:
	s_lshl_b64 s[0:1], s[28:29], 3
	s_add_u32 s4, s16, s0
	s_addc_u32 s5, s17, s1
	v_lshlrev_b32_e32 v21, 3, v0
	global_load_dwordx2 v[3:4], v21, s[4:5]
	global_load_dwordx2 v[1:2], v21, s[4:5] offset:2048
	v_mov_b32_e32 v5, s5
	v_add_co_u32_e32 v15, vcc, s4, v21
	v_addc_co_u32_e32 v16, vcc, 0, v5, vcc
	v_add_co_u32_e32 v9, vcc, 0x1000, v15
	v_addc_co_u32_e32 v10, vcc, 0, v16, vcc
	global_load_dwordx2 v[7:8], v[9:10], off
	global_load_dwordx2 v[5:6], v[9:10], off offset:2048
	v_add_co_u32_e32 v11, vcc, 0x2000, v15
	v_addc_co_u32_e32 v12, vcc, 0, v16, vcc
	global_load_dwordx2 v[9:10], v[11:12], off
	global_load_dwordx2 v[13:14], v[11:12], off offset:2048
	;; [unrolled: 4-line block ×3, first 2 shown]
	s_add_u32 s4, s28, 0x1000
	v_mov_b32_e32 v11, s26
	s_addc_u32 s5, s29, 0
	v_mov_b32_e32 v12, s27
	v_cmp_ge_i64_e32 vcc, s[4:5], v[11:12]
	s_and_b64 vcc, exec, vcc
	s_waitcnt vmcnt(6)
	v_mul_f64 v[11:12], v[3:4], v[1:2]
	s_waitcnt vmcnt(5)
	v_mul_f64 v[11:12], v[11:12], v[7:8]
	;; [unrolled: 2-line block ×7, first 2 shown]
	s_cbranch_vccnz .LBB175_8
; %bb.6:
	s_add_u32 s0, s16, s0
	s_addc_u32 s1, s17, s1
	v_mov_b32_e32 v1, s1
	v_add_co_u32_e32 v2, vcc, s0, v21
	v_addc_co_u32_e32 v1, vcc, 0, v1, vcc
	v_add_co_u32_e32 v19, vcc, 0x4000, v2
	v_addc_co_u32_e32 v20, vcc, 0, v1, vcc
.LBB175_7:                              ; =>This Inner Loop Header: Depth=1
	global_load_dwordx2 v[3:4], v[19:20], off
	global_load_dwordx2 v[1:2], v[19:20], off offset:2048
	v_add_co_u32_e32 v9, vcc, 0x1000, v19
	v_addc_co_u32_e32 v10, vcc, 0, v20, vcc
	global_load_dwordx2 v[7:8], v[9:10], off
	global_load_dwordx2 v[5:6], v[9:10], off offset:2048
	v_add_co_u32_e32 v13, vcc, 0x2000, v19
	v_addc_co_u32_e32 v14, vcc, 0, v20, vcc
	global_load_dwordx2 v[9:10], v[13:14], off
	s_mov_b64 s[0:1], s[2:3]
	global_load_dwordx2 v[13:14], v[13:14], off offset:2048
	s_add_u32 s2, s0, 0x800
	s_addc_u32 s3, s1, 0
	v_mov_b32_e32 v15, s26
	v_add_co_u32_e32 v22, vcc, 0x3000, v19
	s_add_u32 s0, s0, 0x1000
	v_mov_b32_e32 v16, s27
	v_addc_co_u32_e32 v23, vcc, 0, v20, vcc
	s_addc_u32 s1, s1, 0
	v_cmp_lt_i64_e64 s[0:1], s[0:1], v[15:16]
	global_load_dwordx2 v[17:18], v[22:23], off
	global_load_dwordx2 v[15:16], v[22:23], off offset:2048
	v_add_co_u32_e32 v19, vcc, 0x4000, v19
	v_addc_co_u32_e32 v20, vcc, 0, v20, vcc
	s_and_b64 vcc, exec, s[0:1]
	s_waitcnt vmcnt(7)
	v_mul_f64 v[11:12], v[11:12], v[3:4]
	s_waitcnt vmcnt(6)
	v_mul_f64 v[11:12], v[11:12], v[1:2]
	;; [unrolled: 2-line block ×8, first 2 shown]
	s_cbranch_vccnz .LBB175_7
.LBB175_8:
	s_sub_i32 s33, s26, s2
	s_lshl_b64 s[0:1], s[2:3], 3
	s_add_u32 s30, s16, s0
	s_addc_u32 s31, s17, s1
	v_cmp_gt_u32_e32 vcc, s33, v0
	s_and_saveexec_b64 s[0:1], vcc
	s_cbranch_execz .LBB175_10
; %bb.9:
	global_load_dwordx2 v[3:4], v21, s[30:31]
.LBB175_10:
	s_or_b64 exec, exec, s[0:1]
	v_or_b32_e32 v19, 0x100, v0
	v_cmp_gt_u32_e64 s[0:1], s33, v19
	s_and_saveexec_b64 s[2:3], s[0:1]
	s_cbranch_execz .LBB175_12
; %bb.11:
	global_load_dwordx2 v[1:2], v21, s[30:31] offset:2048
.LBB175_12:
	s_or_b64 exec, exec, s[2:3]
	v_or_b32_e32 v19, 0x200, v0
	v_cmp_gt_u32_e64 s[2:3], s33, v19
	s_and_saveexec_b64 s[4:5], s[2:3]
	s_cbranch_execz .LBB175_14
; %bb.13:
	v_lshlrev_b32_e32 v7, 3, v19
	global_load_dwordx2 v[7:8], v7, s[30:31]
.LBB175_14:
	s_or_b64 exec, exec, s[4:5]
	v_or_b32_e32 v19, 0x300, v0
	v_cmp_gt_u32_e64 s[4:5], s33, v19
	s_and_saveexec_b64 s[6:7], s[4:5]
	s_cbranch_execz .LBB175_16
; %bb.15:
	v_lshlrev_b32_e32 v5, 3, v19
	global_load_dwordx2 v[5:6], v5, s[30:31]
.LBB175_16:
	;; [unrolled: 9-line block ×6, first 2 shown]
	s_or_b64 exec, exec, s[34:35]
	s_waitcnt vmcnt(0)
	v_mul_f64 v[3:4], v[11:12], v[3:4]
	v_cndmask_b32_e32 v4, v12, v4, vcc
	v_cndmask_b32_e32 v3, v11, v3, vcc
	v_mul_f64 v[1:2], v[1:2], v[3:4]
	v_cndmask_b32_e64 v2, v4, v2, s[0:1]
	v_cndmask_b32_e64 v1, v3, v1, s[0:1]
	v_mul_f64 v[3:4], v[7:8], v[1:2]
	v_cndmask_b32_e64 v2, v2, v4, s[2:3]
	v_cndmask_b32_e64 v1, v1, v3, s[2:3]
	;; [unrolled: 3-line block ×7, first 2 shown]
	s_nop 0
	v_mov_b32_dpp v4, v2 quad_perm:[1,0,3,2] row_mask:0xf bank_mask:0xf bound_ctrl:1
	v_mov_b32_dpp v3, v1 quad_perm:[1,0,3,2] row_mask:0xf bank_mask:0xf bound_ctrl:1
	v_mul_f64 v[1:2], v[1:2], v[3:4]
	s_nop 1
	v_mov_b32_dpp v3, v1 quad_perm:[2,3,0,1] row_mask:0xf bank_mask:0xf bound_ctrl:1
	v_mov_b32_dpp v4, v2 quad_perm:[2,3,0,1] row_mask:0xf bank_mask:0xf bound_ctrl:1
	v_mul_f64 v[1:2], v[1:2], v[3:4]
	s_nop 1
	v_mov_b32_dpp v3, v1 row_ror:4 row_mask:0xf bank_mask:0xf bound_ctrl:1
	v_mov_b32_dpp v4, v2 row_ror:4 row_mask:0xf bank_mask:0xf bound_ctrl:1
	v_mul_f64 v[1:2], v[1:2], v[3:4]
	s_nop 1
	v_mov_b32_dpp v3, v1 row_ror:8 row_mask:0xf bank_mask:0xf bound_ctrl:1
	v_mov_b32_dpp v4, v2 row_ror:8 row_mask:0xf bank_mask:0xf bound_ctrl:1
	v_mul_f64 v[1:2], v[1:2], v[3:4]
	s_nop 1
	v_mov_b32_dpp v3, v1 row_bcast:15 row_mask:0xf bank_mask:0xf bound_ctrl:1
	v_mov_b32_dpp v4, v2 row_bcast:15 row_mask:0xf bank_mask:0xf bound_ctrl:1
	v_mul_f64 v[1:2], v[1:2], v[3:4]
	s_nop 1
	v_mov_b32_dpp v3, v1 row_bcast:31 row_mask:0xf bank_mask:0xf bound_ctrl:1
	v_mov_b32_dpp v4, v2 row_bcast:31 row_mask:0xf bank_mask:0xf bound_ctrl:1
	v_mul_f64 v[3:4], v[1:2], v[3:4]
	v_mbcnt_lo_u32_b32 v1, -1, 0
	v_mbcnt_hi_u32_b32 v2, -1, v1
	v_lshlrev_b32_e32 v1, 2, v2
	v_or_b32_e32 v5, 0xfc, v1
	v_cmp_eq_u32_e32 vcc, 0, v2
	ds_bpermute_b32 v3, v5, v3
	ds_bpermute_b32 v4, v5, v4
	s_and_saveexec_b64 s[0:1], vcc
	s_cbranch_execz .LBB175_26
; %bb.25:
	v_lshrrev_b32_e32 v5, 3, v0
	v_and_b32_e32 v5, 24, v5
	s_waitcnt lgkmcnt(0)
	ds_write_b64 v5, v[3:4]
.LBB175_26:
	s_or_b64 exec, exec, s[0:1]
	v_cmp_gt_u32_e32 vcc, 64, v0
	s_waitcnt lgkmcnt(0)
	s_barrier
	s_and_saveexec_b64 s[0:1], vcc
	s_cbranch_execz .LBB175_28
; %bb.27:
	v_and_b32_e32 v5, 3, v2
	v_lshlrev_b32_e32 v3, 3, v5
	ds_read_b64 v[3:4], v3
	v_cmp_ne_u32_e32 vcc, 3, v5
	v_addc_co_u32_e32 v2, vcc, 0, v2, vcc
	v_lshlrev_b32_e32 v2, 2, v2
	s_waitcnt lgkmcnt(0)
	ds_bpermute_b32 v5, v2, v3
	ds_bpermute_b32 v6, v2, v4
	v_or_b32_e32 v1, 8, v1
	s_waitcnt lgkmcnt(0)
	v_mul_f64 v[2:3], v[3:4], v[5:6]
	ds_bpermute_b32 v4, v1, v2
	ds_bpermute_b32 v5, v1, v3
	s_waitcnt lgkmcnt(0)
	v_mul_f64 v[3:4], v[2:3], v[4:5]
.LBB175_28:
	s_or_b64 exec, exec, s[0:1]
	s_branch .LBB175_60
.LBB175_29:
                                        ; implicit-def: $vgpr3_vgpr4
	s_cbranch_execz .LBB175_60
; %bb.30:
	s_sub_i32 s8, s26, s28
	v_cmp_gt_u32_e32 vcc, s8, v0
                                        ; implicit-def: $vgpr1_vgpr2
	s_and_saveexec_b64 s[2:3], vcc
	s_cbranch_execz .LBB175_36
; %bb.31:
	v_mov_b32_e32 v1, s29
	v_add_co_u32_e32 v8, vcc, s28, v0
	v_addc_co_u32_e32 v9, vcc, 0, v1, vcc
	v_lshlrev_b64 v[4:5], 3, v[8:9]
	v_mov_b32_e32 v1, s17
	v_add_co_u32_e64 v6, s[0:1], s16, v4
	v_addc_co_u32_e64 v7, vcc, v1, v5, s[0:1]
	global_load_dwordx2 v[1:2], v[6:7], off
	v_add_co_u32_e32 v3, vcc, 0x100, v8
	v_addc_co_u32_e32 v4, vcc, 0, v9, vcc
	v_cmp_gt_i64_e32 vcc, s[26:27], v[3:4]
	s_and_saveexec_b64 s[4:5], vcc
	s_cbranch_execz .LBB175_35
; %bb.32:
	v_mov_b32_e32 v7, s17
	v_addc_co_u32_e64 v7, vcc, v7, v5, s[0:1]
	v_add_co_u32_e32 v5, vcc, 0x800, v6
	v_addc_co_u32_e32 v6, vcc, 0, v7, vcc
	s_mov_b64 s[6:7], 0
.LBB175_33:                             ; =>This Inner Loop Header: Depth=1
	global_load_dwordx2 v[7:8], v[5:6], off
	v_add_co_u32_e32 v3, vcc, 0x100, v3
	v_addc_co_u32_e32 v4, vcc, 0, v4, vcc
	v_cmp_le_i64_e64 s[0:1], s[26:27], v[3:4]
	v_add_co_u32_e32 v5, vcc, 0x800, v5
	s_or_b64 s[6:7], s[0:1], s[6:7]
	v_addc_co_u32_e32 v6, vcc, 0, v6, vcc
	s_waitcnt vmcnt(0)
	v_mul_f64 v[1:2], v[1:2], v[7:8]
	s_andn2_b64 exec, exec, s[6:7]
	s_cbranch_execnz .LBB175_33
; %bb.34:
	s_or_b64 exec, exec, s[6:7]
.LBB175_35:
	s_or_b64 exec, exec, s[4:5]
.LBB175_36:
	s_or_b64 exec, exec, s[2:3]
	s_cmpk_lt_u32 s8, 0x100
	v_mbcnt_lo_u32_b32 v7, -1, 0
	s_cbranch_scc0 .LBB175_54
; %bb.37:
	v_mbcnt_hi_u32_b32 v8, -1, v7
	v_and_b32_e32 v10, 63, v8
	v_cmp_ne_u32_e32 vcc, 63, v10
	v_addc_co_u32_e32 v4, vcc, 0, v8, vcc
	v_lshlrev_b32_e32 v4, 2, v4
	s_waitcnt vmcnt(0)
	ds_bpermute_b32 v5, v4, v1
	ds_bpermute_b32 v6, v4, v2
	v_and_b32_e32 v3, 0xc0, v0
	v_sub_u32_e64 v9, s8, v3 clamp
	v_add_u32_e32 v3, 1, v10
	v_cmp_lt_u32_e32 vcc, v3, v9
	v_mov_b32_e32 v4, v2
	v_mov_b32_e32 v3, v1
	;; [unrolled: 1-line block ×4, first 2 shown]
	s_and_saveexec_b64 s[0:1], vcc
	s_cbranch_execz .LBB175_39
; %bb.38:
	s_waitcnt lgkmcnt(0)
	v_mul_f64 v[3:4], v[1:2], v[5:6]
	v_mov_b32_e32 v11, v4
	v_mov_b32_e32 v12, v3
.LBB175_39:
	s_or_b64 exec, exec, s[0:1]
	v_cmp_gt_u32_e32 vcc, 62, v10
	s_waitcnt lgkmcnt(1)
	v_cndmask_b32_e64 v5, 0, 2, vcc
	s_waitcnt lgkmcnt(0)
	v_add_lshl_u32 v6, v5, v8, 2
	ds_bpermute_b32 v5, v6, v12
	ds_bpermute_b32 v6, v6, v11
	v_add_u32_e32 v13, 2, v10
	v_cmp_lt_u32_e32 vcc, v13, v9
	s_and_saveexec_b64 s[0:1], vcc
	s_cbranch_execz .LBB175_41
; %bb.40:
	s_waitcnt lgkmcnt(0)
	v_mul_f64 v[3:4], v[3:4], v[5:6]
	v_mov_b32_e32 v11, v4
	v_mov_b32_e32 v12, v3
.LBB175_41:
	s_or_b64 exec, exec, s[0:1]
	v_cmp_gt_u32_e32 vcc, 60, v10
	s_waitcnt lgkmcnt(1)
	v_cndmask_b32_e64 v5, 0, 4, vcc
	s_waitcnt lgkmcnt(0)
	v_add_lshl_u32 v6, v5, v8, 2
	ds_bpermute_b32 v5, v6, v12
	ds_bpermute_b32 v6, v6, v11
	v_add_u32_e32 v13, 4, v10
	v_cmp_lt_u32_e32 vcc, v13, v9
	;; [unrolled: 18-line block ×4, first 2 shown]
	s_and_saveexec_b64 s[0:1], vcc
	s_cbranch_execz .LBB175_47
; %bb.46:
	s_waitcnt lgkmcnt(0)
	v_mul_f64 v[3:4], v[3:4], v[5:6]
	v_mov_b32_e32 v11, v4
	v_mov_b32_e32 v12, v3
.LBB175_47:
	s_or_b64 exec, exec, s[0:1]
	v_lshlrev_b32_e32 v13, 2, v8
	s_waitcnt lgkmcnt(0)
	v_or_b32_e32 v6, 0x80, v13
	ds_bpermute_b32 v5, v6, v12
	ds_bpermute_b32 v6, v6, v11
	v_add_u32_e32 v10, 32, v10
	v_cmp_lt_u32_e32 vcc, v10, v9
	s_waitcnt lgkmcnt(0)
	v_mul_f64 v[5:6], v[3:4], v[5:6]
	v_cndmask_b32_e32 v4, v4, v6, vcc
	v_cndmask_b32_e32 v3, v3, v5, vcc
	v_cmp_eq_u32_e32 vcc, 0, v8
	s_and_saveexec_b64 s[0:1], vcc
; %bb.48:
	v_lshrrev_b32_e32 v5, 3, v0
	v_and_b32_e32 v5, 24, v5
	ds_write_b64 v5, v[3:4]
; %bb.49:
	s_or_b64 exec, exec, s[0:1]
	v_cmp_gt_u32_e32 vcc, 4, v0
	s_waitcnt lgkmcnt(0)
	s_barrier
	s_and_saveexec_b64 s[0:1], vcc
	s_cbranch_execz .LBB175_53
; %bb.50:
	v_lshlrev_b32_e32 v3, 3, v8
	ds_read_b64 v[3:4], v3
	v_and_b32_e32 v9, 3, v8
	v_cmp_ne_u32_e32 vcc, 3, v9
	v_addc_co_u32_e32 v5, vcc, 0, v8, vcc
	v_lshlrev_b32_e32 v6, 2, v5
	s_waitcnt lgkmcnt(0)
	ds_bpermute_b32 v5, v6, v3
	ds_bpermute_b32 v6, v6, v4
	s_add_i32 s8, s8, 63
	s_lshr_b32 s4, s8, 6
	v_add_u32_e32 v8, 1, v9
	v_cmp_gt_u32_e32 vcc, s4, v8
	s_and_saveexec_b64 s[2:3], vcc
	s_cbranch_execz .LBB175_52
; %bb.51:
	s_waitcnt lgkmcnt(0)
	v_mul_f64 v[3:4], v[3:4], v[5:6]
.LBB175_52:
	s_or_b64 exec, exec, s[2:3]
	s_waitcnt lgkmcnt(0)
	v_or_b32_e32 v6, 8, v13
	ds_bpermute_b32 v5, v6, v3
	ds_bpermute_b32 v6, v6, v4
	v_add_u32_e32 v8, 2, v9
	v_cmp_gt_u32_e32 vcc, s4, v8
	s_waitcnt lgkmcnt(0)
	v_mul_f64 v[5:6], v[3:4], v[5:6]
	v_cndmask_b32_e32 v4, v4, v6, vcc
	v_cndmask_b32_e32 v3, v3, v5, vcc
.LBB175_53:
	s_or_b64 exec, exec, s[0:1]
	s_branch .LBB175_60
.LBB175_54:
                                        ; implicit-def: $vgpr3_vgpr4
	s_cbranch_execz .LBB175_60
; %bb.55:
	s_waitcnt vmcnt(0)
	v_mov_b32_dpp v3, v1 quad_perm:[1,0,3,2] row_mask:0xf bank_mask:0xf bound_ctrl:1
	v_mov_b32_dpp v4, v2 quad_perm:[1,0,3,2] row_mask:0xf bank_mask:0xf bound_ctrl:1
	v_mul_f64 v[1:2], v[1:2], v[3:4]
	s_nop 1
	v_mov_b32_dpp v3, v1 quad_perm:[2,3,0,1] row_mask:0xf bank_mask:0xf bound_ctrl:1
	v_mov_b32_dpp v4, v2 quad_perm:[2,3,0,1] row_mask:0xf bank_mask:0xf bound_ctrl:1
	v_mul_f64 v[1:2], v[1:2], v[3:4]
	s_nop 1
	v_mov_b32_dpp v3, v1 row_ror:4 row_mask:0xf bank_mask:0xf bound_ctrl:1
	v_mov_b32_dpp v4, v2 row_ror:4 row_mask:0xf bank_mask:0xf bound_ctrl:1
	v_mul_f64 v[1:2], v[1:2], v[3:4]
	s_nop 1
	v_mov_b32_dpp v3, v1 row_ror:8 row_mask:0xf bank_mask:0xf bound_ctrl:1
	v_mov_b32_dpp v4, v2 row_ror:8 row_mask:0xf bank_mask:0xf bound_ctrl:1
	v_mul_f64 v[1:2], v[1:2], v[3:4]
	s_nop 1
	v_mov_b32_dpp v3, v1 row_bcast:15 row_mask:0xf bank_mask:0xf bound_ctrl:1
	v_mov_b32_dpp v4, v2 row_bcast:15 row_mask:0xf bank_mask:0xf bound_ctrl:1
	v_mul_f64 v[1:2], v[1:2], v[3:4]
	s_nop 1
	v_mov_b32_dpp v3, v1 row_bcast:31 row_mask:0xf bank_mask:0xf bound_ctrl:1
	v_mov_b32_dpp v4, v2 row_bcast:31 row_mask:0xf bank_mask:0xf bound_ctrl:1
	v_mul_f64 v[3:4], v[1:2], v[3:4]
	v_mbcnt_hi_u32_b32 v2, -1, v7
	v_lshlrev_b32_e32 v1, 2, v2
	v_or_b32_e32 v5, 0xfc, v1
	v_cmp_eq_u32_e32 vcc, 0, v2
	ds_bpermute_b32 v3, v5, v3
	ds_bpermute_b32 v4, v5, v4
	s_and_saveexec_b64 s[0:1], vcc
	s_cbranch_execz .LBB175_57
; %bb.56:
	v_lshrrev_b32_e32 v5, 3, v0
	v_and_b32_e32 v5, 24, v5
	s_waitcnt lgkmcnt(0)
	ds_write_b64 v5, v[3:4]
.LBB175_57:
	s_or_b64 exec, exec, s[0:1]
	v_cmp_gt_u32_e32 vcc, 64, v0
	s_waitcnt lgkmcnt(0)
	s_barrier
	s_and_saveexec_b64 s[0:1], vcc
	s_cbranch_execz .LBB175_59
; %bb.58:
	v_and_b32_e32 v5, 3, v2
	v_lshlrev_b32_e32 v3, 3, v5
	ds_read_b64 v[3:4], v3
	v_cmp_ne_u32_e32 vcc, 3, v5
	v_addc_co_u32_e32 v2, vcc, 0, v2, vcc
	v_lshlrev_b32_e32 v2, 2, v2
	s_waitcnt lgkmcnt(0)
	ds_bpermute_b32 v5, v2, v3
	ds_bpermute_b32 v6, v2, v4
	v_or_b32_e32 v1, 8, v1
	s_waitcnt lgkmcnt(0)
	v_mul_f64 v[2:3], v[3:4], v[5:6]
	ds_bpermute_b32 v4, v1, v2
	ds_bpermute_b32 v5, v1, v3
	s_waitcnt lgkmcnt(0)
	v_mul_f64 v[3:4], v[2:3], v[4:5]
.LBB175_59:
	s_or_b64 exec, exec, s[0:1]
.LBB175_60:
	v_cmp_eq_u32_e32 vcc, 0, v0
                                        ; implicit-def: $vgpr1_vgpr2
	s_and_saveexec_b64 s[0:1], vcc
	s_cbranch_execz .LBB175_62
; %bb.61:
	s_waitcnt vmcnt(0)
	v_mul_f64 v[1:2], s[24:25], v[3:4]
	s_or_b64 s[22:23], s[22:23], exec
.LBB175_62:
	s_or_b64 exec, exec, s[0:1]
	s_and_saveexec_b64 s[0:1], s[22:23]
	s_cbranch_execz .LBB175_64
.LBB175_63:
	s_add_u32 s0, s18, s14
	s_addc_u32 s1, s19, s15
	s_add_u32 s0, s0, s20
	s_addc_u32 s1, s1, s21
	v_mov_b32_e32 v0, 0
	s_waitcnt vmcnt(0)
	global_store_dwordx2 v0, v[1:2], s[0:1]
.LBB175_64:
	s_endpgm
	.section	.rodata,"a",@progbits
	.p2align	6, 0x0
	.amdhsa_kernel _ZN7rocprim17ROCPRIM_400000_NS6detail17trampoline_kernelINS0_14default_configENS1_32segmented_reduce_config_selectorIdEEZNS1_21segmented_reduce_implIS3_PKdPdPKldN6hipcub16HIPCUB_304000_NS6detail27convert_result_type_wrapperIS8_S9_N2at6native12_GLOBAL__N_110CustomProdEEEEE10hipError_tPvRmT0_T1_jT2_SQ_T4_T3_P12ihipStream_tbEUlT_E_NS1_11comp_targetILNS1_3genE2ELNS1_11target_archE906ELNS1_3gpuE6ELNS1_3repE0EEENS1_30default_config_static_selectorELNS0_4arch9wavefront6targetE1EEEvSP_
		.amdhsa_group_segment_fixed_size 32
		.amdhsa_private_segment_fixed_size 0
		.amdhsa_kernarg_size 56
		.amdhsa_user_sgpr_count 6
		.amdhsa_user_sgpr_private_segment_buffer 1
		.amdhsa_user_sgpr_dispatch_ptr 0
		.amdhsa_user_sgpr_queue_ptr 0
		.amdhsa_user_sgpr_kernarg_segment_ptr 1
		.amdhsa_user_sgpr_dispatch_id 0
		.amdhsa_user_sgpr_flat_scratch_init 0
		.amdhsa_user_sgpr_private_segment_size 0
		.amdhsa_uses_dynamic_stack 0
		.amdhsa_system_sgpr_private_segment_wavefront_offset 0
		.amdhsa_system_sgpr_workgroup_id_x 1
		.amdhsa_system_sgpr_workgroup_id_y 0
		.amdhsa_system_sgpr_workgroup_id_z 0
		.amdhsa_system_sgpr_workgroup_info 0
		.amdhsa_system_vgpr_workitem_id 0
		.amdhsa_next_free_vgpr 24
		.amdhsa_next_free_sgpr 36
		.amdhsa_reserve_vcc 1
		.amdhsa_reserve_flat_scratch 0
		.amdhsa_float_round_mode_32 0
		.amdhsa_float_round_mode_16_64 0
		.amdhsa_float_denorm_mode_32 3
		.amdhsa_float_denorm_mode_16_64 3
		.amdhsa_dx10_clamp 1
		.amdhsa_ieee_mode 1
		.amdhsa_fp16_overflow 0
		.amdhsa_exception_fp_ieee_invalid_op 0
		.amdhsa_exception_fp_denorm_src 0
		.amdhsa_exception_fp_ieee_div_zero 0
		.amdhsa_exception_fp_ieee_overflow 0
		.amdhsa_exception_fp_ieee_underflow 0
		.amdhsa_exception_fp_ieee_inexact 0
		.amdhsa_exception_int_div_zero 0
	.end_amdhsa_kernel
	.section	.text._ZN7rocprim17ROCPRIM_400000_NS6detail17trampoline_kernelINS0_14default_configENS1_32segmented_reduce_config_selectorIdEEZNS1_21segmented_reduce_implIS3_PKdPdPKldN6hipcub16HIPCUB_304000_NS6detail27convert_result_type_wrapperIS8_S9_N2at6native12_GLOBAL__N_110CustomProdEEEEE10hipError_tPvRmT0_T1_jT2_SQ_T4_T3_P12ihipStream_tbEUlT_E_NS1_11comp_targetILNS1_3genE2ELNS1_11target_archE906ELNS1_3gpuE6ELNS1_3repE0EEENS1_30default_config_static_selectorELNS0_4arch9wavefront6targetE1EEEvSP_,"axG",@progbits,_ZN7rocprim17ROCPRIM_400000_NS6detail17trampoline_kernelINS0_14default_configENS1_32segmented_reduce_config_selectorIdEEZNS1_21segmented_reduce_implIS3_PKdPdPKldN6hipcub16HIPCUB_304000_NS6detail27convert_result_type_wrapperIS8_S9_N2at6native12_GLOBAL__N_110CustomProdEEEEE10hipError_tPvRmT0_T1_jT2_SQ_T4_T3_P12ihipStream_tbEUlT_E_NS1_11comp_targetILNS1_3genE2ELNS1_11target_archE906ELNS1_3gpuE6ELNS1_3repE0EEENS1_30default_config_static_selectorELNS0_4arch9wavefront6targetE1EEEvSP_,comdat
.Lfunc_end175:
	.size	_ZN7rocprim17ROCPRIM_400000_NS6detail17trampoline_kernelINS0_14default_configENS1_32segmented_reduce_config_selectorIdEEZNS1_21segmented_reduce_implIS3_PKdPdPKldN6hipcub16HIPCUB_304000_NS6detail27convert_result_type_wrapperIS8_S9_N2at6native12_GLOBAL__N_110CustomProdEEEEE10hipError_tPvRmT0_T1_jT2_SQ_T4_T3_P12ihipStream_tbEUlT_E_NS1_11comp_targetILNS1_3genE2ELNS1_11target_archE906ELNS1_3gpuE6ELNS1_3repE0EEENS1_30default_config_static_selectorELNS0_4arch9wavefront6targetE1EEEvSP_, .Lfunc_end175-_ZN7rocprim17ROCPRIM_400000_NS6detail17trampoline_kernelINS0_14default_configENS1_32segmented_reduce_config_selectorIdEEZNS1_21segmented_reduce_implIS3_PKdPdPKldN6hipcub16HIPCUB_304000_NS6detail27convert_result_type_wrapperIS8_S9_N2at6native12_GLOBAL__N_110CustomProdEEEEE10hipError_tPvRmT0_T1_jT2_SQ_T4_T3_P12ihipStream_tbEUlT_E_NS1_11comp_targetILNS1_3genE2ELNS1_11target_archE906ELNS1_3gpuE6ELNS1_3repE0EEENS1_30default_config_static_selectorELNS0_4arch9wavefront6targetE1EEEvSP_
                                        ; -- End function
	.set _ZN7rocprim17ROCPRIM_400000_NS6detail17trampoline_kernelINS0_14default_configENS1_32segmented_reduce_config_selectorIdEEZNS1_21segmented_reduce_implIS3_PKdPdPKldN6hipcub16HIPCUB_304000_NS6detail27convert_result_type_wrapperIS8_S9_N2at6native12_GLOBAL__N_110CustomProdEEEEE10hipError_tPvRmT0_T1_jT2_SQ_T4_T3_P12ihipStream_tbEUlT_E_NS1_11comp_targetILNS1_3genE2ELNS1_11target_archE906ELNS1_3gpuE6ELNS1_3repE0EEENS1_30default_config_static_selectorELNS0_4arch9wavefront6targetE1EEEvSP_.num_vgpr, 24
	.set _ZN7rocprim17ROCPRIM_400000_NS6detail17trampoline_kernelINS0_14default_configENS1_32segmented_reduce_config_selectorIdEEZNS1_21segmented_reduce_implIS3_PKdPdPKldN6hipcub16HIPCUB_304000_NS6detail27convert_result_type_wrapperIS8_S9_N2at6native12_GLOBAL__N_110CustomProdEEEEE10hipError_tPvRmT0_T1_jT2_SQ_T4_T3_P12ihipStream_tbEUlT_E_NS1_11comp_targetILNS1_3genE2ELNS1_11target_archE906ELNS1_3gpuE6ELNS1_3repE0EEENS1_30default_config_static_selectorELNS0_4arch9wavefront6targetE1EEEvSP_.num_agpr, 0
	.set _ZN7rocprim17ROCPRIM_400000_NS6detail17trampoline_kernelINS0_14default_configENS1_32segmented_reduce_config_selectorIdEEZNS1_21segmented_reduce_implIS3_PKdPdPKldN6hipcub16HIPCUB_304000_NS6detail27convert_result_type_wrapperIS8_S9_N2at6native12_GLOBAL__N_110CustomProdEEEEE10hipError_tPvRmT0_T1_jT2_SQ_T4_T3_P12ihipStream_tbEUlT_E_NS1_11comp_targetILNS1_3genE2ELNS1_11target_archE906ELNS1_3gpuE6ELNS1_3repE0EEENS1_30default_config_static_selectorELNS0_4arch9wavefront6targetE1EEEvSP_.numbered_sgpr, 36
	.set _ZN7rocprim17ROCPRIM_400000_NS6detail17trampoline_kernelINS0_14default_configENS1_32segmented_reduce_config_selectorIdEEZNS1_21segmented_reduce_implIS3_PKdPdPKldN6hipcub16HIPCUB_304000_NS6detail27convert_result_type_wrapperIS8_S9_N2at6native12_GLOBAL__N_110CustomProdEEEEE10hipError_tPvRmT0_T1_jT2_SQ_T4_T3_P12ihipStream_tbEUlT_E_NS1_11comp_targetILNS1_3genE2ELNS1_11target_archE906ELNS1_3gpuE6ELNS1_3repE0EEENS1_30default_config_static_selectorELNS0_4arch9wavefront6targetE1EEEvSP_.num_named_barrier, 0
	.set _ZN7rocprim17ROCPRIM_400000_NS6detail17trampoline_kernelINS0_14default_configENS1_32segmented_reduce_config_selectorIdEEZNS1_21segmented_reduce_implIS3_PKdPdPKldN6hipcub16HIPCUB_304000_NS6detail27convert_result_type_wrapperIS8_S9_N2at6native12_GLOBAL__N_110CustomProdEEEEE10hipError_tPvRmT0_T1_jT2_SQ_T4_T3_P12ihipStream_tbEUlT_E_NS1_11comp_targetILNS1_3genE2ELNS1_11target_archE906ELNS1_3gpuE6ELNS1_3repE0EEENS1_30default_config_static_selectorELNS0_4arch9wavefront6targetE1EEEvSP_.private_seg_size, 0
	.set _ZN7rocprim17ROCPRIM_400000_NS6detail17trampoline_kernelINS0_14default_configENS1_32segmented_reduce_config_selectorIdEEZNS1_21segmented_reduce_implIS3_PKdPdPKldN6hipcub16HIPCUB_304000_NS6detail27convert_result_type_wrapperIS8_S9_N2at6native12_GLOBAL__N_110CustomProdEEEEE10hipError_tPvRmT0_T1_jT2_SQ_T4_T3_P12ihipStream_tbEUlT_E_NS1_11comp_targetILNS1_3genE2ELNS1_11target_archE906ELNS1_3gpuE6ELNS1_3repE0EEENS1_30default_config_static_selectorELNS0_4arch9wavefront6targetE1EEEvSP_.uses_vcc, 1
	.set _ZN7rocprim17ROCPRIM_400000_NS6detail17trampoline_kernelINS0_14default_configENS1_32segmented_reduce_config_selectorIdEEZNS1_21segmented_reduce_implIS3_PKdPdPKldN6hipcub16HIPCUB_304000_NS6detail27convert_result_type_wrapperIS8_S9_N2at6native12_GLOBAL__N_110CustomProdEEEEE10hipError_tPvRmT0_T1_jT2_SQ_T4_T3_P12ihipStream_tbEUlT_E_NS1_11comp_targetILNS1_3genE2ELNS1_11target_archE906ELNS1_3gpuE6ELNS1_3repE0EEENS1_30default_config_static_selectorELNS0_4arch9wavefront6targetE1EEEvSP_.uses_flat_scratch, 0
	.set _ZN7rocprim17ROCPRIM_400000_NS6detail17trampoline_kernelINS0_14default_configENS1_32segmented_reduce_config_selectorIdEEZNS1_21segmented_reduce_implIS3_PKdPdPKldN6hipcub16HIPCUB_304000_NS6detail27convert_result_type_wrapperIS8_S9_N2at6native12_GLOBAL__N_110CustomProdEEEEE10hipError_tPvRmT0_T1_jT2_SQ_T4_T3_P12ihipStream_tbEUlT_E_NS1_11comp_targetILNS1_3genE2ELNS1_11target_archE906ELNS1_3gpuE6ELNS1_3repE0EEENS1_30default_config_static_selectorELNS0_4arch9wavefront6targetE1EEEvSP_.has_dyn_sized_stack, 0
	.set _ZN7rocprim17ROCPRIM_400000_NS6detail17trampoline_kernelINS0_14default_configENS1_32segmented_reduce_config_selectorIdEEZNS1_21segmented_reduce_implIS3_PKdPdPKldN6hipcub16HIPCUB_304000_NS6detail27convert_result_type_wrapperIS8_S9_N2at6native12_GLOBAL__N_110CustomProdEEEEE10hipError_tPvRmT0_T1_jT2_SQ_T4_T3_P12ihipStream_tbEUlT_E_NS1_11comp_targetILNS1_3genE2ELNS1_11target_archE906ELNS1_3gpuE6ELNS1_3repE0EEENS1_30default_config_static_selectorELNS0_4arch9wavefront6targetE1EEEvSP_.has_recursion, 0
	.set _ZN7rocprim17ROCPRIM_400000_NS6detail17trampoline_kernelINS0_14default_configENS1_32segmented_reduce_config_selectorIdEEZNS1_21segmented_reduce_implIS3_PKdPdPKldN6hipcub16HIPCUB_304000_NS6detail27convert_result_type_wrapperIS8_S9_N2at6native12_GLOBAL__N_110CustomProdEEEEE10hipError_tPvRmT0_T1_jT2_SQ_T4_T3_P12ihipStream_tbEUlT_E_NS1_11comp_targetILNS1_3genE2ELNS1_11target_archE906ELNS1_3gpuE6ELNS1_3repE0EEENS1_30default_config_static_selectorELNS0_4arch9wavefront6targetE1EEEvSP_.has_indirect_call, 0
	.section	.AMDGPU.csdata,"",@progbits
; Kernel info:
; codeLenInByte = 2940
; TotalNumSgprs: 40
; NumVgprs: 24
; ScratchSize: 0
; MemoryBound: 1
; FloatMode: 240
; IeeeMode: 1
; LDSByteSize: 32 bytes/workgroup (compile time only)
; SGPRBlocks: 4
; VGPRBlocks: 5
; NumSGPRsForWavesPerEU: 40
; NumVGPRsForWavesPerEU: 24
; Occupancy: 10
; WaveLimiterHint : 1
; COMPUTE_PGM_RSRC2:SCRATCH_EN: 0
; COMPUTE_PGM_RSRC2:USER_SGPR: 6
; COMPUTE_PGM_RSRC2:TRAP_HANDLER: 0
; COMPUTE_PGM_RSRC2:TGID_X_EN: 1
; COMPUTE_PGM_RSRC2:TGID_Y_EN: 0
; COMPUTE_PGM_RSRC2:TGID_Z_EN: 0
; COMPUTE_PGM_RSRC2:TIDIG_COMP_CNT: 0
	.section	.text._ZN7rocprim17ROCPRIM_400000_NS6detail17trampoline_kernelINS0_14default_configENS1_32segmented_reduce_config_selectorIdEEZNS1_21segmented_reduce_implIS3_PKdPdPKldN6hipcub16HIPCUB_304000_NS6detail27convert_result_type_wrapperIS8_S9_N2at6native12_GLOBAL__N_110CustomProdEEEEE10hipError_tPvRmT0_T1_jT2_SQ_T4_T3_P12ihipStream_tbEUlT_E_NS1_11comp_targetILNS1_3genE9ELNS1_11target_archE1100ELNS1_3gpuE3ELNS1_3repE0EEENS1_30default_config_static_selectorELNS0_4arch9wavefront6targetE1EEEvSP_,"axG",@progbits,_ZN7rocprim17ROCPRIM_400000_NS6detail17trampoline_kernelINS0_14default_configENS1_32segmented_reduce_config_selectorIdEEZNS1_21segmented_reduce_implIS3_PKdPdPKldN6hipcub16HIPCUB_304000_NS6detail27convert_result_type_wrapperIS8_S9_N2at6native12_GLOBAL__N_110CustomProdEEEEE10hipError_tPvRmT0_T1_jT2_SQ_T4_T3_P12ihipStream_tbEUlT_E_NS1_11comp_targetILNS1_3genE9ELNS1_11target_archE1100ELNS1_3gpuE3ELNS1_3repE0EEENS1_30default_config_static_selectorELNS0_4arch9wavefront6targetE1EEEvSP_,comdat
	.globl	_ZN7rocprim17ROCPRIM_400000_NS6detail17trampoline_kernelINS0_14default_configENS1_32segmented_reduce_config_selectorIdEEZNS1_21segmented_reduce_implIS3_PKdPdPKldN6hipcub16HIPCUB_304000_NS6detail27convert_result_type_wrapperIS8_S9_N2at6native12_GLOBAL__N_110CustomProdEEEEE10hipError_tPvRmT0_T1_jT2_SQ_T4_T3_P12ihipStream_tbEUlT_E_NS1_11comp_targetILNS1_3genE9ELNS1_11target_archE1100ELNS1_3gpuE3ELNS1_3repE0EEENS1_30default_config_static_selectorELNS0_4arch9wavefront6targetE1EEEvSP_ ; -- Begin function _ZN7rocprim17ROCPRIM_400000_NS6detail17trampoline_kernelINS0_14default_configENS1_32segmented_reduce_config_selectorIdEEZNS1_21segmented_reduce_implIS3_PKdPdPKldN6hipcub16HIPCUB_304000_NS6detail27convert_result_type_wrapperIS8_S9_N2at6native12_GLOBAL__N_110CustomProdEEEEE10hipError_tPvRmT0_T1_jT2_SQ_T4_T3_P12ihipStream_tbEUlT_E_NS1_11comp_targetILNS1_3genE9ELNS1_11target_archE1100ELNS1_3gpuE3ELNS1_3repE0EEENS1_30default_config_static_selectorELNS0_4arch9wavefront6targetE1EEEvSP_
	.p2align	8
	.type	_ZN7rocprim17ROCPRIM_400000_NS6detail17trampoline_kernelINS0_14default_configENS1_32segmented_reduce_config_selectorIdEEZNS1_21segmented_reduce_implIS3_PKdPdPKldN6hipcub16HIPCUB_304000_NS6detail27convert_result_type_wrapperIS8_S9_N2at6native12_GLOBAL__N_110CustomProdEEEEE10hipError_tPvRmT0_T1_jT2_SQ_T4_T3_P12ihipStream_tbEUlT_E_NS1_11comp_targetILNS1_3genE9ELNS1_11target_archE1100ELNS1_3gpuE3ELNS1_3repE0EEENS1_30default_config_static_selectorELNS0_4arch9wavefront6targetE1EEEvSP_,@function
_ZN7rocprim17ROCPRIM_400000_NS6detail17trampoline_kernelINS0_14default_configENS1_32segmented_reduce_config_selectorIdEEZNS1_21segmented_reduce_implIS3_PKdPdPKldN6hipcub16HIPCUB_304000_NS6detail27convert_result_type_wrapperIS8_S9_N2at6native12_GLOBAL__N_110CustomProdEEEEE10hipError_tPvRmT0_T1_jT2_SQ_T4_T3_P12ihipStream_tbEUlT_E_NS1_11comp_targetILNS1_3genE9ELNS1_11target_archE1100ELNS1_3gpuE3ELNS1_3repE0EEENS1_30default_config_static_selectorELNS0_4arch9wavefront6targetE1EEEvSP_: ; @_ZN7rocprim17ROCPRIM_400000_NS6detail17trampoline_kernelINS0_14default_configENS1_32segmented_reduce_config_selectorIdEEZNS1_21segmented_reduce_implIS3_PKdPdPKldN6hipcub16HIPCUB_304000_NS6detail27convert_result_type_wrapperIS8_S9_N2at6native12_GLOBAL__N_110CustomProdEEEEE10hipError_tPvRmT0_T1_jT2_SQ_T4_T3_P12ihipStream_tbEUlT_E_NS1_11comp_targetILNS1_3genE9ELNS1_11target_archE1100ELNS1_3gpuE3ELNS1_3repE0EEENS1_30default_config_static_selectorELNS0_4arch9wavefront6targetE1EEEvSP_
; %bb.0:
	.section	.rodata,"a",@progbits
	.p2align	6, 0x0
	.amdhsa_kernel _ZN7rocprim17ROCPRIM_400000_NS6detail17trampoline_kernelINS0_14default_configENS1_32segmented_reduce_config_selectorIdEEZNS1_21segmented_reduce_implIS3_PKdPdPKldN6hipcub16HIPCUB_304000_NS6detail27convert_result_type_wrapperIS8_S9_N2at6native12_GLOBAL__N_110CustomProdEEEEE10hipError_tPvRmT0_T1_jT2_SQ_T4_T3_P12ihipStream_tbEUlT_E_NS1_11comp_targetILNS1_3genE9ELNS1_11target_archE1100ELNS1_3gpuE3ELNS1_3repE0EEENS1_30default_config_static_selectorELNS0_4arch9wavefront6targetE1EEEvSP_
		.amdhsa_group_segment_fixed_size 0
		.amdhsa_private_segment_fixed_size 0
		.amdhsa_kernarg_size 56
		.amdhsa_user_sgpr_count 6
		.amdhsa_user_sgpr_private_segment_buffer 1
		.amdhsa_user_sgpr_dispatch_ptr 0
		.amdhsa_user_sgpr_queue_ptr 0
		.amdhsa_user_sgpr_kernarg_segment_ptr 1
		.amdhsa_user_sgpr_dispatch_id 0
		.amdhsa_user_sgpr_flat_scratch_init 0
		.amdhsa_user_sgpr_private_segment_size 0
		.amdhsa_uses_dynamic_stack 0
		.amdhsa_system_sgpr_private_segment_wavefront_offset 0
		.amdhsa_system_sgpr_workgroup_id_x 1
		.amdhsa_system_sgpr_workgroup_id_y 0
		.amdhsa_system_sgpr_workgroup_id_z 0
		.amdhsa_system_sgpr_workgroup_info 0
		.amdhsa_system_vgpr_workitem_id 0
		.amdhsa_next_free_vgpr 1
		.amdhsa_next_free_sgpr 0
		.amdhsa_reserve_vcc 0
		.amdhsa_reserve_flat_scratch 0
		.amdhsa_float_round_mode_32 0
		.amdhsa_float_round_mode_16_64 0
		.amdhsa_float_denorm_mode_32 3
		.amdhsa_float_denorm_mode_16_64 3
		.amdhsa_dx10_clamp 1
		.amdhsa_ieee_mode 1
		.amdhsa_fp16_overflow 0
		.amdhsa_exception_fp_ieee_invalid_op 0
		.amdhsa_exception_fp_denorm_src 0
		.amdhsa_exception_fp_ieee_div_zero 0
		.amdhsa_exception_fp_ieee_overflow 0
		.amdhsa_exception_fp_ieee_underflow 0
		.amdhsa_exception_fp_ieee_inexact 0
		.amdhsa_exception_int_div_zero 0
	.end_amdhsa_kernel
	.section	.text._ZN7rocprim17ROCPRIM_400000_NS6detail17trampoline_kernelINS0_14default_configENS1_32segmented_reduce_config_selectorIdEEZNS1_21segmented_reduce_implIS3_PKdPdPKldN6hipcub16HIPCUB_304000_NS6detail27convert_result_type_wrapperIS8_S9_N2at6native12_GLOBAL__N_110CustomProdEEEEE10hipError_tPvRmT0_T1_jT2_SQ_T4_T3_P12ihipStream_tbEUlT_E_NS1_11comp_targetILNS1_3genE9ELNS1_11target_archE1100ELNS1_3gpuE3ELNS1_3repE0EEENS1_30default_config_static_selectorELNS0_4arch9wavefront6targetE1EEEvSP_,"axG",@progbits,_ZN7rocprim17ROCPRIM_400000_NS6detail17trampoline_kernelINS0_14default_configENS1_32segmented_reduce_config_selectorIdEEZNS1_21segmented_reduce_implIS3_PKdPdPKldN6hipcub16HIPCUB_304000_NS6detail27convert_result_type_wrapperIS8_S9_N2at6native12_GLOBAL__N_110CustomProdEEEEE10hipError_tPvRmT0_T1_jT2_SQ_T4_T3_P12ihipStream_tbEUlT_E_NS1_11comp_targetILNS1_3genE9ELNS1_11target_archE1100ELNS1_3gpuE3ELNS1_3repE0EEENS1_30default_config_static_selectorELNS0_4arch9wavefront6targetE1EEEvSP_,comdat
.Lfunc_end176:
	.size	_ZN7rocprim17ROCPRIM_400000_NS6detail17trampoline_kernelINS0_14default_configENS1_32segmented_reduce_config_selectorIdEEZNS1_21segmented_reduce_implIS3_PKdPdPKldN6hipcub16HIPCUB_304000_NS6detail27convert_result_type_wrapperIS8_S9_N2at6native12_GLOBAL__N_110CustomProdEEEEE10hipError_tPvRmT0_T1_jT2_SQ_T4_T3_P12ihipStream_tbEUlT_E_NS1_11comp_targetILNS1_3genE9ELNS1_11target_archE1100ELNS1_3gpuE3ELNS1_3repE0EEENS1_30default_config_static_selectorELNS0_4arch9wavefront6targetE1EEEvSP_, .Lfunc_end176-_ZN7rocprim17ROCPRIM_400000_NS6detail17trampoline_kernelINS0_14default_configENS1_32segmented_reduce_config_selectorIdEEZNS1_21segmented_reduce_implIS3_PKdPdPKldN6hipcub16HIPCUB_304000_NS6detail27convert_result_type_wrapperIS8_S9_N2at6native12_GLOBAL__N_110CustomProdEEEEE10hipError_tPvRmT0_T1_jT2_SQ_T4_T3_P12ihipStream_tbEUlT_E_NS1_11comp_targetILNS1_3genE9ELNS1_11target_archE1100ELNS1_3gpuE3ELNS1_3repE0EEENS1_30default_config_static_selectorELNS0_4arch9wavefront6targetE1EEEvSP_
                                        ; -- End function
	.set _ZN7rocprim17ROCPRIM_400000_NS6detail17trampoline_kernelINS0_14default_configENS1_32segmented_reduce_config_selectorIdEEZNS1_21segmented_reduce_implIS3_PKdPdPKldN6hipcub16HIPCUB_304000_NS6detail27convert_result_type_wrapperIS8_S9_N2at6native12_GLOBAL__N_110CustomProdEEEEE10hipError_tPvRmT0_T1_jT2_SQ_T4_T3_P12ihipStream_tbEUlT_E_NS1_11comp_targetILNS1_3genE9ELNS1_11target_archE1100ELNS1_3gpuE3ELNS1_3repE0EEENS1_30default_config_static_selectorELNS0_4arch9wavefront6targetE1EEEvSP_.num_vgpr, 0
	.set _ZN7rocprim17ROCPRIM_400000_NS6detail17trampoline_kernelINS0_14default_configENS1_32segmented_reduce_config_selectorIdEEZNS1_21segmented_reduce_implIS3_PKdPdPKldN6hipcub16HIPCUB_304000_NS6detail27convert_result_type_wrapperIS8_S9_N2at6native12_GLOBAL__N_110CustomProdEEEEE10hipError_tPvRmT0_T1_jT2_SQ_T4_T3_P12ihipStream_tbEUlT_E_NS1_11comp_targetILNS1_3genE9ELNS1_11target_archE1100ELNS1_3gpuE3ELNS1_3repE0EEENS1_30default_config_static_selectorELNS0_4arch9wavefront6targetE1EEEvSP_.num_agpr, 0
	.set _ZN7rocprim17ROCPRIM_400000_NS6detail17trampoline_kernelINS0_14default_configENS1_32segmented_reduce_config_selectorIdEEZNS1_21segmented_reduce_implIS3_PKdPdPKldN6hipcub16HIPCUB_304000_NS6detail27convert_result_type_wrapperIS8_S9_N2at6native12_GLOBAL__N_110CustomProdEEEEE10hipError_tPvRmT0_T1_jT2_SQ_T4_T3_P12ihipStream_tbEUlT_E_NS1_11comp_targetILNS1_3genE9ELNS1_11target_archE1100ELNS1_3gpuE3ELNS1_3repE0EEENS1_30default_config_static_selectorELNS0_4arch9wavefront6targetE1EEEvSP_.numbered_sgpr, 0
	.set _ZN7rocprim17ROCPRIM_400000_NS6detail17trampoline_kernelINS0_14default_configENS1_32segmented_reduce_config_selectorIdEEZNS1_21segmented_reduce_implIS3_PKdPdPKldN6hipcub16HIPCUB_304000_NS6detail27convert_result_type_wrapperIS8_S9_N2at6native12_GLOBAL__N_110CustomProdEEEEE10hipError_tPvRmT0_T1_jT2_SQ_T4_T3_P12ihipStream_tbEUlT_E_NS1_11comp_targetILNS1_3genE9ELNS1_11target_archE1100ELNS1_3gpuE3ELNS1_3repE0EEENS1_30default_config_static_selectorELNS0_4arch9wavefront6targetE1EEEvSP_.num_named_barrier, 0
	.set _ZN7rocprim17ROCPRIM_400000_NS6detail17trampoline_kernelINS0_14default_configENS1_32segmented_reduce_config_selectorIdEEZNS1_21segmented_reduce_implIS3_PKdPdPKldN6hipcub16HIPCUB_304000_NS6detail27convert_result_type_wrapperIS8_S9_N2at6native12_GLOBAL__N_110CustomProdEEEEE10hipError_tPvRmT0_T1_jT2_SQ_T4_T3_P12ihipStream_tbEUlT_E_NS1_11comp_targetILNS1_3genE9ELNS1_11target_archE1100ELNS1_3gpuE3ELNS1_3repE0EEENS1_30default_config_static_selectorELNS0_4arch9wavefront6targetE1EEEvSP_.private_seg_size, 0
	.set _ZN7rocprim17ROCPRIM_400000_NS6detail17trampoline_kernelINS0_14default_configENS1_32segmented_reduce_config_selectorIdEEZNS1_21segmented_reduce_implIS3_PKdPdPKldN6hipcub16HIPCUB_304000_NS6detail27convert_result_type_wrapperIS8_S9_N2at6native12_GLOBAL__N_110CustomProdEEEEE10hipError_tPvRmT0_T1_jT2_SQ_T4_T3_P12ihipStream_tbEUlT_E_NS1_11comp_targetILNS1_3genE9ELNS1_11target_archE1100ELNS1_3gpuE3ELNS1_3repE0EEENS1_30default_config_static_selectorELNS0_4arch9wavefront6targetE1EEEvSP_.uses_vcc, 0
	.set _ZN7rocprim17ROCPRIM_400000_NS6detail17trampoline_kernelINS0_14default_configENS1_32segmented_reduce_config_selectorIdEEZNS1_21segmented_reduce_implIS3_PKdPdPKldN6hipcub16HIPCUB_304000_NS6detail27convert_result_type_wrapperIS8_S9_N2at6native12_GLOBAL__N_110CustomProdEEEEE10hipError_tPvRmT0_T1_jT2_SQ_T4_T3_P12ihipStream_tbEUlT_E_NS1_11comp_targetILNS1_3genE9ELNS1_11target_archE1100ELNS1_3gpuE3ELNS1_3repE0EEENS1_30default_config_static_selectorELNS0_4arch9wavefront6targetE1EEEvSP_.uses_flat_scratch, 0
	.set _ZN7rocprim17ROCPRIM_400000_NS6detail17trampoline_kernelINS0_14default_configENS1_32segmented_reduce_config_selectorIdEEZNS1_21segmented_reduce_implIS3_PKdPdPKldN6hipcub16HIPCUB_304000_NS6detail27convert_result_type_wrapperIS8_S9_N2at6native12_GLOBAL__N_110CustomProdEEEEE10hipError_tPvRmT0_T1_jT2_SQ_T4_T3_P12ihipStream_tbEUlT_E_NS1_11comp_targetILNS1_3genE9ELNS1_11target_archE1100ELNS1_3gpuE3ELNS1_3repE0EEENS1_30default_config_static_selectorELNS0_4arch9wavefront6targetE1EEEvSP_.has_dyn_sized_stack, 0
	.set _ZN7rocprim17ROCPRIM_400000_NS6detail17trampoline_kernelINS0_14default_configENS1_32segmented_reduce_config_selectorIdEEZNS1_21segmented_reduce_implIS3_PKdPdPKldN6hipcub16HIPCUB_304000_NS6detail27convert_result_type_wrapperIS8_S9_N2at6native12_GLOBAL__N_110CustomProdEEEEE10hipError_tPvRmT0_T1_jT2_SQ_T4_T3_P12ihipStream_tbEUlT_E_NS1_11comp_targetILNS1_3genE9ELNS1_11target_archE1100ELNS1_3gpuE3ELNS1_3repE0EEENS1_30default_config_static_selectorELNS0_4arch9wavefront6targetE1EEEvSP_.has_recursion, 0
	.set _ZN7rocprim17ROCPRIM_400000_NS6detail17trampoline_kernelINS0_14default_configENS1_32segmented_reduce_config_selectorIdEEZNS1_21segmented_reduce_implIS3_PKdPdPKldN6hipcub16HIPCUB_304000_NS6detail27convert_result_type_wrapperIS8_S9_N2at6native12_GLOBAL__N_110CustomProdEEEEE10hipError_tPvRmT0_T1_jT2_SQ_T4_T3_P12ihipStream_tbEUlT_E_NS1_11comp_targetILNS1_3genE9ELNS1_11target_archE1100ELNS1_3gpuE3ELNS1_3repE0EEENS1_30default_config_static_selectorELNS0_4arch9wavefront6targetE1EEEvSP_.has_indirect_call, 0
	.section	.AMDGPU.csdata,"",@progbits
; Kernel info:
; codeLenInByte = 0
; TotalNumSgprs: 4
; NumVgprs: 0
; ScratchSize: 0
; MemoryBound: 0
; FloatMode: 240
; IeeeMode: 1
; LDSByteSize: 0 bytes/workgroup (compile time only)
; SGPRBlocks: 0
; VGPRBlocks: 0
; NumSGPRsForWavesPerEU: 4
; NumVGPRsForWavesPerEU: 1
; Occupancy: 10
; WaveLimiterHint : 0
; COMPUTE_PGM_RSRC2:SCRATCH_EN: 0
; COMPUTE_PGM_RSRC2:USER_SGPR: 6
; COMPUTE_PGM_RSRC2:TRAP_HANDLER: 0
; COMPUTE_PGM_RSRC2:TGID_X_EN: 1
; COMPUTE_PGM_RSRC2:TGID_Y_EN: 0
; COMPUTE_PGM_RSRC2:TGID_Z_EN: 0
; COMPUTE_PGM_RSRC2:TIDIG_COMP_CNT: 0
	.section	.text._ZN7rocprim17ROCPRIM_400000_NS6detail17trampoline_kernelINS0_14default_configENS1_32segmented_reduce_config_selectorIdEEZNS1_21segmented_reduce_implIS3_PKdPdPKldN6hipcub16HIPCUB_304000_NS6detail27convert_result_type_wrapperIS8_S9_N2at6native12_GLOBAL__N_110CustomProdEEEEE10hipError_tPvRmT0_T1_jT2_SQ_T4_T3_P12ihipStream_tbEUlT_E_NS1_11comp_targetILNS1_3genE8ELNS1_11target_archE1030ELNS1_3gpuE2ELNS1_3repE0EEENS1_30default_config_static_selectorELNS0_4arch9wavefront6targetE1EEEvSP_,"axG",@progbits,_ZN7rocprim17ROCPRIM_400000_NS6detail17trampoline_kernelINS0_14default_configENS1_32segmented_reduce_config_selectorIdEEZNS1_21segmented_reduce_implIS3_PKdPdPKldN6hipcub16HIPCUB_304000_NS6detail27convert_result_type_wrapperIS8_S9_N2at6native12_GLOBAL__N_110CustomProdEEEEE10hipError_tPvRmT0_T1_jT2_SQ_T4_T3_P12ihipStream_tbEUlT_E_NS1_11comp_targetILNS1_3genE8ELNS1_11target_archE1030ELNS1_3gpuE2ELNS1_3repE0EEENS1_30default_config_static_selectorELNS0_4arch9wavefront6targetE1EEEvSP_,comdat
	.globl	_ZN7rocprim17ROCPRIM_400000_NS6detail17trampoline_kernelINS0_14default_configENS1_32segmented_reduce_config_selectorIdEEZNS1_21segmented_reduce_implIS3_PKdPdPKldN6hipcub16HIPCUB_304000_NS6detail27convert_result_type_wrapperIS8_S9_N2at6native12_GLOBAL__N_110CustomProdEEEEE10hipError_tPvRmT0_T1_jT2_SQ_T4_T3_P12ihipStream_tbEUlT_E_NS1_11comp_targetILNS1_3genE8ELNS1_11target_archE1030ELNS1_3gpuE2ELNS1_3repE0EEENS1_30default_config_static_selectorELNS0_4arch9wavefront6targetE1EEEvSP_ ; -- Begin function _ZN7rocprim17ROCPRIM_400000_NS6detail17trampoline_kernelINS0_14default_configENS1_32segmented_reduce_config_selectorIdEEZNS1_21segmented_reduce_implIS3_PKdPdPKldN6hipcub16HIPCUB_304000_NS6detail27convert_result_type_wrapperIS8_S9_N2at6native12_GLOBAL__N_110CustomProdEEEEE10hipError_tPvRmT0_T1_jT2_SQ_T4_T3_P12ihipStream_tbEUlT_E_NS1_11comp_targetILNS1_3genE8ELNS1_11target_archE1030ELNS1_3gpuE2ELNS1_3repE0EEENS1_30default_config_static_selectorELNS0_4arch9wavefront6targetE1EEEvSP_
	.p2align	8
	.type	_ZN7rocprim17ROCPRIM_400000_NS6detail17trampoline_kernelINS0_14default_configENS1_32segmented_reduce_config_selectorIdEEZNS1_21segmented_reduce_implIS3_PKdPdPKldN6hipcub16HIPCUB_304000_NS6detail27convert_result_type_wrapperIS8_S9_N2at6native12_GLOBAL__N_110CustomProdEEEEE10hipError_tPvRmT0_T1_jT2_SQ_T4_T3_P12ihipStream_tbEUlT_E_NS1_11comp_targetILNS1_3genE8ELNS1_11target_archE1030ELNS1_3gpuE2ELNS1_3repE0EEENS1_30default_config_static_selectorELNS0_4arch9wavefront6targetE1EEEvSP_,@function
_ZN7rocprim17ROCPRIM_400000_NS6detail17trampoline_kernelINS0_14default_configENS1_32segmented_reduce_config_selectorIdEEZNS1_21segmented_reduce_implIS3_PKdPdPKldN6hipcub16HIPCUB_304000_NS6detail27convert_result_type_wrapperIS8_S9_N2at6native12_GLOBAL__N_110CustomProdEEEEE10hipError_tPvRmT0_T1_jT2_SQ_T4_T3_P12ihipStream_tbEUlT_E_NS1_11comp_targetILNS1_3genE8ELNS1_11target_archE1030ELNS1_3gpuE2ELNS1_3repE0EEENS1_30default_config_static_selectorELNS0_4arch9wavefront6targetE1EEEvSP_: ; @_ZN7rocprim17ROCPRIM_400000_NS6detail17trampoline_kernelINS0_14default_configENS1_32segmented_reduce_config_selectorIdEEZNS1_21segmented_reduce_implIS3_PKdPdPKldN6hipcub16HIPCUB_304000_NS6detail27convert_result_type_wrapperIS8_S9_N2at6native12_GLOBAL__N_110CustomProdEEEEE10hipError_tPvRmT0_T1_jT2_SQ_T4_T3_P12ihipStream_tbEUlT_E_NS1_11comp_targetILNS1_3genE8ELNS1_11target_archE1030ELNS1_3gpuE2ELNS1_3repE0EEENS1_30default_config_static_selectorELNS0_4arch9wavefront6targetE1EEEvSP_
; %bb.0:
	.section	.rodata,"a",@progbits
	.p2align	6, 0x0
	.amdhsa_kernel _ZN7rocprim17ROCPRIM_400000_NS6detail17trampoline_kernelINS0_14default_configENS1_32segmented_reduce_config_selectorIdEEZNS1_21segmented_reduce_implIS3_PKdPdPKldN6hipcub16HIPCUB_304000_NS6detail27convert_result_type_wrapperIS8_S9_N2at6native12_GLOBAL__N_110CustomProdEEEEE10hipError_tPvRmT0_T1_jT2_SQ_T4_T3_P12ihipStream_tbEUlT_E_NS1_11comp_targetILNS1_3genE8ELNS1_11target_archE1030ELNS1_3gpuE2ELNS1_3repE0EEENS1_30default_config_static_selectorELNS0_4arch9wavefront6targetE1EEEvSP_
		.amdhsa_group_segment_fixed_size 0
		.amdhsa_private_segment_fixed_size 0
		.amdhsa_kernarg_size 56
		.amdhsa_user_sgpr_count 6
		.amdhsa_user_sgpr_private_segment_buffer 1
		.amdhsa_user_sgpr_dispatch_ptr 0
		.amdhsa_user_sgpr_queue_ptr 0
		.amdhsa_user_sgpr_kernarg_segment_ptr 1
		.amdhsa_user_sgpr_dispatch_id 0
		.amdhsa_user_sgpr_flat_scratch_init 0
		.amdhsa_user_sgpr_private_segment_size 0
		.amdhsa_uses_dynamic_stack 0
		.amdhsa_system_sgpr_private_segment_wavefront_offset 0
		.amdhsa_system_sgpr_workgroup_id_x 1
		.amdhsa_system_sgpr_workgroup_id_y 0
		.amdhsa_system_sgpr_workgroup_id_z 0
		.amdhsa_system_sgpr_workgroup_info 0
		.amdhsa_system_vgpr_workitem_id 0
		.amdhsa_next_free_vgpr 1
		.amdhsa_next_free_sgpr 0
		.amdhsa_reserve_vcc 0
		.amdhsa_reserve_flat_scratch 0
		.amdhsa_float_round_mode_32 0
		.amdhsa_float_round_mode_16_64 0
		.amdhsa_float_denorm_mode_32 3
		.amdhsa_float_denorm_mode_16_64 3
		.amdhsa_dx10_clamp 1
		.amdhsa_ieee_mode 1
		.amdhsa_fp16_overflow 0
		.amdhsa_exception_fp_ieee_invalid_op 0
		.amdhsa_exception_fp_denorm_src 0
		.amdhsa_exception_fp_ieee_div_zero 0
		.amdhsa_exception_fp_ieee_overflow 0
		.amdhsa_exception_fp_ieee_underflow 0
		.amdhsa_exception_fp_ieee_inexact 0
		.amdhsa_exception_int_div_zero 0
	.end_amdhsa_kernel
	.section	.text._ZN7rocprim17ROCPRIM_400000_NS6detail17trampoline_kernelINS0_14default_configENS1_32segmented_reduce_config_selectorIdEEZNS1_21segmented_reduce_implIS3_PKdPdPKldN6hipcub16HIPCUB_304000_NS6detail27convert_result_type_wrapperIS8_S9_N2at6native12_GLOBAL__N_110CustomProdEEEEE10hipError_tPvRmT0_T1_jT2_SQ_T4_T3_P12ihipStream_tbEUlT_E_NS1_11comp_targetILNS1_3genE8ELNS1_11target_archE1030ELNS1_3gpuE2ELNS1_3repE0EEENS1_30default_config_static_selectorELNS0_4arch9wavefront6targetE1EEEvSP_,"axG",@progbits,_ZN7rocprim17ROCPRIM_400000_NS6detail17trampoline_kernelINS0_14default_configENS1_32segmented_reduce_config_selectorIdEEZNS1_21segmented_reduce_implIS3_PKdPdPKldN6hipcub16HIPCUB_304000_NS6detail27convert_result_type_wrapperIS8_S9_N2at6native12_GLOBAL__N_110CustomProdEEEEE10hipError_tPvRmT0_T1_jT2_SQ_T4_T3_P12ihipStream_tbEUlT_E_NS1_11comp_targetILNS1_3genE8ELNS1_11target_archE1030ELNS1_3gpuE2ELNS1_3repE0EEENS1_30default_config_static_selectorELNS0_4arch9wavefront6targetE1EEEvSP_,comdat
.Lfunc_end177:
	.size	_ZN7rocprim17ROCPRIM_400000_NS6detail17trampoline_kernelINS0_14default_configENS1_32segmented_reduce_config_selectorIdEEZNS1_21segmented_reduce_implIS3_PKdPdPKldN6hipcub16HIPCUB_304000_NS6detail27convert_result_type_wrapperIS8_S9_N2at6native12_GLOBAL__N_110CustomProdEEEEE10hipError_tPvRmT0_T1_jT2_SQ_T4_T3_P12ihipStream_tbEUlT_E_NS1_11comp_targetILNS1_3genE8ELNS1_11target_archE1030ELNS1_3gpuE2ELNS1_3repE0EEENS1_30default_config_static_selectorELNS0_4arch9wavefront6targetE1EEEvSP_, .Lfunc_end177-_ZN7rocprim17ROCPRIM_400000_NS6detail17trampoline_kernelINS0_14default_configENS1_32segmented_reduce_config_selectorIdEEZNS1_21segmented_reduce_implIS3_PKdPdPKldN6hipcub16HIPCUB_304000_NS6detail27convert_result_type_wrapperIS8_S9_N2at6native12_GLOBAL__N_110CustomProdEEEEE10hipError_tPvRmT0_T1_jT2_SQ_T4_T3_P12ihipStream_tbEUlT_E_NS1_11comp_targetILNS1_3genE8ELNS1_11target_archE1030ELNS1_3gpuE2ELNS1_3repE0EEENS1_30default_config_static_selectorELNS0_4arch9wavefront6targetE1EEEvSP_
                                        ; -- End function
	.set _ZN7rocprim17ROCPRIM_400000_NS6detail17trampoline_kernelINS0_14default_configENS1_32segmented_reduce_config_selectorIdEEZNS1_21segmented_reduce_implIS3_PKdPdPKldN6hipcub16HIPCUB_304000_NS6detail27convert_result_type_wrapperIS8_S9_N2at6native12_GLOBAL__N_110CustomProdEEEEE10hipError_tPvRmT0_T1_jT2_SQ_T4_T3_P12ihipStream_tbEUlT_E_NS1_11comp_targetILNS1_3genE8ELNS1_11target_archE1030ELNS1_3gpuE2ELNS1_3repE0EEENS1_30default_config_static_selectorELNS0_4arch9wavefront6targetE1EEEvSP_.num_vgpr, 0
	.set _ZN7rocprim17ROCPRIM_400000_NS6detail17trampoline_kernelINS0_14default_configENS1_32segmented_reduce_config_selectorIdEEZNS1_21segmented_reduce_implIS3_PKdPdPKldN6hipcub16HIPCUB_304000_NS6detail27convert_result_type_wrapperIS8_S9_N2at6native12_GLOBAL__N_110CustomProdEEEEE10hipError_tPvRmT0_T1_jT2_SQ_T4_T3_P12ihipStream_tbEUlT_E_NS1_11comp_targetILNS1_3genE8ELNS1_11target_archE1030ELNS1_3gpuE2ELNS1_3repE0EEENS1_30default_config_static_selectorELNS0_4arch9wavefront6targetE1EEEvSP_.num_agpr, 0
	.set _ZN7rocprim17ROCPRIM_400000_NS6detail17trampoline_kernelINS0_14default_configENS1_32segmented_reduce_config_selectorIdEEZNS1_21segmented_reduce_implIS3_PKdPdPKldN6hipcub16HIPCUB_304000_NS6detail27convert_result_type_wrapperIS8_S9_N2at6native12_GLOBAL__N_110CustomProdEEEEE10hipError_tPvRmT0_T1_jT2_SQ_T4_T3_P12ihipStream_tbEUlT_E_NS1_11comp_targetILNS1_3genE8ELNS1_11target_archE1030ELNS1_3gpuE2ELNS1_3repE0EEENS1_30default_config_static_selectorELNS0_4arch9wavefront6targetE1EEEvSP_.numbered_sgpr, 0
	.set _ZN7rocprim17ROCPRIM_400000_NS6detail17trampoline_kernelINS0_14default_configENS1_32segmented_reduce_config_selectorIdEEZNS1_21segmented_reduce_implIS3_PKdPdPKldN6hipcub16HIPCUB_304000_NS6detail27convert_result_type_wrapperIS8_S9_N2at6native12_GLOBAL__N_110CustomProdEEEEE10hipError_tPvRmT0_T1_jT2_SQ_T4_T3_P12ihipStream_tbEUlT_E_NS1_11comp_targetILNS1_3genE8ELNS1_11target_archE1030ELNS1_3gpuE2ELNS1_3repE0EEENS1_30default_config_static_selectorELNS0_4arch9wavefront6targetE1EEEvSP_.num_named_barrier, 0
	.set _ZN7rocprim17ROCPRIM_400000_NS6detail17trampoline_kernelINS0_14default_configENS1_32segmented_reduce_config_selectorIdEEZNS1_21segmented_reduce_implIS3_PKdPdPKldN6hipcub16HIPCUB_304000_NS6detail27convert_result_type_wrapperIS8_S9_N2at6native12_GLOBAL__N_110CustomProdEEEEE10hipError_tPvRmT0_T1_jT2_SQ_T4_T3_P12ihipStream_tbEUlT_E_NS1_11comp_targetILNS1_3genE8ELNS1_11target_archE1030ELNS1_3gpuE2ELNS1_3repE0EEENS1_30default_config_static_selectorELNS0_4arch9wavefront6targetE1EEEvSP_.private_seg_size, 0
	.set _ZN7rocprim17ROCPRIM_400000_NS6detail17trampoline_kernelINS0_14default_configENS1_32segmented_reduce_config_selectorIdEEZNS1_21segmented_reduce_implIS3_PKdPdPKldN6hipcub16HIPCUB_304000_NS6detail27convert_result_type_wrapperIS8_S9_N2at6native12_GLOBAL__N_110CustomProdEEEEE10hipError_tPvRmT0_T1_jT2_SQ_T4_T3_P12ihipStream_tbEUlT_E_NS1_11comp_targetILNS1_3genE8ELNS1_11target_archE1030ELNS1_3gpuE2ELNS1_3repE0EEENS1_30default_config_static_selectorELNS0_4arch9wavefront6targetE1EEEvSP_.uses_vcc, 0
	.set _ZN7rocprim17ROCPRIM_400000_NS6detail17trampoline_kernelINS0_14default_configENS1_32segmented_reduce_config_selectorIdEEZNS1_21segmented_reduce_implIS3_PKdPdPKldN6hipcub16HIPCUB_304000_NS6detail27convert_result_type_wrapperIS8_S9_N2at6native12_GLOBAL__N_110CustomProdEEEEE10hipError_tPvRmT0_T1_jT2_SQ_T4_T3_P12ihipStream_tbEUlT_E_NS1_11comp_targetILNS1_3genE8ELNS1_11target_archE1030ELNS1_3gpuE2ELNS1_3repE0EEENS1_30default_config_static_selectorELNS0_4arch9wavefront6targetE1EEEvSP_.uses_flat_scratch, 0
	.set _ZN7rocprim17ROCPRIM_400000_NS6detail17trampoline_kernelINS0_14default_configENS1_32segmented_reduce_config_selectorIdEEZNS1_21segmented_reduce_implIS3_PKdPdPKldN6hipcub16HIPCUB_304000_NS6detail27convert_result_type_wrapperIS8_S9_N2at6native12_GLOBAL__N_110CustomProdEEEEE10hipError_tPvRmT0_T1_jT2_SQ_T4_T3_P12ihipStream_tbEUlT_E_NS1_11comp_targetILNS1_3genE8ELNS1_11target_archE1030ELNS1_3gpuE2ELNS1_3repE0EEENS1_30default_config_static_selectorELNS0_4arch9wavefront6targetE1EEEvSP_.has_dyn_sized_stack, 0
	.set _ZN7rocprim17ROCPRIM_400000_NS6detail17trampoline_kernelINS0_14default_configENS1_32segmented_reduce_config_selectorIdEEZNS1_21segmented_reduce_implIS3_PKdPdPKldN6hipcub16HIPCUB_304000_NS6detail27convert_result_type_wrapperIS8_S9_N2at6native12_GLOBAL__N_110CustomProdEEEEE10hipError_tPvRmT0_T1_jT2_SQ_T4_T3_P12ihipStream_tbEUlT_E_NS1_11comp_targetILNS1_3genE8ELNS1_11target_archE1030ELNS1_3gpuE2ELNS1_3repE0EEENS1_30default_config_static_selectorELNS0_4arch9wavefront6targetE1EEEvSP_.has_recursion, 0
	.set _ZN7rocprim17ROCPRIM_400000_NS6detail17trampoline_kernelINS0_14default_configENS1_32segmented_reduce_config_selectorIdEEZNS1_21segmented_reduce_implIS3_PKdPdPKldN6hipcub16HIPCUB_304000_NS6detail27convert_result_type_wrapperIS8_S9_N2at6native12_GLOBAL__N_110CustomProdEEEEE10hipError_tPvRmT0_T1_jT2_SQ_T4_T3_P12ihipStream_tbEUlT_E_NS1_11comp_targetILNS1_3genE8ELNS1_11target_archE1030ELNS1_3gpuE2ELNS1_3repE0EEENS1_30default_config_static_selectorELNS0_4arch9wavefront6targetE1EEEvSP_.has_indirect_call, 0
	.section	.AMDGPU.csdata,"",@progbits
; Kernel info:
; codeLenInByte = 0
; TotalNumSgprs: 4
; NumVgprs: 0
; ScratchSize: 0
; MemoryBound: 0
; FloatMode: 240
; IeeeMode: 1
; LDSByteSize: 0 bytes/workgroup (compile time only)
; SGPRBlocks: 0
; VGPRBlocks: 0
; NumSGPRsForWavesPerEU: 4
; NumVGPRsForWavesPerEU: 1
; Occupancy: 10
; WaveLimiterHint : 0
; COMPUTE_PGM_RSRC2:SCRATCH_EN: 0
; COMPUTE_PGM_RSRC2:USER_SGPR: 6
; COMPUTE_PGM_RSRC2:TRAP_HANDLER: 0
; COMPUTE_PGM_RSRC2:TGID_X_EN: 1
; COMPUTE_PGM_RSRC2:TGID_Y_EN: 0
; COMPUTE_PGM_RSRC2:TGID_Z_EN: 0
; COMPUTE_PGM_RSRC2:TIDIG_COMP_CNT: 0
	.section	.text._ZN2at6native12_GLOBAL__N_129segment_reduce_forward_kernelIflEEvNS0_13ReductionTypeEPT_PKS4_PKT0_SA_llbS4_lllllll,"axG",@progbits,_ZN2at6native12_GLOBAL__N_129segment_reduce_forward_kernelIflEEvNS0_13ReductionTypeEPT_PKS4_PKT0_SA_llbS4_lllllll,comdat
	.globl	_ZN2at6native12_GLOBAL__N_129segment_reduce_forward_kernelIflEEvNS0_13ReductionTypeEPT_PKS4_PKT0_SA_llbS4_lllllll ; -- Begin function _ZN2at6native12_GLOBAL__N_129segment_reduce_forward_kernelIflEEvNS0_13ReductionTypeEPT_PKS4_PKT0_SA_llbS4_lllllll
	.p2align	8
	.type	_ZN2at6native12_GLOBAL__N_129segment_reduce_forward_kernelIflEEvNS0_13ReductionTypeEPT_PKS4_PKT0_SA_llbS4_lllllll,@function
_ZN2at6native12_GLOBAL__N_129segment_reduce_forward_kernelIflEEvNS0_13ReductionTypeEPT_PKS4_PKT0_SA_llbS4_lllllll: ; @_ZN2at6native12_GLOBAL__N_129segment_reduce_forward_kernelIflEEvNS0_13ReductionTypeEPT_PKS4_PKT0_SA_llbS4_lllllll
; %bb.0:
	s_load_dword s0, s[4:5], 0x84
	s_load_dwordx4 s[36:39], s[4:5], 0x28
	s_load_dwordx8 s[24:31], s[4:5], 0x40
	v_mov_b32_e32 v2, 0
	v_mov_b32_e32 v1, v2
	s_waitcnt lgkmcnt(0)
	s_and_b32 s0, s0, 0xffff
	v_mov_b32_e32 v3, s6
	v_mad_u64_u32 v[4:5], s[0:1], s0, v3, v[0:1]
	s_mul_i32 s0, s24, s37
	s_mul_hi_u32 s1, s24, s36
	s_add_i32 s0, s1, s0
	s_mul_i32 s1, s25, s36
	s_mul_i32 s2, s24, s36
	s_add_i32 s0, s0, s1
	s_mul_i32 s1, s2, s27
	s_mul_hi_u32 s3, s2, s26
	s_add_i32 s1, s3, s1
	s_mul_i32 s0, s0, s26
	s_add_i32 s1, s1, s0
	s_mul_i32 s0, s2, s26
	v_cmp_gt_i64_e32 vcc, s[0:1], v[4:5]
	s_and_saveexec_b64 s[0:1], vcc
	s_cbranch_execz .LBB178_35
; %bb.1:
	v_or_b32_e32 v3, s27, v5
	v_cmp_ne_u64_e32 vcc, 0, v[2:3]
                                        ; implicit-def: $vgpr10_vgpr11
	s_and_saveexec_b64 s[0:1], vcc
	s_xor_b64 s[2:3], exec, s[0:1]
	s_cbranch_execz .LBB178_3
; %bb.2:
	s_ashr_i32 s6, s27, 31
	s_add_u32 s0, s26, s6
	s_mov_b32 s7, s6
	s_addc_u32 s1, s27, s6
	s_xor_b64 s[8:9], s[0:1], s[6:7]
	v_cvt_f32_u32_e32 v0, s8
	v_cvt_f32_u32_e32 v1, s9
	s_sub_u32 s7, 0, s8
	s_subb_u32 s10, 0, s9
	v_ashrrev_i32_e32 v6, 31, v5
	v_madmk_f32 v0, v1, 0x4f800000, v0
	v_rcp_f32_e32 v0, v0
	v_mul_f32_e32 v0, 0x5f7ffffc, v0
	v_mul_f32_e32 v1, 0x2f800000, v0
	v_trunc_f32_e32 v1, v1
	v_madmk_f32 v0, v1, 0xcf800000, v0
	v_cvt_u32_f32_e32 v1, v1
	v_cvt_u32_f32_e32 v0, v0
	v_readfirstlane_b32 s11, v1
	v_readfirstlane_b32 s0, v0
	s_mul_i32 s1, s7, s11
	s_mul_hi_u32 s13, s7, s0
	s_mul_i32 s12, s10, s0
	s_add_i32 s1, s13, s1
	s_add_i32 s1, s1, s12
	s_mul_i32 s14, s7, s0
	s_mul_i32 s13, s0, s1
	s_mul_hi_u32 s15, s0, s14
	s_mul_hi_u32 s12, s0, s1
	s_add_u32 s13, s15, s13
	s_addc_u32 s12, 0, s12
	s_mul_hi_u32 s16, s11, s14
	s_mul_i32 s14, s11, s14
	s_add_u32 s13, s13, s14
	s_mul_hi_u32 s15, s11, s1
	s_addc_u32 s12, s12, s16
	s_addc_u32 s13, s15, 0
	s_mul_i32 s1, s11, s1
	s_add_u32 s1, s12, s1
	s_addc_u32 s12, 0, s13
	s_add_u32 s13, s0, s1
	s_cselect_b64 s[0:1], -1, 0
	s_cmp_lg_u64 s[0:1], 0
	s_addc_u32 s11, s11, s12
	s_mul_i32 s0, s7, s11
	s_mul_hi_u32 s1, s7, s13
	s_add_i32 s0, s1, s0
	s_mul_i32 s10, s10, s13
	s_add_i32 s0, s0, s10
	s_mul_i32 s7, s7, s13
	s_mul_hi_u32 s10, s11, s7
	s_mul_i32 s12, s11, s7
	s_mul_i32 s15, s13, s0
	s_mul_hi_u32 s7, s13, s7
	s_mul_hi_u32 s14, s13, s0
	s_add_u32 s7, s7, s15
	s_addc_u32 s14, 0, s14
	s_add_u32 s7, s7, s12
	s_mul_hi_u32 s1, s11, s0
	s_addc_u32 s7, s14, s10
	s_addc_u32 s1, s1, 0
	s_mul_i32 s0, s11, s0
	s_add_u32 s0, s7, s0
	s_addc_u32 s7, 0, s1
	s_add_u32 s10, s13, s0
	s_cselect_b64 s[0:1], -1, 0
	s_cmp_lg_u64 s[0:1], 0
	v_add_co_u32_e32 v0, vcc, v4, v6
	s_addc_u32 s7, s11, s7
	v_xor_b32_e32 v7, v0, v6
	v_mad_u64_u32 v[0:1], s[0:1], v7, s7, 0
	v_mul_hi_u32 v3, v7, s10
	v_addc_co_u32_e32 v2, vcc, v5, v6, vcc
	v_xor_b32_e32 v8, v2, v6
	v_add_co_u32_e32 v9, vcc, v3, v0
	v_addc_co_u32_e32 v10, vcc, 0, v1, vcc
	v_mad_u64_u32 v[0:1], s[0:1], v8, s10, 0
	v_mad_u64_u32 v[2:3], s[0:1], v8, s7, 0
	v_add_co_u32_e32 v0, vcc, v9, v0
	v_addc_co_u32_e32 v0, vcc, v10, v1, vcc
	v_addc_co_u32_e32 v1, vcc, 0, v3, vcc
	v_add_co_u32_e32 v2, vcc, v0, v2
	v_addc_co_u32_e32 v3, vcc, 0, v1, vcc
	v_mul_lo_u32 v9, s9, v2
	v_mul_lo_u32 v10, s8, v3
	v_mad_u64_u32 v[0:1], s[0:1], s8, v2, 0
	v_add3_u32 v1, v1, v10, v9
	v_sub_u32_e32 v9, v8, v1
	v_mov_b32_e32 v10, s9
	v_sub_co_u32_e32 v0, vcc, v7, v0
	v_subb_co_u32_e64 v7, s[0:1], v9, v10, vcc
	v_subrev_co_u32_e64 v9, s[0:1], s8, v0
	v_subbrev_co_u32_e64 v7, s[0:1], 0, v7, s[0:1]
	v_cmp_le_u32_e64 s[0:1], s9, v7
	v_cndmask_b32_e64 v10, 0, -1, s[0:1]
	v_cmp_le_u32_e64 s[0:1], s8, v9
	v_cndmask_b32_e64 v9, 0, -1, s[0:1]
	v_cmp_eq_u32_e64 s[0:1], s9, v7
	v_cndmask_b32_e64 v7, v10, v9, s[0:1]
	v_add_co_u32_e64 v9, s[0:1], 2, v2
	v_subb_co_u32_e32 v1, vcc, v8, v1, vcc
	v_addc_co_u32_e64 v10, s[0:1], 0, v3, s[0:1]
	v_cmp_le_u32_e32 vcc, s9, v1
	v_add_co_u32_e64 v11, s[0:1], 1, v2
	v_cndmask_b32_e64 v8, 0, -1, vcc
	v_cmp_le_u32_e32 vcc, s8, v0
	v_addc_co_u32_e64 v12, s[0:1], 0, v3, s[0:1]
	v_cndmask_b32_e64 v0, 0, -1, vcc
	v_cmp_eq_u32_e32 vcc, s9, v1
	v_cmp_ne_u32_e64 s[0:1], 0, v7
	v_cndmask_b32_e32 v0, v8, v0, vcc
	v_cmp_ne_u32_e32 vcc, 0, v0
	v_cndmask_b32_e64 v1, v11, v9, s[0:1]
	v_cndmask_b32_e64 v7, v12, v10, s[0:1]
	v_cndmask_b32_e32 v1, v2, v1, vcc
	v_xor_b32_e32 v2, s6, v6
	v_cndmask_b32_e32 v0, v3, v7, vcc
	v_xor_b32_e32 v1, v1, v2
	v_xor_b32_e32 v0, v0, v2
	v_sub_co_u32_e32 v10, vcc, v1, v2
	v_subb_co_u32_e32 v11, vcc, v0, v2, vcc
.LBB178_3:
	s_or_saveexec_b64 s[0:1], s[2:3]
	s_load_dwordx8 s[8:15], s[4:5], 0x8
	s_load_dwordx8 s[16:23], s[4:5], 0x60
	s_xor_b64 exec, exec, s[0:1]
	s_cbranch_execz .LBB178_5
; %bb.4:
	v_cvt_f32_u32_e32 v0, s26
	s_sub_i32 s2, 0, s26
	v_mov_b32_e32 v11, 0
	v_rcp_iflag_f32_e32 v0, v0
	v_mul_f32_e32 v0, 0x4f7ffffe, v0
	v_cvt_u32_f32_e32 v0, v0
	v_mul_lo_u32 v1, s2, v0
	v_mul_hi_u32 v1, v0, v1
	v_add_u32_e32 v0, v0, v1
	v_mul_hi_u32 v0, v4, v0
	v_mul_lo_u32 v1, v0, s26
	v_add_u32_e32 v2, 1, v0
	v_sub_u32_e32 v1, v4, v1
	v_subrev_u32_e32 v3, s26, v1
	v_cmp_le_u32_e32 vcc, s26, v1
	v_cndmask_b32_e32 v1, v1, v3, vcc
	v_cndmask_b32_e32 v0, v0, v2, vcc
	v_add_u32_e32 v2, 1, v0
	v_cmp_le_u32_e32 vcc, s26, v1
	v_cndmask_b32_e32 v10, v0, v2, vcc
.LBB178_5:
	s_or_b64 exec, exec, s[0:1]
	v_or_b32_e32 v1, s37, v11
	v_mov_b32_e32 v0, 0
	v_cmp_ne_u64_e32 vcc, 0, v[0:1]
                                        ; implicit-def: $vgpr6_vgpr7
	s_and_saveexec_b64 s[0:1], vcc
	s_xor_b64 s[2:3], exec, s[0:1]
	s_cbranch_execz .LBB178_7
; %bb.6:
	s_ashr_i32 s6, s37, 31
	s_add_u32 s0, s36, s6
	s_mov_b32 s7, s6
	s_addc_u32 s1, s37, s6
	s_waitcnt lgkmcnt(0)
	s_xor_b64 s[22:23], s[0:1], s[6:7]
	v_cvt_f32_u32_e32 v0, s22
	v_cvt_f32_u32_e32 v1, s23
	s_sub_u32 s7, 0, s22
	s_subb_u32 s24, 0, s23
	v_ashrrev_i32_e32 v6, 31, v11
	v_madmk_f32 v0, v1, 0x4f800000, v0
	v_rcp_f32_e32 v0, v0
	v_mul_f32_e32 v0, 0x5f7ffffc, v0
	v_mul_f32_e32 v1, 0x2f800000, v0
	v_trunc_f32_e32 v1, v1
	v_madmk_f32 v0, v1, 0xcf800000, v0
	v_cvt_u32_f32_e32 v1, v1
	v_cvt_u32_f32_e32 v0, v0
	v_readfirstlane_b32 s25, v1
	v_readfirstlane_b32 s0, v0
	s_mul_i32 s1, s7, s25
	s_mul_hi_u32 s34, s7, s0
	s_mul_i32 s33, s24, s0
	s_add_i32 s1, s34, s1
	s_add_i32 s1, s1, s33
	s_mul_i32 s35, s7, s0
	s_mul_i32 s34, s0, s1
	s_mul_hi_u32 s40, s0, s35
	s_mul_hi_u32 s33, s0, s1
	s_add_u32 s34, s40, s34
	s_addc_u32 s33, 0, s33
	s_mul_hi_u32 s41, s25, s35
	s_mul_i32 s35, s25, s35
	s_add_u32 s34, s34, s35
	s_mul_hi_u32 s40, s25, s1
	s_addc_u32 s33, s33, s41
	s_addc_u32 s34, s40, 0
	s_mul_i32 s1, s25, s1
	s_add_u32 s1, s33, s1
	s_addc_u32 s33, 0, s34
	s_add_u32 s34, s0, s1
	s_cselect_b64 s[0:1], -1, 0
	s_cmp_lg_u64 s[0:1], 0
	s_addc_u32 s25, s25, s33
	s_mul_i32 s0, s7, s25
	s_mul_hi_u32 s1, s7, s34
	s_add_i32 s0, s1, s0
	s_mul_i32 s24, s24, s34
	s_add_i32 s0, s0, s24
	s_mul_i32 s7, s7, s34
	s_mul_hi_u32 s24, s25, s7
	s_mul_i32 s33, s25, s7
	s_mul_i32 s40, s34, s0
	s_mul_hi_u32 s7, s34, s7
	s_mul_hi_u32 s35, s34, s0
	s_add_u32 s7, s7, s40
	s_addc_u32 s35, 0, s35
	s_add_u32 s7, s7, s33
	s_mul_hi_u32 s1, s25, s0
	s_addc_u32 s7, s35, s24
	s_addc_u32 s1, s1, 0
	s_mul_i32 s0, s25, s0
	s_add_u32 s0, s7, s0
	s_addc_u32 s7, 0, s1
	s_add_u32 s24, s34, s0
	s_cselect_b64 s[0:1], -1, 0
	s_cmp_lg_u64 s[0:1], 0
	v_add_co_u32_e32 v0, vcc, v10, v6
	s_addc_u32 s7, s25, s7
	v_xor_b32_e32 v7, v0, v6
	v_mad_u64_u32 v[0:1], s[0:1], v7, s7, 0
	v_mul_hi_u32 v3, v7, s24
	v_addc_co_u32_e32 v2, vcc, v11, v6, vcc
	v_xor_b32_e32 v8, v2, v6
	v_add_co_u32_e32 v9, vcc, v3, v0
	v_addc_co_u32_e32 v12, vcc, 0, v1, vcc
	v_mad_u64_u32 v[0:1], s[0:1], v8, s24, 0
	v_mad_u64_u32 v[2:3], s[0:1], v8, s7, 0
	v_add_co_u32_e32 v0, vcc, v9, v0
	v_addc_co_u32_e32 v0, vcc, v12, v1, vcc
	v_addc_co_u32_e32 v1, vcc, 0, v3, vcc
	v_add_co_u32_e32 v2, vcc, v0, v2
	v_addc_co_u32_e32 v3, vcc, 0, v1, vcc
	v_mul_lo_u32 v9, s23, v2
	v_mul_lo_u32 v12, s22, v3
	v_mad_u64_u32 v[0:1], s[0:1], s22, v2, 0
	v_add3_u32 v1, v1, v12, v9
	v_sub_u32_e32 v9, v8, v1
	v_mov_b32_e32 v12, s23
	v_sub_co_u32_e32 v0, vcc, v7, v0
	v_subb_co_u32_e64 v7, s[0:1], v9, v12, vcc
	v_subrev_co_u32_e64 v9, s[0:1], s22, v0
	v_subbrev_co_u32_e64 v7, s[0:1], 0, v7, s[0:1]
	v_cmp_le_u32_e64 s[0:1], s23, v7
	v_cndmask_b32_e64 v12, 0, -1, s[0:1]
	v_cmp_le_u32_e64 s[0:1], s22, v9
	v_cndmask_b32_e64 v9, 0, -1, s[0:1]
	v_cmp_eq_u32_e64 s[0:1], s23, v7
	v_cndmask_b32_e64 v7, v12, v9, s[0:1]
	v_add_co_u32_e64 v9, s[0:1], 2, v2
	v_subb_co_u32_e32 v1, vcc, v8, v1, vcc
	v_addc_co_u32_e64 v12, s[0:1], 0, v3, s[0:1]
	v_cmp_le_u32_e32 vcc, s23, v1
	v_add_co_u32_e64 v13, s[0:1], 1, v2
	v_cndmask_b32_e64 v8, 0, -1, vcc
	v_cmp_le_u32_e32 vcc, s22, v0
	v_addc_co_u32_e64 v14, s[0:1], 0, v3, s[0:1]
	v_cndmask_b32_e64 v0, 0, -1, vcc
	v_cmp_eq_u32_e32 vcc, s23, v1
	v_cmp_ne_u32_e64 s[0:1], 0, v7
	v_cndmask_b32_e32 v0, v8, v0, vcc
	v_cmp_ne_u32_e32 vcc, 0, v0
	v_cndmask_b32_e64 v1, v13, v9, s[0:1]
	v_cndmask_b32_e64 v7, v14, v12, s[0:1]
	v_cndmask_b32_e32 v1, v2, v1, vcc
	v_xor_b32_e32 v2, s6, v6
	v_cndmask_b32_e32 v0, v3, v7, vcc
	v_xor_b32_e32 v1, v1, v2
	v_xor_b32_e32 v0, v0, v2
	v_sub_co_u32_e32 v6, vcc, v1, v2
	v_subb_co_u32_e32 v7, vcc, v0, v2, vcc
.LBB178_7:
	s_andn2_saveexec_b64 s[0:1], s[2:3]
	s_cbranch_execz .LBB178_9
; %bb.8:
	v_cvt_f32_u32_e32 v0, s36
	s_sub_i32 s2, 0, s36
	v_mov_b32_e32 v7, 0
	v_rcp_iflag_f32_e32 v0, v0
	v_mul_f32_e32 v0, 0x4f7ffffe, v0
	v_cvt_u32_f32_e32 v0, v0
	v_mul_lo_u32 v1, s2, v0
	v_mul_hi_u32 v1, v0, v1
	v_add_u32_e32 v0, v0, v1
	v_mul_hi_u32 v0, v10, v0
	v_mul_lo_u32 v1, v0, s36
	v_add_u32_e32 v2, 1, v0
	v_sub_u32_e32 v1, v10, v1
	v_subrev_u32_e32 v3, s36, v1
	v_cmp_le_u32_e32 vcc, s36, v1
	v_cndmask_b32_e32 v1, v1, v3, vcc
	v_cndmask_b32_e32 v0, v0, v2, vcc
	v_add_u32_e32 v2, 1, v0
	v_cmp_le_u32_e32 vcc, s36, v1
	v_cndmask_b32_e32 v6, v0, v2, vcc
.LBB178_9:
	s_or_b64 exec, exec, s[0:1]
	v_mad_u64_u32 v[12:13], s[0:1], v6, s36, 0
	s_add_u32 s0, s36, 1
	v_mul_lo_u32 v0, v7, s36
	v_mul_lo_u32 v1, v6, s37
	s_addc_u32 s1, s37, 0
	s_waitcnt lgkmcnt(0)
	s_mul_i32 s1, s20, s1
	s_mul_hi_u32 s2, s20, s0
	s_add_i32 s1, s2, s1
	s_mul_i32 s2, s21, s0
	s_add_i32 s1, s1, s2
	s_mul_i32 s0, s20, s0
	v_add3_u32 v13, v13, v1, v0
	v_mul_lo_u32 v2, s1, v6
	v_mul_lo_u32 v3, s0, v7
	v_mad_u64_u32 v[0:1], s[0:1], s0, v6, 0
	v_sub_co_u32_e32 v8, vcc, v10, v12
	v_add3_u32 v1, v1, v3, v2
	v_lshlrev_b64 v[0:1], 3, v[0:1]
	v_subb_co_u32_e32 v9, vcc, v11, v13, vcc
	v_mov_b32_e32 v2, s15
	v_add_co_u32_e32 v0, vcc, s14, v0
	v_lshlrev_b64 v[14:15], 3, v[8:9]
	v_addc_co_u32_e32 v1, vcc, v2, v1, vcc
	v_add_co_u32_e32 v0, vcc, v0, v14
	v_addc_co_u32_e32 v1, vcc, v1, v15, vcc
	global_load_dwordx4 v[0:3], v[0:1], off
	v_mul_lo_u32 v16, v11, s26
	v_mul_lo_u32 v17, v10, s27
	v_mad_u64_u32 v[10:11], s[0:1], v10, s26, 0
	s_load_dwordx2 s[2:3], s[4:5], 0x38
	s_load_dword s22, s[4:5], 0x0
	v_add3_u32 v11, v11, v17, v16
	s_waitcnt lgkmcnt(0)
	v_mov_b32_e32 v18, s3
	s_waitcnt vmcnt(0)
	v_cmp_lt_i64_e32 vcc, v[0:1], v[2:3]
	s_and_saveexec_b64 s[4:5], vcc
	s_cbranch_execz .LBB178_28
; %bb.10:
	v_mul_lo_u32 v18, v7, s30
	v_mul_lo_u32 v19, v6, s31
	v_mad_u64_u32 v[16:17], s[0:1], v6, s30, 0
	s_cmp_lg_u32 s22, 0
	s_cselect_b64 s[6:7], -1, 0
	v_add3_u32 v17, v17, v19, v18
	v_lshlrev_b64 v[16:17], 2, v[16:17]
	v_lshlrev_b64 v[18:19], 2, v[0:1]
	v_add_co_u32_e32 v18, vcc, v16, v18
	v_addc_co_u32_e32 v19, vcc, v17, v19, vcc
	v_lshlrev_b64 v[16:17], 2, v[4:5]
	v_mul_lo_u32 v19, s28, v19
	v_mul_lo_u32 v20, s29, v18
	v_mad_u64_u32 v[16:17], s[0:1], s28, v18, v[16:17]
	s_and_b32 s0, s22, -3
	s_cmp_lg_u32 s0, 1
	v_add3_u32 v19, v20, v17, v19
	v_lshlrev_b64 v[17:18], 2, v[10:11]
	s_cselect_b64 s[14:15], -1, 0
	v_sub_co_u32_e32 v16, vcc, v16, v17
	v_subb_co_u32_e32 v17, vcc, v19, v18, vcc
	v_mov_b32_e32 v18, s11
	v_add_co_u32_e32 v16, vcc, s10, v16
	v_addc_co_u32_e32 v17, vcc, v18, v17, vcc
	s_lshl_b64 s[20:21], s[28:29], 2
	s_mov_b64 s[10:11], 0
	v_mov_b32_e32 v19, s3
	s_branch .LBB178_12
.LBB178_11:                             ;   in Loop: Header=BB178_12 Depth=1
	v_add_co_u32_e32 v0, vcc, 1, v0
	v_addc_co_u32_e32 v1, vcc, 0, v1, vcc
	v_cmp_ge_i64_e32 vcc, v[0:1], v[2:3]
	v_mov_b32_e32 v19, s21
	v_add_co_u32_e64 v16, s[0:1], s20, v16
	v_addc_co_u32_e64 v17, s[0:1], v17, v19, s[0:1]
	s_or_b64 s[10:11], vcc, s[10:11]
	v_mov_b32_e32 v19, v18
	s_andn2_b64 exec, exec, s[10:11]
	s_cbranch_execz .LBB178_27
.LBB178_12:                             ; =>This Inner Loop Header: Depth=1
	global_load_dword v20, v[16:17], off
	s_mov_b64 s[0:1], -1
	s_and_b64 vcc, exec, s[6:7]
	s_cbranch_vccz .LBB178_25
; %bb.13:                               ;   in Loop: Header=BB178_12 Depth=1
	s_and_b64 vcc, exec, s[14:15]
                                        ; implicit-def: $vgpr18
	s_cbranch_vccz .LBB178_22
; %bb.14:                               ;   in Loop: Header=BB178_12 Depth=1
	s_cmp_lt_i32 s22, 4
                                        ; implicit-def: $vgpr18
	s_cbranch_scc1 .LBB178_18
; %bb.15:                               ;   in Loop: Header=BB178_12 Depth=1
	s_cmp_eq_u32 s22, 4
	v_mov_b32_e32 v18, v19
	s_cbranch_scc0 .LBB178_17
; %bb.16:                               ;   in Loop: Header=BB178_12 Depth=1
	s_waitcnt vmcnt(0)
	v_mul_f32_e32 v18, v20, v19
.LBB178_17:                             ;   in Loop: Header=BB178_12 Depth=1
	s_mov_b64 s[0:1], 0
.LBB178_18:                             ;   in Loop: Header=BB178_12 Depth=1
	s_andn2_b64 vcc, exec, s[0:1]
	s_cbranch_vccnz .LBB178_21
; %bb.19:                               ;   in Loop: Header=BB178_12 Depth=1
	s_cmp_lg_u32 s22, 2
	v_mov_b32_e32 v18, v19
	s_cbranch_scc1 .LBB178_21
; %bb.20:                               ;   in Loop: Header=BB178_12 Depth=1
	s_waitcnt vmcnt(0)
	v_cmp_u_f32_e32 vcc, v20, v20
	v_cmp_lt_f32_e64 s[0:1], v20, v19
	s_or_b64 vcc, vcc, s[0:1]
	v_cndmask_b32_e32 v18, v19, v20, vcc
.LBB178_21:                             ;   in Loop: Header=BB178_12 Depth=1
	s_mov_b64 s[0:1], 0
.LBB178_22:                             ;   in Loop: Header=BB178_12 Depth=1
	s_and_b64 vcc, exec, s[0:1]
	s_cbranch_vccz .LBB178_24
; %bb.23:                               ;   in Loop: Header=BB178_12 Depth=1
	s_waitcnt vmcnt(0)
	v_add_f32_e32 v18, v20, v19
.LBB178_24:                             ;   in Loop: Header=BB178_12 Depth=1
	s_cbranch_execnz .LBB178_11
	s_branch .LBB178_26
.LBB178_25:                             ;   in Loop: Header=BB178_12 Depth=1
                                        ; implicit-def: $vgpr18
	s_andn2_b64 vcc, exec, s[0:1]
	s_cbranch_vccnz .LBB178_11
.LBB178_26:                             ;   in Loop: Header=BB178_12 Depth=1
	s_waitcnt vmcnt(0)
	v_cmp_u_f32_e32 vcc, v20, v20
	v_cmp_lt_f32_e64 s[0:1], v19, v20
	s_or_b64 vcc, vcc, s[0:1]
	v_cndmask_b32_e32 v18, v19, v20, vcc
	s_branch .LBB178_11
.LBB178_27:
	s_or_b64 exec, exec, s[10:11]
.LBB178_28:
	s_or_b64 exec, exec, s[4:5]
	v_mul_lo_u32 v2, v13, s38
	v_mul_lo_u32 v3, v12, s39
	v_mad_u64_u32 v[0:1], s[0:1], v12, s38, 0
	v_add3_u32 v1, v1, v3, v2
	v_lshlrev_b64 v[0:1], 3, v[0:1]
	v_mov_b32_e32 v2, s13
	v_add_co_u32_e32 v0, vcc, s12, v0
	v_addc_co_u32_e32 v1, vcc, v2, v1, vcc
	v_add_co_u32_e32 v0, vcc, v0, v14
	v_addc_co_u32_e32 v1, vcc, v1, v15, vcc
	global_load_dwordx2 v[0:1], v[0:1], off
	s_waitcnt vmcnt(0)
	v_cmp_lt_i64_e32 vcc, -1, v[0:1]
	s_and_saveexec_b64 s[0:1], vcc
	s_xor_b64 s[0:1], exec, s[0:1]
	s_cbranch_execz .LBB178_34
; %bb.29:
	s_bitcmp1_b32 s2, 0
	v_cmp_ne_u64_e32 vcc, 0, v[0:1]
	s_cselect_b64 s[2:3], -1, 0
	s_or_b64 s[2:3], s[2:3], vcc
	s_cmp_lg_u32 s22, 1
	s_cselect_b64 s[4:5], -1, 0
	s_or_b64 s[6:7], s[4:5], s[2:3]
	v_mov_b32_e32 v2, 0x7fc00000
	s_and_saveexec_b64 s[2:3], s[6:7]
	s_cbranch_execz .LBB178_33
; %bb.30:
	v_cmp_ne_u64_e32 vcc, 0, v[0:1]
	s_xor_b64 s[4:5], s[4:5], -1
	s_and_b64 s[4:5], s[4:5], vcc
	v_cmp_o_f32_e32 vcc, v18, v18
	s_and_b64 s[6:7], s[4:5], vcc
	s_and_saveexec_b64 s[4:5], s[6:7]
	s_cbranch_execz .LBB178_32
; %bb.31:
	v_ffbh_u32_e32 v2, v1
	v_min_u32_e32 v2, 32, v2
	v_lshlrev_b64 v[0:1], v2, v[0:1]
	v_min_u32_e32 v0, 1, v0
	v_or_b32_e32 v0, v1, v0
	v_cvt_f32_u32_e32 v0, v0
	v_sub_u32_e32 v1, 32, v2
	v_ldexp_f32 v0, v0, v1
	v_div_scale_f32 v1, s[6:7], v0, v0, v18
	v_div_scale_f32 v2, vcc, v18, v0, v18
	v_rcp_f32_e32 v3, v1
	v_fma_f32 v12, -v1, v3, 1.0
	v_fmac_f32_e32 v3, v12, v3
	v_mul_f32_e32 v12, v2, v3
	v_fma_f32 v13, -v1, v12, v2
	v_fmac_f32_e32 v12, v13, v3
	v_fma_f32 v1, -v1, v12, v2
	v_div_fmas_f32 v1, v1, v3, v12
	v_div_fixup_f32 v18, v1, v0, v18
.LBB178_32:
	s_or_b64 exec, exec, s[4:5]
	v_mov_b32_e32 v2, v18
.LBB178_33:
	s_or_b64 exec, exec, s[2:3]
	s_mul_i32 s2, s18, s17
	s_mul_hi_u32 s3, s18, s16
	s_add_i32 s2, s3, s2
	s_mul_i32 s3, s19, s16
	s_add_i32 s2, s2, s3
	s_mul_i32 s3, s18, s16
	v_mul_lo_u32 v12, s2, v6
	v_mul_lo_u32 v13, s3, v7
	v_mad_u64_u32 v[0:1], s[2:3], s3, v6, 0
	v_mul_lo_u32 v9, v9, s16
	v_mul_lo_u32 v14, v8, s17
	v_mad_u64_u32 v[6:7], s[2:3], v8, s16, 0
	v_add3_u32 v1, v1, v13, v12
	v_sub_co_u32_e32 v3, vcc, v4, v10
	v_lshlrev_b64 v[0:1], 2, v[0:1]
	v_subb_co_u32_e32 v4, vcc, v5, v11, vcc
	v_add3_u32 v7, v7, v14, v9
	v_mov_b32_e32 v5, s9
	v_add_co_u32_e32 v8, vcc, s8, v0
	v_addc_co_u32_e32 v5, vcc, v5, v1, vcc
	v_lshlrev_b64 v[0:1], 2, v[6:7]
	v_add_co_u32_e32 v6, vcc, v8, v0
	v_addc_co_u32_e32 v5, vcc, v5, v1, vcc
	v_lshlrev_b64 v[0:1], 2, v[3:4]
	v_add_co_u32_e32 v0, vcc, v6, v0
	v_addc_co_u32_e32 v1, vcc, v5, v1, vcc
	global_store_dword v[0:1], v2, off
.LBB178_34:
	s_andn2_saveexec_b64 s[0:1], s[0:1]
	s_cbranch_execnz .LBB178_36
.LBB178_35:
	s_endpgm
.LBB178_36:
	s_trap 2
	; divergent unreachable
	s_endpgm
	.section	.rodata,"a",@progbits
	.p2align	6, 0x0
	.amdhsa_kernel _ZN2at6native12_GLOBAL__N_129segment_reduce_forward_kernelIflEEvNS0_13ReductionTypeEPT_PKS4_PKT0_SA_llbS4_lllllll
		.amdhsa_group_segment_fixed_size 0
		.amdhsa_private_segment_fixed_size 0
		.amdhsa_kernarg_size 376
		.amdhsa_user_sgpr_count 6
		.amdhsa_user_sgpr_private_segment_buffer 1
		.amdhsa_user_sgpr_dispatch_ptr 0
		.amdhsa_user_sgpr_queue_ptr 0
		.amdhsa_user_sgpr_kernarg_segment_ptr 1
		.amdhsa_user_sgpr_dispatch_id 0
		.amdhsa_user_sgpr_flat_scratch_init 0
		.amdhsa_user_sgpr_private_segment_size 0
		.amdhsa_uses_dynamic_stack 0
		.amdhsa_system_sgpr_private_segment_wavefront_offset 0
		.amdhsa_system_sgpr_workgroup_id_x 1
		.amdhsa_system_sgpr_workgroup_id_y 0
		.amdhsa_system_sgpr_workgroup_id_z 0
		.amdhsa_system_sgpr_workgroup_info 0
		.amdhsa_system_vgpr_workitem_id 0
		.amdhsa_next_free_vgpr 21
		.amdhsa_next_free_sgpr 42
		.amdhsa_reserve_vcc 1
		.amdhsa_reserve_flat_scratch 0
		.amdhsa_float_round_mode_32 0
		.amdhsa_float_round_mode_16_64 0
		.amdhsa_float_denorm_mode_32 3
		.amdhsa_float_denorm_mode_16_64 3
		.amdhsa_dx10_clamp 1
		.amdhsa_ieee_mode 1
		.amdhsa_fp16_overflow 0
		.amdhsa_exception_fp_ieee_invalid_op 0
		.amdhsa_exception_fp_denorm_src 0
		.amdhsa_exception_fp_ieee_div_zero 0
		.amdhsa_exception_fp_ieee_overflow 0
		.amdhsa_exception_fp_ieee_underflow 0
		.amdhsa_exception_fp_ieee_inexact 0
		.amdhsa_exception_int_div_zero 0
	.end_amdhsa_kernel
	.section	.text._ZN2at6native12_GLOBAL__N_129segment_reduce_forward_kernelIflEEvNS0_13ReductionTypeEPT_PKS4_PKT0_SA_llbS4_lllllll,"axG",@progbits,_ZN2at6native12_GLOBAL__N_129segment_reduce_forward_kernelIflEEvNS0_13ReductionTypeEPT_PKS4_PKT0_SA_llbS4_lllllll,comdat
.Lfunc_end178:
	.size	_ZN2at6native12_GLOBAL__N_129segment_reduce_forward_kernelIflEEvNS0_13ReductionTypeEPT_PKS4_PKT0_SA_llbS4_lllllll, .Lfunc_end178-_ZN2at6native12_GLOBAL__N_129segment_reduce_forward_kernelIflEEvNS0_13ReductionTypeEPT_PKS4_PKT0_SA_llbS4_lllllll
                                        ; -- End function
	.set _ZN2at6native12_GLOBAL__N_129segment_reduce_forward_kernelIflEEvNS0_13ReductionTypeEPT_PKS4_PKT0_SA_llbS4_lllllll.num_vgpr, 21
	.set _ZN2at6native12_GLOBAL__N_129segment_reduce_forward_kernelIflEEvNS0_13ReductionTypeEPT_PKS4_PKT0_SA_llbS4_lllllll.num_agpr, 0
	.set _ZN2at6native12_GLOBAL__N_129segment_reduce_forward_kernelIflEEvNS0_13ReductionTypeEPT_PKS4_PKT0_SA_llbS4_lllllll.numbered_sgpr, 42
	.set _ZN2at6native12_GLOBAL__N_129segment_reduce_forward_kernelIflEEvNS0_13ReductionTypeEPT_PKS4_PKT0_SA_llbS4_lllllll.num_named_barrier, 0
	.set _ZN2at6native12_GLOBAL__N_129segment_reduce_forward_kernelIflEEvNS0_13ReductionTypeEPT_PKS4_PKT0_SA_llbS4_lllllll.private_seg_size, 0
	.set _ZN2at6native12_GLOBAL__N_129segment_reduce_forward_kernelIflEEvNS0_13ReductionTypeEPT_PKS4_PKT0_SA_llbS4_lllllll.uses_vcc, 1
	.set _ZN2at6native12_GLOBAL__N_129segment_reduce_forward_kernelIflEEvNS0_13ReductionTypeEPT_PKS4_PKT0_SA_llbS4_lllllll.uses_flat_scratch, 0
	.set _ZN2at6native12_GLOBAL__N_129segment_reduce_forward_kernelIflEEvNS0_13ReductionTypeEPT_PKS4_PKT0_SA_llbS4_lllllll.has_dyn_sized_stack, 0
	.set _ZN2at6native12_GLOBAL__N_129segment_reduce_forward_kernelIflEEvNS0_13ReductionTypeEPT_PKS4_PKT0_SA_llbS4_lllllll.has_recursion, 0
	.set _ZN2at6native12_GLOBAL__N_129segment_reduce_forward_kernelIflEEvNS0_13ReductionTypeEPT_PKS4_PKT0_SA_llbS4_lllllll.has_indirect_call, 0
	.section	.AMDGPU.csdata,"",@progbits
; Kernel info:
; codeLenInByte = 2700
; TotalNumSgprs: 46
; NumVgprs: 21
; ScratchSize: 0
; MemoryBound: 0
; FloatMode: 240
; IeeeMode: 1
; LDSByteSize: 0 bytes/workgroup (compile time only)
; SGPRBlocks: 5
; VGPRBlocks: 5
; NumSGPRsForWavesPerEU: 46
; NumVGPRsForWavesPerEU: 21
; Occupancy: 10
; WaveLimiterHint : 0
; COMPUTE_PGM_RSRC2:SCRATCH_EN: 0
; COMPUTE_PGM_RSRC2:USER_SGPR: 6
; COMPUTE_PGM_RSRC2:TRAP_HANDLER: 0
; COMPUTE_PGM_RSRC2:TGID_X_EN: 1
; COMPUTE_PGM_RSRC2:TGID_Y_EN: 0
; COMPUTE_PGM_RSRC2:TGID_Z_EN: 0
; COMPUTE_PGM_RSRC2:TIDIG_COMP_CNT: 0
	.section	.text._ZN7rocprim17ROCPRIM_400000_NS6detail17trampoline_kernelINS0_14default_configENS1_32segmented_reduce_config_selectorIfEEZNS1_21segmented_reduce_implIS3_PKfPfPKlfN6hipcub16HIPCUB_304000_NS6detail27convert_result_type_wrapperIS8_S9_N2at6native12_GLOBAL__N_19CustomMaxEEEEE10hipError_tPvRmT0_T1_jT2_SQ_T4_T3_P12ihipStream_tbEUlT_E_NS1_11comp_targetILNS1_3genE0ELNS1_11target_archE4294967295ELNS1_3gpuE0ELNS1_3repE0EEENS1_30default_config_static_selectorELNS0_4arch9wavefront6targetE1EEEvSP_,"axG",@progbits,_ZN7rocprim17ROCPRIM_400000_NS6detail17trampoline_kernelINS0_14default_configENS1_32segmented_reduce_config_selectorIfEEZNS1_21segmented_reduce_implIS3_PKfPfPKlfN6hipcub16HIPCUB_304000_NS6detail27convert_result_type_wrapperIS8_S9_N2at6native12_GLOBAL__N_19CustomMaxEEEEE10hipError_tPvRmT0_T1_jT2_SQ_T4_T3_P12ihipStream_tbEUlT_E_NS1_11comp_targetILNS1_3genE0ELNS1_11target_archE4294967295ELNS1_3gpuE0ELNS1_3repE0EEENS1_30default_config_static_selectorELNS0_4arch9wavefront6targetE1EEEvSP_,comdat
	.globl	_ZN7rocprim17ROCPRIM_400000_NS6detail17trampoline_kernelINS0_14default_configENS1_32segmented_reduce_config_selectorIfEEZNS1_21segmented_reduce_implIS3_PKfPfPKlfN6hipcub16HIPCUB_304000_NS6detail27convert_result_type_wrapperIS8_S9_N2at6native12_GLOBAL__N_19CustomMaxEEEEE10hipError_tPvRmT0_T1_jT2_SQ_T4_T3_P12ihipStream_tbEUlT_E_NS1_11comp_targetILNS1_3genE0ELNS1_11target_archE4294967295ELNS1_3gpuE0ELNS1_3repE0EEENS1_30default_config_static_selectorELNS0_4arch9wavefront6targetE1EEEvSP_ ; -- Begin function _ZN7rocprim17ROCPRIM_400000_NS6detail17trampoline_kernelINS0_14default_configENS1_32segmented_reduce_config_selectorIfEEZNS1_21segmented_reduce_implIS3_PKfPfPKlfN6hipcub16HIPCUB_304000_NS6detail27convert_result_type_wrapperIS8_S9_N2at6native12_GLOBAL__N_19CustomMaxEEEEE10hipError_tPvRmT0_T1_jT2_SQ_T4_T3_P12ihipStream_tbEUlT_E_NS1_11comp_targetILNS1_3genE0ELNS1_11target_archE4294967295ELNS1_3gpuE0ELNS1_3repE0EEENS1_30default_config_static_selectorELNS0_4arch9wavefront6targetE1EEEvSP_
	.p2align	8
	.type	_ZN7rocprim17ROCPRIM_400000_NS6detail17trampoline_kernelINS0_14default_configENS1_32segmented_reduce_config_selectorIfEEZNS1_21segmented_reduce_implIS3_PKfPfPKlfN6hipcub16HIPCUB_304000_NS6detail27convert_result_type_wrapperIS8_S9_N2at6native12_GLOBAL__N_19CustomMaxEEEEE10hipError_tPvRmT0_T1_jT2_SQ_T4_T3_P12ihipStream_tbEUlT_E_NS1_11comp_targetILNS1_3genE0ELNS1_11target_archE4294967295ELNS1_3gpuE0ELNS1_3repE0EEENS1_30default_config_static_selectorELNS0_4arch9wavefront6targetE1EEEvSP_,@function
_ZN7rocprim17ROCPRIM_400000_NS6detail17trampoline_kernelINS0_14default_configENS1_32segmented_reduce_config_selectorIfEEZNS1_21segmented_reduce_implIS3_PKfPfPKlfN6hipcub16HIPCUB_304000_NS6detail27convert_result_type_wrapperIS8_S9_N2at6native12_GLOBAL__N_19CustomMaxEEEEE10hipError_tPvRmT0_T1_jT2_SQ_T4_T3_P12ihipStream_tbEUlT_E_NS1_11comp_targetILNS1_3genE0ELNS1_11target_archE4294967295ELNS1_3gpuE0ELNS1_3repE0EEENS1_30default_config_static_selectorELNS0_4arch9wavefront6targetE1EEEvSP_: ; @_ZN7rocprim17ROCPRIM_400000_NS6detail17trampoline_kernelINS0_14default_configENS1_32segmented_reduce_config_selectorIfEEZNS1_21segmented_reduce_implIS3_PKfPfPKlfN6hipcub16HIPCUB_304000_NS6detail27convert_result_type_wrapperIS8_S9_N2at6native12_GLOBAL__N_19CustomMaxEEEEE10hipError_tPvRmT0_T1_jT2_SQ_T4_T3_P12ihipStream_tbEUlT_E_NS1_11comp_targetILNS1_3genE0ELNS1_11target_archE4294967295ELNS1_3gpuE0ELNS1_3repE0EEENS1_30default_config_static_selectorELNS0_4arch9wavefront6targetE1EEEvSP_
; %bb.0:
	.section	.rodata,"a",@progbits
	.p2align	6, 0x0
	.amdhsa_kernel _ZN7rocprim17ROCPRIM_400000_NS6detail17trampoline_kernelINS0_14default_configENS1_32segmented_reduce_config_selectorIfEEZNS1_21segmented_reduce_implIS3_PKfPfPKlfN6hipcub16HIPCUB_304000_NS6detail27convert_result_type_wrapperIS8_S9_N2at6native12_GLOBAL__N_19CustomMaxEEEEE10hipError_tPvRmT0_T1_jT2_SQ_T4_T3_P12ihipStream_tbEUlT_E_NS1_11comp_targetILNS1_3genE0ELNS1_11target_archE4294967295ELNS1_3gpuE0ELNS1_3repE0EEENS1_30default_config_static_selectorELNS0_4arch9wavefront6targetE1EEEvSP_
		.amdhsa_group_segment_fixed_size 0
		.amdhsa_private_segment_fixed_size 0
		.amdhsa_kernarg_size 48
		.amdhsa_user_sgpr_count 6
		.amdhsa_user_sgpr_private_segment_buffer 1
		.amdhsa_user_sgpr_dispatch_ptr 0
		.amdhsa_user_sgpr_queue_ptr 0
		.amdhsa_user_sgpr_kernarg_segment_ptr 1
		.amdhsa_user_sgpr_dispatch_id 0
		.amdhsa_user_sgpr_flat_scratch_init 0
		.amdhsa_user_sgpr_private_segment_size 0
		.amdhsa_uses_dynamic_stack 0
		.amdhsa_system_sgpr_private_segment_wavefront_offset 0
		.amdhsa_system_sgpr_workgroup_id_x 1
		.amdhsa_system_sgpr_workgroup_id_y 0
		.amdhsa_system_sgpr_workgroup_id_z 0
		.amdhsa_system_sgpr_workgroup_info 0
		.amdhsa_system_vgpr_workitem_id 0
		.amdhsa_next_free_vgpr 1
		.amdhsa_next_free_sgpr 0
		.amdhsa_reserve_vcc 0
		.amdhsa_reserve_flat_scratch 0
		.amdhsa_float_round_mode_32 0
		.amdhsa_float_round_mode_16_64 0
		.amdhsa_float_denorm_mode_32 3
		.amdhsa_float_denorm_mode_16_64 3
		.amdhsa_dx10_clamp 1
		.amdhsa_ieee_mode 1
		.amdhsa_fp16_overflow 0
		.amdhsa_exception_fp_ieee_invalid_op 0
		.amdhsa_exception_fp_denorm_src 0
		.amdhsa_exception_fp_ieee_div_zero 0
		.amdhsa_exception_fp_ieee_overflow 0
		.amdhsa_exception_fp_ieee_underflow 0
		.amdhsa_exception_fp_ieee_inexact 0
		.amdhsa_exception_int_div_zero 0
	.end_amdhsa_kernel
	.section	.text._ZN7rocprim17ROCPRIM_400000_NS6detail17trampoline_kernelINS0_14default_configENS1_32segmented_reduce_config_selectorIfEEZNS1_21segmented_reduce_implIS3_PKfPfPKlfN6hipcub16HIPCUB_304000_NS6detail27convert_result_type_wrapperIS8_S9_N2at6native12_GLOBAL__N_19CustomMaxEEEEE10hipError_tPvRmT0_T1_jT2_SQ_T4_T3_P12ihipStream_tbEUlT_E_NS1_11comp_targetILNS1_3genE0ELNS1_11target_archE4294967295ELNS1_3gpuE0ELNS1_3repE0EEENS1_30default_config_static_selectorELNS0_4arch9wavefront6targetE1EEEvSP_,"axG",@progbits,_ZN7rocprim17ROCPRIM_400000_NS6detail17trampoline_kernelINS0_14default_configENS1_32segmented_reduce_config_selectorIfEEZNS1_21segmented_reduce_implIS3_PKfPfPKlfN6hipcub16HIPCUB_304000_NS6detail27convert_result_type_wrapperIS8_S9_N2at6native12_GLOBAL__N_19CustomMaxEEEEE10hipError_tPvRmT0_T1_jT2_SQ_T4_T3_P12ihipStream_tbEUlT_E_NS1_11comp_targetILNS1_3genE0ELNS1_11target_archE4294967295ELNS1_3gpuE0ELNS1_3repE0EEENS1_30default_config_static_selectorELNS0_4arch9wavefront6targetE1EEEvSP_,comdat
.Lfunc_end179:
	.size	_ZN7rocprim17ROCPRIM_400000_NS6detail17trampoline_kernelINS0_14default_configENS1_32segmented_reduce_config_selectorIfEEZNS1_21segmented_reduce_implIS3_PKfPfPKlfN6hipcub16HIPCUB_304000_NS6detail27convert_result_type_wrapperIS8_S9_N2at6native12_GLOBAL__N_19CustomMaxEEEEE10hipError_tPvRmT0_T1_jT2_SQ_T4_T3_P12ihipStream_tbEUlT_E_NS1_11comp_targetILNS1_3genE0ELNS1_11target_archE4294967295ELNS1_3gpuE0ELNS1_3repE0EEENS1_30default_config_static_selectorELNS0_4arch9wavefront6targetE1EEEvSP_, .Lfunc_end179-_ZN7rocprim17ROCPRIM_400000_NS6detail17trampoline_kernelINS0_14default_configENS1_32segmented_reduce_config_selectorIfEEZNS1_21segmented_reduce_implIS3_PKfPfPKlfN6hipcub16HIPCUB_304000_NS6detail27convert_result_type_wrapperIS8_S9_N2at6native12_GLOBAL__N_19CustomMaxEEEEE10hipError_tPvRmT0_T1_jT2_SQ_T4_T3_P12ihipStream_tbEUlT_E_NS1_11comp_targetILNS1_3genE0ELNS1_11target_archE4294967295ELNS1_3gpuE0ELNS1_3repE0EEENS1_30default_config_static_selectorELNS0_4arch9wavefront6targetE1EEEvSP_
                                        ; -- End function
	.set _ZN7rocprim17ROCPRIM_400000_NS6detail17trampoline_kernelINS0_14default_configENS1_32segmented_reduce_config_selectorIfEEZNS1_21segmented_reduce_implIS3_PKfPfPKlfN6hipcub16HIPCUB_304000_NS6detail27convert_result_type_wrapperIS8_S9_N2at6native12_GLOBAL__N_19CustomMaxEEEEE10hipError_tPvRmT0_T1_jT2_SQ_T4_T3_P12ihipStream_tbEUlT_E_NS1_11comp_targetILNS1_3genE0ELNS1_11target_archE4294967295ELNS1_3gpuE0ELNS1_3repE0EEENS1_30default_config_static_selectorELNS0_4arch9wavefront6targetE1EEEvSP_.num_vgpr, 0
	.set _ZN7rocprim17ROCPRIM_400000_NS6detail17trampoline_kernelINS0_14default_configENS1_32segmented_reduce_config_selectorIfEEZNS1_21segmented_reduce_implIS3_PKfPfPKlfN6hipcub16HIPCUB_304000_NS6detail27convert_result_type_wrapperIS8_S9_N2at6native12_GLOBAL__N_19CustomMaxEEEEE10hipError_tPvRmT0_T1_jT2_SQ_T4_T3_P12ihipStream_tbEUlT_E_NS1_11comp_targetILNS1_3genE0ELNS1_11target_archE4294967295ELNS1_3gpuE0ELNS1_3repE0EEENS1_30default_config_static_selectorELNS0_4arch9wavefront6targetE1EEEvSP_.num_agpr, 0
	.set _ZN7rocprim17ROCPRIM_400000_NS6detail17trampoline_kernelINS0_14default_configENS1_32segmented_reduce_config_selectorIfEEZNS1_21segmented_reduce_implIS3_PKfPfPKlfN6hipcub16HIPCUB_304000_NS6detail27convert_result_type_wrapperIS8_S9_N2at6native12_GLOBAL__N_19CustomMaxEEEEE10hipError_tPvRmT0_T1_jT2_SQ_T4_T3_P12ihipStream_tbEUlT_E_NS1_11comp_targetILNS1_3genE0ELNS1_11target_archE4294967295ELNS1_3gpuE0ELNS1_3repE0EEENS1_30default_config_static_selectorELNS0_4arch9wavefront6targetE1EEEvSP_.numbered_sgpr, 0
	.set _ZN7rocprim17ROCPRIM_400000_NS6detail17trampoline_kernelINS0_14default_configENS1_32segmented_reduce_config_selectorIfEEZNS1_21segmented_reduce_implIS3_PKfPfPKlfN6hipcub16HIPCUB_304000_NS6detail27convert_result_type_wrapperIS8_S9_N2at6native12_GLOBAL__N_19CustomMaxEEEEE10hipError_tPvRmT0_T1_jT2_SQ_T4_T3_P12ihipStream_tbEUlT_E_NS1_11comp_targetILNS1_3genE0ELNS1_11target_archE4294967295ELNS1_3gpuE0ELNS1_3repE0EEENS1_30default_config_static_selectorELNS0_4arch9wavefront6targetE1EEEvSP_.num_named_barrier, 0
	.set _ZN7rocprim17ROCPRIM_400000_NS6detail17trampoline_kernelINS0_14default_configENS1_32segmented_reduce_config_selectorIfEEZNS1_21segmented_reduce_implIS3_PKfPfPKlfN6hipcub16HIPCUB_304000_NS6detail27convert_result_type_wrapperIS8_S9_N2at6native12_GLOBAL__N_19CustomMaxEEEEE10hipError_tPvRmT0_T1_jT2_SQ_T4_T3_P12ihipStream_tbEUlT_E_NS1_11comp_targetILNS1_3genE0ELNS1_11target_archE4294967295ELNS1_3gpuE0ELNS1_3repE0EEENS1_30default_config_static_selectorELNS0_4arch9wavefront6targetE1EEEvSP_.private_seg_size, 0
	.set _ZN7rocprim17ROCPRIM_400000_NS6detail17trampoline_kernelINS0_14default_configENS1_32segmented_reduce_config_selectorIfEEZNS1_21segmented_reduce_implIS3_PKfPfPKlfN6hipcub16HIPCUB_304000_NS6detail27convert_result_type_wrapperIS8_S9_N2at6native12_GLOBAL__N_19CustomMaxEEEEE10hipError_tPvRmT0_T1_jT2_SQ_T4_T3_P12ihipStream_tbEUlT_E_NS1_11comp_targetILNS1_3genE0ELNS1_11target_archE4294967295ELNS1_3gpuE0ELNS1_3repE0EEENS1_30default_config_static_selectorELNS0_4arch9wavefront6targetE1EEEvSP_.uses_vcc, 0
	.set _ZN7rocprim17ROCPRIM_400000_NS6detail17trampoline_kernelINS0_14default_configENS1_32segmented_reduce_config_selectorIfEEZNS1_21segmented_reduce_implIS3_PKfPfPKlfN6hipcub16HIPCUB_304000_NS6detail27convert_result_type_wrapperIS8_S9_N2at6native12_GLOBAL__N_19CustomMaxEEEEE10hipError_tPvRmT0_T1_jT2_SQ_T4_T3_P12ihipStream_tbEUlT_E_NS1_11comp_targetILNS1_3genE0ELNS1_11target_archE4294967295ELNS1_3gpuE0ELNS1_3repE0EEENS1_30default_config_static_selectorELNS0_4arch9wavefront6targetE1EEEvSP_.uses_flat_scratch, 0
	.set _ZN7rocprim17ROCPRIM_400000_NS6detail17trampoline_kernelINS0_14default_configENS1_32segmented_reduce_config_selectorIfEEZNS1_21segmented_reduce_implIS3_PKfPfPKlfN6hipcub16HIPCUB_304000_NS6detail27convert_result_type_wrapperIS8_S9_N2at6native12_GLOBAL__N_19CustomMaxEEEEE10hipError_tPvRmT0_T1_jT2_SQ_T4_T3_P12ihipStream_tbEUlT_E_NS1_11comp_targetILNS1_3genE0ELNS1_11target_archE4294967295ELNS1_3gpuE0ELNS1_3repE0EEENS1_30default_config_static_selectorELNS0_4arch9wavefront6targetE1EEEvSP_.has_dyn_sized_stack, 0
	.set _ZN7rocprim17ROCPRIM_400000_NS6detail17trampoline_kernelINS0_14default_configENS1_32segmented_reduce_config_selectorIfEEZNS1_21segmented_reduce_implIS3_PKfPfPKlfN6hipcub16HIPCUB_304000_NS6detail27convert_result_type_wrapperIS8_S9_N2at6native12_GLOBAL__N_19CustomMaxEEEEE10hipError_tPvRmT0_T1_jT2_SQ_T4_T3_P12ihipStream_tbEUlT_E_NS1_11comp_targetILNS1_3genE0ELNS1_11target_archE4294967295ELNS1_3gpuE0ELNS1_3repE0EEENS1_30default_config_static_selectorELNS0_4arch9wavefront6targetE1EEEvSP_.has_recursion, 0
	.set _ZN7rocprim17ROCPRIM_400000_NS6detail17trampoline_kernelINS0_14default_configENS1_32segmented_reduce_config_selectorIfEEZNS1_21segmented_reduce_implIS3_PKfPfPKlfN6hipcub16HIPCUB_304000_NS6detail27convert_result_type_wrapperIS8_S9_N2at6native12_GLOBAL__N_19CustomMaxEEEEE10hipError_tPvRmT0_T1_jT2_SQ_T4_T3_P12ihipStream_tbEUlT_E_NS1_11comp_targetILNS1_3genE0ELNS1_11target_archE4294967295ELNS1_3gpuE0ELNS1_3repE0EEENS1_30default_config_static_selectorELNS0_4arch9wavefront6targetE1EEEvSP_.has_indirect_call, 0
	.section	.AMDGPU.csdata,"",@progbits
; Kernel info:
; codeLenInByte = 0
; TotalNumSgprs: 4
; NumVgprs: 0
; ScratchSize: 0
; MemoryBound: 0
; FloatMode: 240
; IeeeMode: 1
; LDSByteSize: 0 bytes/workgroup (compile time only)
; SGPRBlocks: 0
; VGPRBlocks: 0
; NumSGPRsForWavesPerEU: 4
; NumVGPRsForWavesPerEU: 1
; Occupancy: 10
; WaveLimiterHint : 0
; COMPUTE_PGM_RSRC2:SCRATCH_EN: 0
; COMPUTE_PGM_RSRC2:USER_SGPR: 6
; COMPUTE_PGM_RSRC2:TRAP_HANDLER: 0
; COMPUTE_PGM_RSRC2:TGID_X_EN: 1
; COMPUTE_PGM_RSRC2:TGID_Y_EN: 0
; COMPUTE_PGM_RSRC2:TGID_Z_EN: 0
; COMPUTE_PGM_RSRC2:TIDIG_COMP_CNT: 0
	.section	.text._ZN7rocprim17ROCPRIM_400000_NS6detail17trampoline_kernelINS0_14default_configENS1_32segmented_reduce_config_selectorIfEEZNS1_21segmented_reduce_implIS3_PKfPfPKlfN6hipcub16HIPCUB_304000_NS6detail27convert_result_type_wrapperIS8_S9_N2at6native12_GLOBAL__N_19CustomMaxEEEEE10hipError_tPvRmT0_T1_jT2_SQ_T4_T3_P12ihipStream_tbEUlT_E_NS1_11comp_targetILNS1_3genE5ELNS1_11target_archE942ELNS1_3gpuE9ELNS1_3repE0EEENS1_30default_config_static_selectorELNS0_4arch9wavefront6targetE1EEEvSP_,"axG",@progbits,_ZN7rocprim17ROCPRIM_400000_NS6detail17trampoline_kernelINS0_14default_configENS1_32segmented_reduce_config_selectorIfEEZNS1_21segmented_reduce_implIS3_PKfPfPKlfN6hipcub16HIPCUB_304000_NS6detail27convert_result_type_wrapperIS8_S9_N2at6native12_GLOBAL__N_19CustomMaxEEEEE10hipError_tPvRmT0_T1_jT2_SQ_T4_T3_P12ihipStream_tbEUlT_E_NS1_11comp_targetILNS1_3genE5ELNS1_11target_archE942ELNS1_3gpuE9ELNS1_3repE0EEENS1_30default_config_static_selectorELNS0_4arch9wavefront6targetE1EEEvSP_,comdat
	.globl	_ZN7rocprim17ROCPRIM_400000_NS6detail17trampoline_kernelINS0_14default_configENS1_32segmented_reduce_config_selectorIfEEZNS1_21segmented_reduce_implIS3_PKfPfPKlfN6hipcub16HIPCUB_304000_NS6detail27convert_result_type_wrapperIS8_S9_N2at6native12_GLOBAL__N_19CustomMaxEEEEE10hipError_tPvRmT0_T1_jT2_SQ_T4_T3_P12ihipStream_tbEUlT_E_NS1_11comp_targetILNS1_3genE5ELNS1_11target_archE942ELNS1_3gpuE9ELNS1_3repE0EEENS1_30default_config_static_selectorELNS0_4arch9wavefront6targetE1EEEvSP_ ; -- Begin function _ZN7rocprim17ROCPRIM_400000_NS6detail17trampoline_kernelINS0_14default_configENS1_32segmented_reduce_config_selectorIfEEZNS1_21segmented_reduce_implIS3_PKfPfPKlfN6hipcub16HIPCUB_304000_NS6detail27convert_result_type_wrapperIS8_S9_N2at6native12_GLOBAL__N_19CustomMaxEEEEE10hipError_tPvRmT0_T1_jT2_SQ_T4_T3_P12ihipStream_tbEUlT_E_NS1_11comp_targetILNS1_3genE5ELNS1_11target_archE942ELNS1_3gpuE9ELNS1_3repE0EEENS1_30default_config_static_selectorELNS0_4arch9wavefront6targetE1EEEvSP_
	.p2align	8
	.type	_ZN7rocprim17ROCPRIM_400000_NS6detail17trampoline_kernelINS0_14default_configENS1_32segmented_reduce_config_selectorIfEEZNS1_21segmented_reduce_implIS3_PKfPfPKlfN6hipcub16HIPCUB_304000_NS6detail27convert_result_type_wrapperIS8_S9_N2at6native12_GLOBAL__N_19CustomMaxEEEEE10hipError_tPvRmT0_T1_jT2_SQ_T4_T3_P12ihipStream_tbEUlT_E_NS1_11comp_targetILNS1_3genE5ELNS1_11target_archE942ELNS1_3gpuE9ELNS1_3repE0EEENS1_30default_config_static_selectorELNS0_4arch9wavefront6targetE1EEEvSP_,@function
_ZN7rocprim17ROCPRIM_400000_NS6detail17trampoline_kernelINS0_14default_configENS1_32segmented_reduce_config_selectorIfEEZNS1_21segmented_reduce_implIS3_PKfPfPKlfN6hipcub16HIPCUB_304000_NS6detail27convert_result_type_wrapperIS8_S9_N2at6native12_GLOBAL__N_19CustomMaxEEEEE10hipError_tPvRmT0_T1_jT2_SQ_T4_T3_P12ihipStream_tbEUlT_E_NS1_11comp_targetILNS1_3genE5ELNS1_11target_archE942ELNS1_3gpuE9ELNS1_3repE0EEENS1_30default_config_static_selectorELNS0_4arch9wavefront6targetE1EEEvSP_: ; @_ZN7rocprim17ROCPRIM_400000_NS6detail17trampoline_kernelINS0_14default_configENS1_32segmented_reduce_config_selectorIfEEZNS1_21segmented_reduce_implIS3_PKfPfPKlfN6hipcub16HIPCUB_304000_NS6detail27convert_result_type_wrapperIS8_S9_N2at6native12_GLOBAL__N_19CustomMaxEEEEE10hipError_tPvRmT0_T1_jT2_SQ_T4_T3_P12ihipStream_tbEUlT_E_NS1_11comp_targetILNS1_3genE5ELNS1_11target_archE942ELNS1_3gpuE9ELNS1_3repE0EEENS1_30default_config_static_selectorELNS0_4arch9wavefront6targetE1EEEvSP_
; %bb.0:
	.section	.rodata,"a",@progbits
	.p2align	6, 0x0
	.amdhsa_kernel _ZN7rocprim17ROCPRIM_400000_NS6detail17trampoline_kernelINS0_14default_configENS1_32segmented_reduce_config_selectorIfEEZNS1_21segmented_reduce_implIS3_PKfPfPKlfN6hipcub16HIPCUB_304000_NS6detail27convert_result_type_wrapperIS8_S9_N2at6native12_GLOBAL__N_19CustomMaxEEEEE10hipError_tPvRmT0_T1_jT2_SQ_T4_T3_P12ihipStream_tbEUlT_E_NS1_11comp_targetILNS1_3genE5ELNS1_11target_archE942ELNS1_3gpuE9ELNS1_3repE0EEENS1_30default_config_static_selectorELNS0_4arch9wavefront6targetE1EEEvSP_
		.amdhsa_group_segment_fixed_size 0
		.amdhsa_private_segment_fixed_size 0
		.amdhsa_kernarg_size 48
		.amdhsa_user_sgpr_count 6
		.amdhsa_user_sgpr_private_segment_buffer 1
		.amdhsa_user_sgpr_dispatch_ptr 0
		.amdhsa_user_sgpr_queue_ptr 0
		.amdhsa_user_sgpr_kernarg_segment_ptr 1
		.amdhsa_user_sgpr_dispatch_id 0
		.amdhsa_user_sgpr_flat_scratch_init 0
		.amdhsa_user_sgpr_private_segment_size 0
		.amdhsa_uses_dynamic_stack 0
		.amdhsa_system_sgpr_private_segment_wavefront_offset 0
		.amdhsa_system_sgpr_workgroup_id_x 1
		.amdhsa_system_sgpr_workgroup_id_y 0
		.amdhsa_system_sgpr_workgroup_id_z 0
		.amdhsa_system_sgpr_workgroup_info 0
		.amdhsa_system_vgpr_workitem_id 0
		.amdhsa_next_free_vgpr 1
		.amdhsa_next_free_sgpr 0
		.amdhsa_reserve_vcc 0
		.amdhsa_reserve_flat_scratch 0
		.amdhsa_float_round_mode_32 0
		.amdhsa_float_round_mode_16_64 0
		.amdhsa_float_denorm_mode_32 3
		.amdhsa_float_denorm_mode_16_64 3
		.amdhsa_dx10_clamp 1
		.amdhsa_ieee_mode 1
		.amdhsa_fp16_overflow 0
		.amdhsa_exception_fp_ieee_invalid_op 0
		.amdhsa_exception_fp_denorm_src 0
		.amdhsa_exception_fp_ieee_div_zero 0
		.amdhsa_exception_fp_ieee_overflow 0
		.amdhsa_exception_fp_ieee_underflow 0
		.amdhsa_exception_fp_ieee_inexact 0
		.amdhsa_exception_int_div_zero 0
	.end_amdhsa_kernel
	.section	.text._ZN7rocprim17ROCPRIM_400000_NS6detail17trampoline_kernelINS0_14default_configENS1_32segmented_reduce_config_selectorIfEEZNS1_21segmented_reduce_implIS3_PKfPfPKlfN6hipcub16HIPCUB_304000_NS6detail27convert_result_type_wrapperIS8_S9_N2at6native12_GLOBAL__N_19CustomMaxEEEEE10hipError_tPvRmT0_T1_jT2_SQ_T4_T3_P12ihipStream_tbEUlT_E_NS1_11comp_targetILNS1_3genE5ELNS1_11target_archE942ELNS1_3gpuE9ELNS1_3repE0EEENS1_30default_config_static_selectorELNS0_4arch9wavefront6targetE1EEEvSP_,"axG",@progbits,_ZN7rocprim17ROCPRIM_400000_NS6detail17trampoline_kernelINS0_14default_configENS1_32segmented_reduce_config_selectorIfEEZNS1_21segmented_reduce_implIS3_PKfPfPKlfN6hipcub16HIPCUB_304000_NS6detail27convert_result_type_wrapperIS8_S9_N2at6native12_GLOBAL__N_19CustomMaxEEEEE10hipError_tPvRmT0_T1_jT2_SQ_T4_T3_P12ihipStream_tbEUlT_E_NS1_11comp_targetILNS1_3genE5ELNS1_11target_archE942ELNS1_3gpuE9ELNS1_3repE0EEENS1_30default_config_static_selectorELNS0_4arch9wavefront6targetE1EEEvSP_,comdat
.Lfunc_end180:
	.size	_ZN7rocprim17ROCPRIM_400000_NS6detail17trampoline_kernelINS0_14default_configENS1_32segmented_reduce_config_selectorIfEEZNS1_21segmented_reduce_implIS3_PKfPfPKlfN6hipcub16HIPCUB_304000_NS6detail27convert_result_type_wrapperIS8_S9_N2at6native12_GLOBAL__N_19CustomMaxEEEEE10hipError_tPvRmT0_T1_jT2_SQ_T4_T3_P12ihipStream_tbEUlT_E_NS1_11comp_targetILNS1_3genE5ELNS1_11target_archE942ELNS1_3gpuE9ELNS1_3repE0EEENS1_30default_config_static_selectorELNS0_4arch9wavefront6targetE1EEEvSP_, .Lfunc_end180-_ZN7rocprim17ROCPRIM_400000_NS6detail17trampoline_kernelINS0_14default_configENS1_32segmented_reduce_config_selectorIfEEZNS1_21segmented_reduce_implIS3_PKfPfPKlfN6hipcub16HIPCUB_304000_NS6detail27convert_result_type_wrapperIS8_S9_N2at6native12_GLOBAL__N_19CustomMaxEEEEE10hipError_tPvRmT0_T1_jT2_SQ_T4_T3_P12ihipStream_tbEUlT_E_NS1_11comp_targetILNS1_3genE5ELNS1_11target_archE942ELNS1_3gpuE9ELNS1_3repE0EEENS1_30default_config_static_selectorELNS0_4arch9wavefront6targetE1EEEvSP_
                                        ; -- End function
	.set _ZN7rocprim17ROCPRIM_400000_NS6detail17trampoline_kernelINS0_14default_configENS1_32segmented_reduce_config_selectorIfEEZNS1_21segmented_reduce_implIS3_PKfPfPKlfN6hipcub16HIPCUB_304000_NS6detail27convert_result_type_wrapperIS8_S9_N2at6native12_GLOBAL__N_19CustomMaxEEEEE10hipError_tPvRmT0_T1_jT2_SQ_T4_T3_P12ihipStream_tbEUlT_E_NS1_11comp_targetILNS1_3genE5ELNS1_11target_archE942ELNS1_3gpuE9ELNS1_3repE0EEENS1_30default_config_static_selectorELNS0_4arch9wavefront6targetE1EEEvSP_.num_vgpr, 0
	.set _ZN7rocprim17ROCPRIM_400000_NS6detail17trampoline_kernelINS0_14default_configENS1_32segmented_reduce_config_selectorIfEEZNS1_21segmented_reduce_implIS3_PKfPfPKlfN6hipcub16HIPCUB_304000_NS6detail27convert_result_type_wrapperIS8_S9_N2at6native12_GLOBAL__N_19CustomMaxEEEEE10hipError_tPvRmT0_T1_jT2_SQ_T4_T3_P12ihipStream_tbEUlT_E_NS1_11comp_targetILNS1_3genE5ELNS1_11target_archE942ELNS1_3gpuE9ELNS1_3repE0EEENS1_30default_config_static_selectorELNS0_4arch9wavefront6targetE1EEEvSP_.num_agpr, 0
	.set _ZN7rocprim17ROCPRIM_400000_NS6detail17trampoline_kernelINS0_14default_configENS1_32segmented_reduce_config_selectorIfEEZNS1_21segmented_reduce_implIS3_PKfPfPKlfN6hipcub16HIPCUB_304000_NS6detail27convert_result_type_wrapperIS8_S9_N2at6native12_GLOBAL__N_19CustomMaxEEEEE10hipError_tPvRmT0_T1_jT2_SQ_T4_T3_P12ihipStream_tbEUlT_E_NS1_11comp_targetILNS1_3genE5ELNS1_11target_archE942ELNS1_3gpuE9ELNS1_3repE0EEENS1_30default_config_static_selectorELNS0_4arch9wavefront6targetE1EEEvSP_.numbered_sgpr, 0
	.set _ZN7rocprim17ROCPRIM_400000_NS6detail17trampoline_kernelINS0_14default_configENS1_32segmented_reduce_config_selectorIfEEZNS1_21segmented_reduce_implIS3_PKfPfPKlfN6hipcub16HIPCUB_304000_NS6detail27convert_result_type_wrapperIS8_S9_N2at6native12_GLOBAL__N_19CustomMaxEEEEE10hipError_tPvRmT0_T1_jT2_SQ_T4_T3_P12ihipStream_tbEUlT_E_NS1_11comp_targetILNS1_3genE5ELNS1_11target_archE942ELNS1_3gpuE9ELNS1_3repE0EEENS1_30default_config_static_selectorELNS0_4arch9wavefront6targetE1EEEvSP_.num_named_barrier, 0
	.set _ZN7rocprim17ROCPRIM_400000_NS6detail17trampoline_kernelINS0_14default_configENS1_32segmented_reduce_config_selectorIfEEZNS1_21segmented_reduce_implIS3_PKfPfPKlfN6hipcub16HIPCUB_304000_NS6detail27convert_result_type_wrapperIS8_S9_N2at6native12_GLOBAL__N_19CustomMaxEEEEE10hipError_tPvRmT0_T1_jT2_SQ_T4_T3_P12ihipStream_tbEUlT_E_NS1_11comp_targetILNS1_3genE5ELNS1_11target_archE942ELNS1_3gpuE9ELNS1_3repE0EEENS1_30default_config_static_selectorELNS0_4arch9wavefront6targetE1EEEvSP_.private_seg_size, 0
	.set _ZN7rocprim17ROCPRIM_400000_NS6detail17trampoline_kernelINS0_14default_configENS1_32segmented_reduce_config_selectorIfEEZNS1_21segmented_reduce_implIS3_PKfPfPKlfN6hipcub16HIPCUB_304000_NS6detail27convert_result_type_wrapperIS8_S9_N2at6native12_GLOBAL__N_19CustomMaxEEEEE10hipError_tPvRmT0_T1_jT2_SQ_T4_T3_P12ihipStream_tbEUlT_E_NS1_11comp_targetILNS1_3genE5ELNS1_11target_archE942ELNS1_3gpuE9ELNS1_3repE0EEENS1_30default_config_static_selectorELNS0_4arch9wavefront6targetE1EEEvSP_.uses_vcc, 0
	.set _ZN7rocprim17ROCPRIM_400000_NS6detail17trampoline_kernelINS0_14default_configENS1_32segmented_reduce_config_selectorIfEEZNS1_21segmented_reduce_implIS3_PKfPfPKlfN6hipcub16HIPCUB_304000_NS6detail27convert_result_type_wrapperIS8_S9_N2at6native12_GLOBAL__N_19CustomMaxEEEEE10hipError_tPvRmT0_T1_jT2_SQ_T4_T3_P12ihipStream_tbEUlT_E_NS1_11comp_targetILNS1_3genE5ELNS1_11target_archE942ELNS1_3gpuE9ELNS1_3repE0EEENS1_30default_config_static_selectorELNS0_4arch9wavefront6targetE1EEEvSP_.uses_flat_scratch, 0
	.set _ZN7rocprim17ROCPRIM_400000_NS6detail17trampoline_kernelINS0_14default_configENS1_32segmented_reduce_config_selectorIfEEZNS1_21segmented_reduce_implIS3_PKfPfPKlfN6hipcub16HIPCUB_304000_NS6detail27convert_result_type_wrapperIS8_S9_N2at6native12_GLOBAL__N_19CustomMaxEEEEE10hipError_tPvRmT0_T1_jT2_SQ_T4_T3_P12ihipStream_tbEUlT_E_NS1_11comp_targetILNS1_3genE5ELNS1_11target_archE942ELNS1_3gpuE9ELNS1_3repE0EEENS1_30default_config_static_selectorELNS0_4arch9wavefront6targetE1EEEvSP_.has_dyn_sized_stack, 0
	.set _ZN7rocprim17ROCPRIM_400000_NS6detail17trampoline_kernelINS0_14default_configENS1_32segmented_reduce_config_selectorIfEEZNS1_21segmented_reduce_implIS3_PKfPfPKlfN6hipcub16HIPCUB_304000_NS6detail27convert_result_type_wrapperIS8_S9_N2at6native12_GLOBAL__N_19CustomMaxEEEEE10hipError_tPvRmT0_T1_jT2_SQ_T4_T3_P12ihipStream_tbEUlT_E_NS1_11comp_targetILNS1_3genE5ELNS1_11target_archE942ELNS1_3gpuE9ELNS1_3repE0EEENS1_30default_config_static_selectorELNS0_4arch9wavefront6targetE1EEEvSP_.has_recursion, 0
	.set _ZN7rocprim17ROCPRIM_400000_NS6detail17trampoline_kernelINS0_14default_configENS1_32segmented_reduce_config_selectorIfEEZNS1_21segmented_reduce_implIS3_PKfPfPKlfN6hipcub16HIPCUB_304000_NS6detail27convert_result_type_wrapperIS8_S9_N2at6native12_GLOBAL__N_19CustomMaxEEEEE10hipError_tPvRmT0_T1_jT2_SQ_T4_T3_P12ihipStream_tbEUlT_E_NS1_11comp_targetILNS1_3genE5ELNS1_11target_archE942ELNS1_3gpuE9ELNS1_3repE0EEENS1_30default_config_static_selectorELNS0_4arch9wavefront6targetE1EEEvSP_.has_indirect_call, 0
	.section	.AMDGPU.csdata,"",@progbits
; Kernel info:
; codeLenInByte = 0
; TotalNumSgprs: 4
; NumVgprs: 0
; ScratchSize: 0
; MemoryBound: 0
; FloatMode: 240
; IeeeMode: 1
; LDSByteSize: 0 bytes/workgroup (compile time only)
; SGPRBlocks: 0
; VGPRBlocks: 0
; NumSGPRsForWavesPerEU: 4
; NumVGPRsForWavesPerEU: 1
; Occupancy: 10
; WaveLimiterHint : 0
; COMPUTE_PGM_RSRC2:SCRATCH_EN: 0
; COMPUTE_PGM_RSRC2:USER_SGPR: 6
; COMPUTE_PGM_RSRC2:TRAP_HANDLER: 0
; COMPUTE_PGM_RSRC2:TGID_X_EN: 1
; COMPUTE_PGM_RSRC2:TGID_Y_EN: 0
; COMPUTE_PGM_RSRC2:TGID_Z_EN: 0
; COMPUTE_PGM_RSRC2:TIDIG_COMP_CNT: 0
	.section	.text._ZN7rocprim17ROCPRIM_400000_NS6detail17trampoline_kernelINS0_14default_configENS1_32segmented_reduce_config_selectorIfEEZNS1_21segmented_reduce_implIS3_PKfPfPKlfN6hipcub16HIPCUB_304000_NS6detail27convert_result_type_wrapperIS8_S9_N2at6native12_GLOBAL__N_19CustomMaxEEEEE10hipError_tPvRmT0_T1_jT2_SQ_T4_T3_P12ihipStream_tbEUlT_E_NS1_11comp_targetILNS1_3genE10ELNS1_11target_archE1201ELNS1_3gpuE5ELNS1_3repE0EEENS1_30default_config_static_selectorELNS0_4arch9wavefront6targetE1EEEvSP_,"axG",@progbits,_ZN7rocprim17ROCPRIM_400000_NS6detail17trampoline_kernelINS0_14default_configENS1_32segmented_reduce_config_selectorIfEEZNS1_21segmented_reduce_implIS3_PKfPfPKlfN6hipcub16HIPCUB_304000_NS6detail27convert_result_type_wrapperIS8_S9_N2at6native12_GLOBAL__N_19CustomMaxEEEEE10hipError_tPvRmT0_T1_jT2_SQ_T4_T3_P12ihipStream_tbEUlT_E_NS1_11comp_targetILNS1_3genE10ELNS1_11target_archE1201ELNS1_3gpuE5ELNS1_3repE0EEENS1_30default_config_static_selectorELNS0_4arch9wavefront6targetE1EEEvSP_,comdat
	.globl	_ZN7rocprim17ROCPRIM_400000_NS6detail17trampoline_kernelINS0_14default_configENS1_32segmented_reduce_config_selectorIfEEZNS1_21segmented_reduce_implIS3_PKfPfPKlfN6hipcub16HIPCUB_304000_NS6detail27convert_result_type_wrapperIS8_S9_N2at6native12_GLOBAL__N_19CustomMaxEEEEE10hipError_tPvRmT0_T1_jT2_SQ_T4_T3_P12ihipStream_tbEUlT_E_NS1_11comp_targetILNS1_3genE10ELNS1_11target_archE1201ELNS1_3gpuE5ELNS1_3repE0EEENS1_30default_config_static_selectorELNS0_4arch9wavefront6targetE1EEEvSP_ ; -- Begin function _ZN7rocprim17ROCPRIM_400000_NS6detail17trampoline_kernelINS0_14default_configENS1_32segmented_reduce_config_selectorIfEEZNS1_21segmented_reduce_implIS3_PKfPfPKlfN6hipcub16HIPCUB_304000_NS6detail27convert_result_type_wrapperIS8_S9_N2at6native12_GLOBAL__N_19CustomMaxEEEEE10hipError_tPvRmT0_T1_jT2_SQ_T4_T3_P12ihipStream_tbEUlT_E_NS1_11comp_targetILNS1_3genE10ELNS1_11target_archE1201ELNS1_3gpuE5ELNS1_3repE0EEENS1_30default_config_static_selectorELNS0_4arch9wavefront6targetE1EEEvSP_
	.p2align	8
	.type	_ZN7rocprim17ROCPRIM_400000_NS6detail17trampoline_kernelINS0_14default_configENS1_32segmented_reduce_config_selectorIfEEZNS1_21segmented_reduce_implIS3_PKfPfPKlfN6hipcub16HIPCUB_304000_NS6detail27convert_result_type_wrapperIS8_S9_N2at6native12_GLOBAL__N_19CustomMaxEEEEE10hipError_tPvRmT0_T1_jT2_SQ_T4_T3_P12ihipStream_tbEUlT_E_NS1_11comp_targetILNS1_3genE10ELNS1_11target_archE1201ELNS1_3gpuE5ELNS1_3repE0EEENS1_30default_config_static_selectorELNS0_4arch9wavefront6targetE1EEEvSP_,@function
_ZN7rocprim17ROCPRIM_400000_NS6detail17trampoline_kernelINS0_14default_configENS1_32segmented_reduce_config_selectorIfEEZNS1_21segmented_reduce_implIS3_PKfPfPKlfN6hipcub16HIPCUB_304000_NS6detail27convert_result_type_wrapperIS8_S9_N2at6native12_GLOBAL__N_19CustomMaxEEEEE10hipError_tPvRmT0_T1_jT2_SQ_T4_T3_P12ihipStream_tbEUlT_E_NS1_11comp_targetILNS1_3genE10ELNS1_11target_archE1201ELNS1_3gpuE5ELNS1_3repE0EEENS1_30default_config_static_selectorELNS0_4arch9wavefront6targetE1EEEvSP_: ; @_ZN7rocprim17ROCPRIM_400000_NS6detail17trampoline_kernelINS0_14default_configENS1_32segmented_reduce_config_selectorIfEEZNS1_21segmented_reduce_implIS3_PKfPfPKlfN6hipcub16HIPCUB_304000_NS6detail27convert_result_type_wrapperIS8_S9_N2at6native12_GLOBAL__N_19CustomMaxEEEEE10hipError_tPvRmT0_T1_jT2_SQ_T4_T3_P12ihipStream_tbEUlT_E_NS1_11comp_targetILNS1_3genE10ELNS1_11target_archE1201ELNS1_3gpuE5ELNS1_3repE0EEENS1_30default_config_static_selectorELNS0_4arch9wavefront6targetE1EEEvSP_
; %bb.0:
	.section	.rodata,"a",@progbits
	.p2align	6, 0x0
	.amdhsa_kernel _ZN7rocprim17ROCPRIM_400000_NS6detail17trampoline_kernelINS0_14default_configENS1_32segmented_reduce_config_selectorIfEEZNS1_21segmented_reduce_implIS3_PKfPfPKlfN6hipcub16HIPCUB_304000_NS6detail27convert_result_type_wrapperIS8_S9_N2at6native12_GLOBAL__N_19CustomMaxEEEEE10hipError_tPvRmT0_T1_jT2_SQ_T4_T3_P12ihipStream_tbEUlT_E_NS1_11comp_targetILNS1_3genE10ELNS1_11target_archE1201ELNS1_3gpuE5ELNS1_3repE0EEENS1_30default_config_static_selectorELNS0_4arch9wavefront6targetE1EEEvSP_
		.amdhsa_group_segment_fixed_size 0
		.amdhsa_private_segment_fixed_size 0
		.amdhsa_kernarg_size 48
		.amdhsa_user_sgpr_count 6
		.amdhsa_user_sgpr_private_segment_buffer 1
		.amdhsa_user_sgpr_dispatch_ptr 0
		.amdhsa_user_sgpr_queue_ptr 0
		.amdhsa_user_sgpr_kernarg_segment_ptr 1
		.amdhsa_user_sgpr_dispatch_id 0
		.amdhsa_user_sgpr_flat_scratch_init 0
		.amdhsa_user_sgpr_private_segment_size 0
		.amdhsa_uses_dynamic_stack 0
		.amdhsa_system_sgpr_private_segment_wavefront_offset 0
		.amdhsa_system_sgpr_workgroup_id_x 1
		.amdhsa_system_sgpr_workgroup_id_y 0
		.amdhsa_system_sgpr_workgroup_id_z 0
		.amdhsa_system_sgpr_workgroup_info 0
		.amdhsa_system_vgpr_workitem_id 0
		.amdhsa_next_free_vgpr 1
		.amdhsa_next_free_sgpr 0
		.amdhsa_reserve_vcc 0
		.amdhsa_reserve_flat_scratch 0
		.amdhsa_float_round_mode_32 0
		.amdhsa_float_round_mode_16_64 0
		.amdhsa_float_denorm_mode_32 3
		.amdhsa_float_denorm_mode_16_64 3
		.amdhsa_dx10_clamp 1
		.amdhsa_ieee_mode 1
		.amdhsa_fp16_overflow 0
		.amdhsa_exception_fp_ieee_invalid_op 0
		.amdhsa_exception_fp_denorm_src 0
		.amdhsa_exception_fp_ieee_div_zero 0
		.amdhsa_exception_fp_ieee_overflow 0
		.amdhsa_exception_fp_ieee_underflow 0
		.amdhsa_exception_fp_ieee_inexact 0
		.amdhsa_exception_int_div_zero 0
	.end_amdhsa_kernel
	.section	.text._ZN7rocprim17ROCPRIM_400000_NS6detail17trampoline_kernelINS0_14default_configENS1_32segmented_reduce_config_selectorIfEEZNS1_21segmented_reduce_implIS3_PKfPfPKlfN6hipcub16HIPCUB_304000_NS6detail27convert_result_type_wrapperIS8_S9_N2at6native12_GLOBAL__N_19CustomMaxEEEEE10hipError_tPvRmT0_T1_jT2_SQ_T4_T3_P12ihipStream_tbEUlT_E_NS1_11comp_targetILNS1_3genE10ELNS1_11target_archE1201ELNS1_3gpuE5ELNS1_3repE0EEENS1_30default_config_static_selectorELNS0_4arch9wavefront6targetE1EEEvSP_,"axG",@progbits,_ZN7rocprim17ROCPRIM_400000_NS6detail17trampoline_kernelINS0_14default_configENS1_32segmented_reduce_config_selectorIfEEZNS1_21segmented_reduce_implIS3_PKfPfPKlfN6hipcub16HIPCUB_304000_NS6detail27convert_result_type_wrapperIS8_S9_N2at6native12_GLOBAL__N_19CustomMaxEEEEE10hipError_tPvRmT0_T1_jT2_SQ_T4_T3_P12ihipStream_tbEUlT_E_NS1_11comp_targetILNS1_3genE10ELNS1_11target_archE1201ELNS1_3gpuE5ELNS1_3repE0EEENS1_30default_config_static_selectorELNS0_4arch9wavefront6targetE1EEEvSP_,comdat
.Lfunc_end181:
	.size	_ZN7rocprim17ROCPRIM_400000_NS6detail17trampoline_kernelINS0_14default_configENS1_32segmented_reduce_config_selectorIfEEZNS1_21segmented_reduce_implIS3_PKfPfPKlfN6hipcub16HIPCUB_304000_NS6detail27convert_result_type_wrapperIS8_S9_N2at6native12_GLOBAL__N_19CustomMaxEEEEE10hipError_tPvRmT0_T1_jT2_SQ_T4_T3_P12ihipStream_tbEUlT_E_NS1_11comp_targetILNS1_3genE10ELNS1_11target_archE1201ELNS1_3gpuE5ELNS1_3repE0EEENS1_30default_config_static_selectorELNS0_4arch9wavefront6targetE1EEEvSP_, .Lfunc_end181-_ZN7rocprim17ROCPRIM_400000_NS6detail17trampoline_kernelINS0_14default_configENS1_32segmented_reduce_config_selectorIfEEZNS1_21segmented_reduce_implIS3_PKfPfPKlfN6hipcub16HIPCUB_304000_NS6detail27convert_result_type_wrapperIS8_S9_N2at6native12_GLOBAL__N_19CustomMaxEEEEE10hipError_tPvRmT0_T1_jT2_SQ_T4_T3_P12ihipStream_tbEUlT_E_NS1_11comp_targetILNS1_3genE10ELNS1_11target_archE1201ELNS1_3gpuE5ELNS1_3repE0EEENS1_30default_config_static_selectorELNS0_4arch9wavefront6targetE1EEEvSP_
                                        ; -- End function
	.set _ZN7rocprim17ROCPRIM_400000_NS6detail17trampoline_kernelINS0_14default_configENS1_32segmented_reduce_config_selectorIfEEZNS1_21segmented_reduce_implIS3_PKfPfPKlfN6hipcub16HIPCUB_304000_NS6detail27convert_result_type_wrapperIS8_S9_N2at6native12_GLOBAL__N_19CustomMaxEEEEE10hipError_tPvRmT0_T1_jT2_SQ_T4_T3_P12ihipStream_tbEUlT_E_NS1_11comp_targetILNS1_3genE10ELNS1_11target_archE1201ELNS1_3gpuE5ELNS1_3repE0EEENS1_30default_config_static_selectorELNS0_4arch9wavefront6targetE1EEEvSP_.num_vgpr, 0
	.set _ZN7rocprim17ROCPRIM_400000_NS6detail17trampoline_kernelINS0_14default_configENS1_32segmented_reduce_config_selectorIfEEZNS1_21segmented_reduce_implIS3_PKfPfPKlfN6hipcub16HIPCUB_304000_NS6detail27convert_result_type_wrapperIS8_S9_N2at6native12_GLOBAL__N_19CustomMaxEEEEE10hipError_tPvRmT0_T1_jT2_SQ_T4_T3_P12ihipStream_tbEUlT_E_NS1_11comp_targetILNS1_3genE10ELNS1_11target_archE1201ELNS1_3gpuE5ELNS1_3repE0EEENS1_30default_config_static_selectorELNS0_4arch9wavefront6targetE1EEEvSP_.num_agpr, 0
	.set _ZN7rocprim17ROCPRIM_400000_NS6detail17trampoline_kernelINS0_14default_configENS1_32segmented_reduce_config_selectorIfEEZNS1_21segmented_reduce_implIS3_PKfPfPKlfN6hipcub16HIPCUB_304000_NS6detail27convert_result_type_wrapperIS8_S9_N2at6native12_GLOBAL__N_19CustomMaxEEEEE10hipError_tPvRmT0_T1_jT2_SQ_T4_T3_P12ihipStream_tbEUlT_E_NS1_11comp_targetILNS1_3genE10ELNS1_11target_archE1201ELNS1_3gpuE5ELNS1_3repE0EEENS1_30default_config_static_selectorELNS0_4arch9wavefront6targetE1EEEvSP_.numbered_sgpr, 0
	.set _ZN7rocprim17ROCPRIM_400000_NS6detail17trampoline_kernelINS0_14default_configENS1_32segmented_reduce_config_selectorIfEEZNS1_21segmented_reduce_implIS3_PKfPfPKlfN6hipcub16HIPCUB_304000_NS6detail27convert_result_type_wrapperIS8_S9_N2at6native12_GLOBAL__N_19CustomMaxEEEEE10hipError_tPvRmT0_T1_jT2_SQ_T4_T3_P12ihipStream_tbEUlT_E_NS1_11comp_targetILNS1_3genE10ELNS1_11target_archE1201ELNS1_3gpuE5ELNS1_3repE0EEENS1_30default_config_static_selectorELNS0_4arch9wavefront6targetE1EEEvSP_.num_named_barrier, 0
	.set _ZN7rocprim17ROCPRIM_400000_NS6detail17trampoline_kernelINS0_14default_configENS1_32segmented_reduce_config_selectorIfEEZNS1_21segmented_reduce_implIS3_PKfPfPKlfN6hipcub16HIPCUB_304000_NS6detail27convert_result_type_wrapperIS8_S9_N2at6native12_GLOBAL__N_19CustomMaxEEEEE10hipError_tPvRmT0_T1_jT2_SQ_T4_T3_P12ihipStream_tbEUlT_E_NS1_11comp_targetILNS1_3genE10ELNS1_11target_archE1201ELNS1_3gpuE5ELNS1_3repE0EEENS1_30default_config_static_selectorELNS0_4arch9wavefront6targetE1EEEvSP_.private_seg_size, 0
	.set _ZN7rocprim17ROCPRIM_400000_NS6detail17trampoline_kernelINS0_14default_configENS1_32segmented_reduce_config_selectorIfEEZNS1_21segmented_reduce_implIS3_PKfPfPKlfN6hipcub16HIPCUB_304000_NS6detail27convert_result_type_wrapperIS8_S9_N2at6native12_GLOBAL__N_19CustomMaxEEEEE10hipError_tPvRmT0_T1_jT2_SQ_T4_T3_P12ihipStream_tbEUlT_E_NS1_11comp_targetILNS1_3genE10ELNS1_11target_archE1201ELNS1_3gpuE5ELNS1_3repE0EEENS1_30default_config_static_selectorELNS0_4arch9wavefront6targetE1EEEvSP_.uses_vcc, 0
	.set _ZN7rocprim17ROCPRIM_400000_NS6detail17trampoline_kernelINS0_14default_configENS1_32segmented_reduce_config_selectorIfEEZNS1_21segmented_reduce_implIS3_PKfPfPKlfN6hipcub16HIPCUB_304000_NS6detail27convert_result_type_wrapperIS8_S9_N2at6native12_GLOBAL__N_19CustomMaxEEEEE10hipError_tPvRmT0_T1_jT2_SQ_T4_T3_P12ihipStream_tbEUlT_E_NS1_11comp_targetILNS1_3genE10ELNS1_11target_archE1201ELNS1_3gpuE5ELNS1_3repE0EEENS1_30default_config_static_selectorELNS0_4arch9wavefront6targetE1EEEvSP_.uses_flat_scratch, 0
	.set _ZN7rocprim17ROCPRIM_400000_NS6detail17trampoline_kernelINS0_14default_configENS1_32segmented_reduce_config_selectorIfEEZNS1_21segmented_reduce_implIS3_PKfPfPKlfN6hipcub16HIPCUB_304000_NS6detail27convert_result_type_wrapperIS8_S9_N2at6native12_GLOBAL__N_19CustomMaxEEEEE10hipError_tPvRmT0_T1_jT2_SQ_T4_T3_P12ihipStream_tbEUlT_E_NS1_11comp_targetILNS1_3genE10ELNS1_11target_archE1201ELNS1_3gpuE5ELNS1_3repE0EEENS1_30default_config_static_selectorELNS0_4arch9wavefront6targetE1EEEvSP_.has_dyn_sized_stack, 0
	.set _ZN7rocprim17ROCPRIM_400000_NS6detail17trampoline_kernelINS0_14default_configENS1_32segmented_reduce_config_selectorIfEEZNS1_21segmented_reduce_implIS3_PKfPfPKlfN6hipcub16HIPCUB_304000_NS6detail27convert_result_type_wrapperIS8_S9_N2at6native12_GLOBAL__N_19CustomMaxEEEEE10hipError_tPvRmT0_T1_jT2_SQ_T4_T3_P12ihipStream_tbEUlT_E_NS1_11comp_targetILNS1_3genE10ELNS1_11target_archE1201ELNS1_3gpuE5ELNS1_3repE0EEENS1_30default_config_static_selectorELNS0_4arch9wavefront6targetE1EEEvSP_.has_recursion, 0
	.set _ZN7rocprim17ROCPRIM_400000_NS6detail17trampoline_kernelINS0_14default_configENS1_32segmented_reduce_config_selectorIfEEZNS1_21segmented_reduce_implIS3_PKfPfPKlfN6hipcub16HIPCUB_304000_NS6detail27convert_result_type_wrapperIS8_S9_N2at6native12_GLOBAL__N_19CustomMaxEEEEE10hipError_tPvRmT0_T1_jT2_SQ_T4_T3_P12ihipStream_tbEUlT_E_NS1_11comp_targetILNS1_3genE10ELNS1_11target_archE1201ELNS1_3gpuE5ELNS1_3repE0EEENS1_30default_config_static_selectorELNS0_4arch9wavefront6targetE1EEEvSP_.has_indirect_call, 0
	.section	.AMDGPU.csdata,"",@progbits
; Kernel info:
; codeLenInByte = 0
; TotalNumSgprs: 4
; NumVgprs: 0
; ScratchSize: 0
; MemoryBound: 0
; FloatMode: 240
; IeeeMode: 1
; LDSByteSize: 0 bytes/workgroup (compile time only)
; SGPRBlocks: 0
; VGPRBlocks: 0
; NumSGPRsForWavesPerEU: 4
; NumVGPRsForWavesPerEU: 1
; Occupancy: 10
; WaveLimiterHint : 0
; COMPUTE_PGM_RSRC2:SCRATCH_EN: 0
; COMPUTE_PGM_RSRC2:USER_SGPR: 6
; COMPUTE_PGM_RSRC2:TRAP_HANDLER: 0
; COMPUTE_PGM_RSRC2:TGID_X_EN: 1
; COMPUTE_PGM_RSRC2:TGID_Y_EN: 0
; COMPUTE_PGM_RSRC2:TGID_Z_EN: 0
; COMPUTE_PGM_RSRC2:TIDIG_COMP_CNT: 0
	.section	.text._ZN7rocprim17ROCPRIM_400000_NS6detail17trampoline_kernelINS0_14default_configENS1_32segmented_reduce_config_selectorIfEEZNS1_21segmented_reduce_implIS3_PKfPfPKlfN6hipcub16HIPCUB_304000_NS6detail27convert_result_type_wrapperIS8_S9_N2at6native12_GLOBAL__N_19CustomMaxEEEEE10hipError_tPvRmT0_T1_jT2_SQ_T4_T3_P12ihipStream_tbEUlT_E_NS1_11comp_targetILNS1_3genE4ELNS1_11target_archE910ELNS1_3gpuE8ELNS1_3repE0EEENS1_30default_config_static_selectorELNS0_4arch9wavefront6targetE1EEEvSP_,"axG",@progbits,_ZN7rocprim17ROCPRIM_400000_NS6detail17trampoline_kernelINS0_14default_configENS1_32segmented_reduce_config_selectorIfEEZNS1_21segmented_reduce_implIS3_PKfPfPKlfN6hipcub16HIPCUB_304000_NS6detail27convert_result_type_wrapperIS8_S9_N2at6native12_GLOBAL__N_19CustomMaxEEEEE10hipError_tPvRmT0_T1_jT2_SQ_T4_T3_P12ihipStream_tbEUlT_E_NS1_11comp_targetILNS1_3genE4ELNS1_11target_archE910ELNS1_3gpuE8ELNS1_3repE0EEENS1_30default_config_static_selectorELNS0_4arch9wavefront6targetE1EEEvSP_,comdat
	.globl	_ZN7rocprim17ROCPRIM_400000_NS6detail17trampoline_kernelINS0_14default_configENS1_32segmented_reduce_config_selectorIfEEZNS1_21segmented_reduce_implIS3_PKfPfPKlfN6hipcub16HIPCUB_304000_NS6detail27convert_result_type_wrapperIS8_S9_N2at6native12_GLOBAL__N_19CustomMaxEEEEE10hipError_tPvRmT0_T1_jT2_SQ_T4_T3_P12ihipStream_tbEUlT_E_NS1_11comp_targetILNS1_3genE4ELNS1_11target_archE910ELNS1_3gpuE8ELNS1_3repE0EEENS1_30default_config_static_selectorELNS0_4arch9wavefront6targetE1EEEvSP_ ; -- Begin function _ZN7rocprim17ROCPRIM_400000_NS6detail17trampoline_kernelINS0_14default_configENS1_32segmented_reduce_config_selectorIfEEZNS1_21segmented_reduce_implIS3_PKfPfPKlfN6hipcub16HIPCUB_304000_NS6detail27convert_result_type_wrapperIS8_S9_N2at6native12_GLOBAL__N_19CustomMaxEEEEE10hipError_tPvRmT0_T1_jT2_SQ_T4_T3_P12ihipStream_tbEUlT_E_NS1_11comp_targetILNS1_3genE4ELNS1_11target_archE910ELNS1_3gpuE8ELNS1_3repE0EEENS1_30default_config_static_selectorELNS0_4arch9wavefront6targetE1EEEvSP_
	.p2align	8
	.type	_ZN7rocprim17ROCPRIM_400000_NS6detail17trampoline_kernelINS0_14default_configENS1_32segmented_reduce_config_selectorIfEEZNS1_21segmented_reduce_implIS3_PKfPfPKlfN6hipcub16HIPCUB_304000_NS6detail27convert_result_type_wrapperIS8_S9_N2at6native12_GLOBAL__N_19CustomMaxEEEEE10hipError_tPvRmT0_T1_jT2_SQ_T4_T3_P12ihipStream_tbEUlT_E_NS1_11comp_targetILNS1_3genE4ELNS1_11target_archE910ELNS1_3gpuE8ELNS1_3repE0EEENS1_30default_config_static_selectorELNS0_4arch9wavefront6targetE1EEEvSP_,@function
_ZN7rocprim17ROCPRIM_400000_NS6detail17trampoline_kernelINS0_14default_configENS1_32segmented_reduce_config_selectorIfEEZNS1_21segmented_reduce_implIS3_PKfPfPKlfN6hipcub16HIPCUB_304000_NS6detail27convert_result_type_wrapperIS8_S9_N2at6native12_GLOBAL__N_19CustomMaxEEEEE10hipError_tPvRmT0_T1_jT2_SQ_T4_T3_P12ihipStream_tbEUlT_E_NS1_11comp_targetILNS1_3genE4ELNS1_11target_archE910ELNS1_3gpuE8ELNS1_3repE0EEENS1_30default_config_static_selectorELNS0_4arch9wavefront6targetE1EEEvSP_: ; @_ZN7rocprim17ROCPRIM_400000_NS6detail17trampoline_kernelINS0_14default_configENS1_32segmented_reduce_config_selectorIfEEZNS1_21segmented_reduce_implIS3_PKfPfPKlfN6hipcub16HIPCUB_304000_NS6detail27convert_result_type_wrapperIS8_S9_N2at6native12_GLOBAL__N_19CustomMaxEEEEE10hipError_tPvRmT0_T1_jT2_SQ_T4_T3_P12ihipStream_tbEUlT_E_NS1_11comp_targetILNS1_3genE4ELNS1_11target_archE910ELNS1_3gpuE8ELNS1_3repE0EEENS1_30default_config_static_selectorELNS0_4arch9wavefront6targetE1EEEvSP_
; %bb.0:
	.section	.rodata,"a",@progbits
	.p2align	6, 0x0
	.amdhsa_kernel _ZN7rocprim17ROCPRIM_400000_NS6detail17trampoline_kernelINS0_14default_configENS1_32segmented_reduce_config_selectorIfEEZNS1_21segmented_reduce_implIS3_PKfPfPKlfN6hipcub16HIPCUB_304000_NS6detail27convert_result_type_wrapperIS8_S9_N2at6native12_GLOBAL__N_19CustomMaxEEEEE10hipError_tPvRmT0_T1_jT2_SQ_T4_T3_P12ihipStream_tbEUlT_E_NS1_11comp_targetILNS1_3genE4ELNS1_11target_archE910ELNS1_3gpuE8ELNS1_3repE0EEENS1_30default_config_static_selectorELNS0_4arch9wavefront6targetE1EEEvSP_
		.amdhsa_group_segment_fixed_size 0
		.amdhsa_private_segment_fixed_size 0
		.amdhsa_kernarg_size 48
		.amdhsa_user_sgpr_count 6
		.amdhsa_user_sgpr_private_segment_buffer 1
		.amdhsa_user_sgpr_dispatch_ptr 0
		.amdhsa_user_sgpr_queue_ptr 0
		.amdhsa_user_sgpr_kernarg_segment_ptr 1
		.amdhsa_user_sgpr_dispatch_id 0
		.amdhsa_user_sgpr_flat_scratch_init 0
		.amdhsa_user_sgpr_private_segment_size 0
		.amdhsa_uses_dynamic_stack 0
		.amdhsa_system_sgpr_private_segment_wavefront_offset 0
		.amdhsa_system_sgpr_workgroup_id_x 1
		.amdhsa_system_sgpr_workgroup_id_y 0
		.amdhsa_system_sgpr_workgroup_id_z 0
		.amdhsa_system_sgpr_workgroup_info 0
		.amdhsa_system_vgpr_workitem_id 0
		.amdhsa_next_free_vgpr 1
		.amdhsa_next_free_sgpr 0
		.amdhsa_reserve_vcc 0
		.amdhsa_reserve_flat_scratch 0
		.amdhsa_float_round_mode_32 0
		.amdhsa_float_round_mode_16_64 0
		.amdhsa_float_denorm_mode_32 3
		.amdhsa_float_denorm_mode_16_64 3
		.amdhsa_dx10_clamp 1
		.amdhsa_ieee_mode 1
		.amdhsa_fp16_overflow 0
		.amdhsa_exception_fp_ieee_invalid_op 0
		.amdhsa_exception_fp_denorm_src 0
		.amdhsa_exception_fp_ieee_div_zero 0
		.amdhsa_exception_fp_ieee_overflow 0
		.amdhsa_exception_fp_ieee_underflow 0
		.amdhsa_exception_fp_ieee_inexact 0
		.amdhsa_exception_int_div_zero 0
	.end_amdhsa_kernel
	.section	.text._ZN7rocprim17ROCPRIM_400000_NS6detail17trampoline_kernelINS0_14default_configENS1_32segmented_reduce_config_selectorIfEEZNS1_21segmented_reduce_implIS3_PKfPfPKlfN6hipcub16HIPCUB_304000_NS6detail27convert_result_type_wrapperIS8_S9_N2at6native12_GLOBAL__N_19CustomMaxEEEEE10hipError_tPvRmT0_T1_jT2_SQ_T4_T3_P12ihipStream_tbEUlT_E_NS1_11comp_targetILNS1_3genE4ELNS1_11target_archE910ELNS1_3gpuE8ELNS1_3repE0EEENS1_30default_config_static_selectorELNS0_4arch9wavefront6targetE1EEEvSP_,"axG",@progbits,_ZN7rocprim17ROCPRIM_400000_NS6detail17trampoline_kernelINS0_14default_configENS1_32segmented_reduce_config_selectorIfEEZNS1_21segmented_reduce_implIS3_PKfPfPKlfN6hipcub16HIPCUB_304000_NS6detail27convert_result_type_wrapperIS8_S9_N2at6native12_GLOBAL__N_19CustomMaxEEEEE10hipError_tPvRmT0_T1_jT2_SQ_T4_T3_P12ihipStream_tbEUlT_E_NS1_11comp_targetILNS1_3genE4ELNS1_11target_archE910ELNS1_3gpuE8ELNS1_3repE0EEENS1_30default_config_static_selectorELNS0_4arch9wavefront6targetE1EEEvSP_,comdat
.Lfunc_end182:
	.size	_ZN7rocprim17ROCPRIM_400000_NS6detail17trampoline_kernelINS0_14default_configENS1_32segmented_reduce_config_selectorIfEEZNS1_21segmented_reduce_implIS3_PKfPfPKlfN6hipcub16HIPCUB_304000_NS6detail27convert_result_type_wrapperIS8_S9_N2at6native12_GLOBAL__N_19CustomMaxEEEEE10hipError_tPvRmT0_T1_jT2_SQ_T4_T3_P12ihipStream_tbEUlT_E_NS1_11comp_targetILNS1_3genE4ELNS1_11target_archE910ELNS1_3gpuE8ELNS1_3repE0EEENS1_30default_config_static_selectorELNS0_4arch9wavefront6targetE1EEEvSP_, .Lfunc_end182-_ZN7rocprim17ROCPRIM_400000_NS6detail17trampoline_kernelINS0_14default_configENS1_32segmented_reduce_config_selectorIfEEZNS1_21segmented_reduce_implIS3_PKfPfPKlfN6hipcub16HIPCUB_304000_NS6detail27convert_result_type_wrapperIS8_S9_N2at6native12_GLOBAL__N_19CustomMaxEEEEE10hipError_tPvRmT0_T1_jT2_SQ_T4_T3_P12ihipStream_tbEUlT_E_NS1_11comp_targetILNS1_3genE4ELNS1_11target_archE910ELNS1_3gpuE8ELNS1_3repE0EEENS1_30default_config_static_selectorELNS0_4arch9wavefront6targetE1EEEvSP_
                                        ; -- End function
	.set _ZN7rocprim17ROCPRIM_400000_NS6detail17trampoline_kernelINS0_14default_configENS1_32segmented_reduce_config_selectorIfEEZNS1_21segmented_reduce_implIS3_PKfPfPKlfN6hipcub16HIPCUB_304000_NS6detail27convert_result_type_wrapperIS8_S9_N2at6native12_GLOBAL__N_19CustomMaxEEEEE10hipError_tPvRmT0_T1_jT2_SQ_T4_T3_P12ihipStream_tbEUlT_E_NS1_11comp_targetILNS1_3genE4ELNS1_11target_archE910ELNS1_3gpuE8ELNS1_3repE0EEENS1_30default_config_static_selectorELNS0_4arch9wavefront6targetE1EEEvSP_.num_vgpr, 0
	.set _ZN7rocprim17ROCPRIM_400000_NS6detail17trampoline_kernelINS0_14default_configENS1_32segmented_reduce_config_selectorIfEEZNS1_21segmented_reduce_implIS3_PKfPfPKlfN6hipcub16HIPCUB_304000_NS6detail27convert_result_type_wrapperIS8_S9_N2at6native12_GLOBAL__N_19CustomMaxEEEEE10hipError_tPvRmT0_T1_jT2_SQ_T4_T3_P12ihipStream_tbEUlT_E_NS1_11comp_targetILNS1_3genE4ELNS1_11target_archE910ELNS1_3gpuE8ELNS1_3repE0EEENS1_30default_config_static_selectorELNS0_4arch9wavefront6targetE1EEEvSP_.num_agpr, 0
	.set _ZN7rocprim17ROCPRIM_400000_NS6detail17trampoline_kernelINS0_14default_configENS1_32segmented_reduce_config_selectorIfEEZNS1_21segmented_reduce_implIS3_PKfPfPKlfN6hipcub16HIPCUB_304000_NS6detail27convert_result_type_wrapperIS8_S9_N2at6native12_GLOBAL__N_19CustomMaxEEEEE10hipError_tPvRmT0_T1_jT2_SQ_T4_T3_P12ihipStream_tbEUlT_E_NS1_11comp_targetILNS1_3genE4ELNS1_11target_archE910ELNS1_3gpuE8ELNS1_3repE0EEENS1_30default_config_static_selectorELNS0_4arch9wavefront6targetE1EEEvSP_.numbered_sgpr, 0
	.set _ZN7rocprim17ROCPRIM_400000_NS6detail17trampoline_kernelINS0_14default_configENS1_32segmented_reduce_config_selectorIfEEZNS1_21segmented_reduce_implIS3_PKfPfPKlfN6hipcub16HIPCUB_304000_NS6detail27convert_result_type_wrapperIS8_S9_N2at6native12_GLOBAL__N_19CustomMaxEEEEE10hipError_tPvRmT0_T1_jT2_SQ_T4_T3_P12ihipStream_tbEUlT_E_NS1_11comp_targetILNS1_3genE4ELNS1_11target_archE910ELNS1_3gpuE8ELNS1_3repE0EEENS1_30default_config_static_selectorELNS0_4arch9wavefront6targetE1EEEvSP_.num_named_barrier, 0
	.set _ZN7rocprim17ROCPRIM_400000_NS6detail17trampoline_kernelINS0_14default_configENS1_32segmented_reduce_config_selectorIfEEZNS1_21segmented_reduce_implIS3_PKfPfPKlfN6hipcub16HIPCUB_304000_NS6detail27convert_result_type_wrapperIS8_S9_N2at6native12_GLOBAL__N_19CustomMaxEEEEE10hipError_tPvRmT0_T1_jT2_SQ_T4_T3_P12ihipStream_tbEUlT_E_NS1_11comp_targetILNS1_3genE4ELNS1_11target_archE910ELNS1_3gpuE8ELNS1_3repE0EEENS1_30default_config_static_selectorELNS0_4arch9wavefront6targetE1EEEvSP_.private_seg_size, 0
	.set _ZN7rocprim17ROCPRIM_400000_NS6detail17trampoline_kernelINS0_14default_configENS1_32segmented_reduce_config_selectorIfEEZNS1_21segmented_reduce_implIS3_PKfPfPKlfN6hipcub16HIPCUB_304000_NS6detail27convert_result_type_wrapperIS8_S9_N2at6native12_GLOBAL__N_19CustomMaxEEEEE10hipError_tPvRmT0_T1_jT2_SQ_T4_T3_P12ihipStream_tbEUlT_E_NS1_11comp_targetILNS1_3genE4ELNS1_11target_archE910ELNS1_3gpuE8ELNS1_3repE0EEENS1_30default_config_static_selectorELNS0_4arch9wavefront6targetE1EEEvSP_.uses_vcc, 0
	.set _ZN7rocprim17ROCPRIM_400000_NS6detail17trampoline_kernelINS0_14default_configENS1_32segmented_reduce_config_selectorIfEEZNS1_21segmented_reduce_implIS3_PKfPfPKlfN6hipcub16HIPCUB_304000_NS6detail27convert_result_type_wrapperIS8_S9_N2at6native12_GLOBAL__N_19CustomMaxEEEEE10hipError_tPvRmT0_T1_jT2_SQ_T4_T3_P12ihipStream_tbEUlT_E_NS1_11comp_targetILNS1_3genE4ELNS1_11target_archE910ELNS1_3gpuE8ELNS1_3repE0EEENS1_30default_config_static_selectorELNS0_4arch9wavefront6targetE1EEEvSP_.uses_flat_scratch, 0
	.set _ZN7rocprim17ROCPRIM_400000_NS6detail17trampoline_kernelINS0_14default_configENS1_32segmented_reduce_config_selectorIfEEZNS1_21segmented_reduce_implIS3_PKfPfPKlfN6hipcub16HIPCUB_304000_NS6detail27convert_result_type_wrapperIS8_S9_N2at6native12_GLOBAL__N_19CustomMaxEEEEE10hipError_tPvRmT0_T1_jT2_SQ_T4_T3_P12ihipStream_tbEUlT_E_NS1_11comp_targetILNS1_3genE4ELNS1_11target_archE910ELNS1_3gpuE8ELNS1_3repE0EEENS1_30default_config_static_selectorELNS0_4arch9wavefront6targetE1EEEvSP_.has_dyn_sized_stack, 0
	.set _ZN7rocprim17ROCPRIM_400000_NS6detail17trampoline_kernelINS0_14default_configENS1_32segmented_reduce_config_selectorIfEEZNS1_21segmented_reduce_implIS3_PKfPfPKlfN6hipcub16HIPCUB_304000_NS6detail27convert_result_type_wrapperIS8_S9_N2at6native12_GLOBAL__N_19CustomMaxEEEEE10hipError_tPvRmT0_T1_jT2_SQ_T4_T3_P12ihipStream_tbEUlT_E_NS1_11comp_targetILNS1_3genE4ELNS1_11target_archE910ELNS1_3gpuE8ELNS1_3repE0EEENS1_30default_config_static_selectorELNS0_4arch9wavefront6targetE1EEEvSP_.has_recursion, 0
	.set _ZN7rocprim17ROCPRIM_400000_NS6detail17trampoline_kernelINS0_14default_configENS1_32segmented_reduce_config_selectorIfEEZNS1_21segmented_reduce_implIS3_PKfPfPKlfN6hipcub16HIPCUB_304000_NS6detail27convert_result_type_wrapperIS8_S9_N2at6native12_GLOBAL__N_19CustomMaxEEEEE10hipError_tPvRmT0_T1_jT2_SQ_T4_T3_P12ihipStream_tbEUlT_E_NS1_11comp_targetILNS1_3genE4ELNS1_11target_archE910ELNS1_3gpuE8ELNS1_3repE0EEENS1_30default_config_static_selectorELNS0_4arch9wavefront6targetE1EEEvSP_.has_indirect_call, 0
	.section	.AMDGPU.csdata,"",@progbits
; Kernel info:
; codeLenInByte = 0
; TotalNumSgprs: 4
; NumVgprs: 0
; ScratchSize: 0
; MemoryBound: 0
; FloatMode: 240
; IeeeMode: 1
; LDSByteSize: 0 bytes/workgroup (compile time only)
; SGPRBlocks: 0
; VGPRBlocks: 0
; NumSGPRsForWavesPerEU: 4
; NumVGPRsForWavesPerEU: 1
; Occupancy: 10
; WaveLimiterHint : 0
; COMPUTE_PGM_RSRC2:SCRATCH_EN: 0
; COMPUTE_PGM_RSRC2:USER_SGPR: 6
; COMPUTE_PGM_RSRC2:TRAP_HANDLER: 0
; COMPUTE_PGM_RSRC2:TGID_X_EN: 1
; COMPUTE_PGM_RSRC2:TGID_Y_EN: 0
; COMPUTE_PGM_RSRC2:TGID_Z_EN: 0
; COMPUTE_PGM_RSRC2:TIDIG_COMP_CNT: 0
	.section	.text._ZN7rocprim17ROCPRIM_400000_NS6detail17trampoline_kernelINS0_14default_configENS1_32segmented_reduce_config_selectorIfEEZNS1_21segmented_reduce_implIS3_PKfPfPKlfN6hipcub16HIPCUB_304000_NS6detail27convert_result_type_wrapperIS8_S9_N2at6native12_GLOBAL__N_19CustomMaxEEEEE10hipError_tPvRmT0_T1_jT2_SQ_T4_T3_P12ihipStream_tbEUlT_E_NS1_11comp_targetILNS1_3genE3ELNS1_11target_archE908ELNS1_3gpuE7ELNS1_3repE0EEENS1_30default_config_static_selectorELNS0_4arch9wavefront6targetE1EEEvSP_,"axG",@progbits,_ZN7rocprim17ROCPRIM_400000_NS6detail17trampoline_kernelINS0_14default_configENS1_32segmented_reduce_config_selectorIfEEZNS1_21segmented_reduce_implIS3_PKfPfPKlfN6hipcub16HIPCUB_304000_NS6detail27convert_result_type_wrapperIS8_S9_N2at6native12_GLOBAL__N_19CustomMaxEEEEE10hipError_tPvRmT0_T1_jT2_SQ_T4_T3_P12ihipStream_tbEUlT_E_NS1_11comp_targetILNS1_3genE3ELNS1_11target_archE908ELNS1_3gpuE7ELNS1_3repE0EEENS1_30default_config_static_selectorELNS0_4arch9wavefront6targetE1EEEvSP_,comdat
	.globl	_ZN7rocprim17ROCPRIM_400000_NS6detail17trampoline_kernelINS0_14default_configENS1_32segmented_reduce_config_selectorIfEEZNS1_21segmented_reduce_implIS3_PKfPfPKlfN6hipcub16HIPCUB_304000_NS6detail27convert_result_type_wrapperIS8_S9_N2at6native12_GLOBAL__N_19CustomMaxEEEEE10hipError_tPvRmT0_T1_jT2_SQ_T4_T3_P12ihipStream_tbEUlT_E_NS1_11comp_targetILNS1_3genE3ELNS1_11target_archE908ELNS1_3gpuE7ELNS1_3repE0EEENS1_30default_config_static_selectorELNS0_4arch9wavefront6targetE1EEEvSP_ ; -- Begin function _ZN7rocprim17ROCPRIM_400000_NS6detail17trampoline_kernelINS0_14default_configENS1_32segmented_reduce_config_selectorIfEEZNS1_21segmented_reduce_implIS3_PKfPfPKlfN6hipcub16HIPCUB_304000_NS6detail27convert_result_type_wrapperIS8_S9_N2at6native12_GLOBAL__N_19CustomMaxEEEEE10hipError_tPvRmT0_T1_jT2_SQ_T4_T3_P12ihipStream_tbEUlT_E_NS1_11comp_targetILNS1_3genE3ELNS1_11target_archE908ELNS1_3gpuE7ELNS1_3repE0EEENS1_30default_config_static_selectorELNS0_4arch9wavefront6targetE1EEEvSP_
	.p2align	8
	.type	_ZN7rocprim17ROCPRIM_400000_NS6detail17trampoline_kernelINS0_14default_configENS1_32segmented_reduce_config_selectorIfEEZNS1_21segmented_reduce_implIS3_PKfPfPKlfN6hipcub16HIPCUB_304000_NS6detail27convert_result_type_wrapperIS8_S9_N2at6native12_GLOBAL__N_19CustomMaxEEEEE10hipError_tPvRmT0_T1_jT2_SQ_T4_T3_P12ihipStream_tbEUlT_E_NS1_11comp_targetILNS1_3genE3ELNS1_11target_archE908ELNS1_3gpuE7ELNS1_3repE0EEENS1_30default_config_static_selectorELNS0_4arch9wavefront6targetE1EEEvSP_,@function
_ZN7rocprim17ROCPRIM_400000_NS6detail17trampoline_kernelINS0_14default_configENS1_32segmented_reduce_config_selectorIfEEZNS1_21segmented_reduce_implIS3_PKfPfPKlfN6hipcub16HIPCUB_304000_NS6detail27convert_result_type_wrapperIS8_S9_N2at6native12_GLOBAL__N_19CustomMaxEEEEE10hipError_tPvRmT0_T1_jT2_SQ_T4_T3_P12ihipStream_tbEUlT_E_NS1_11comp_targetILNS1_3genE3ELNS1_11target_archE908ELNS1_3gpuE7ELNS1_3repE0EEENS1_30default_config_static_selectorELNS0_4arch9wavefront6targetE1EEEvSP_: ; @_ZN7rocprim17ROCPRIM_400000_NS6detail17trampoline_kernelINS0_14default_configENS1_32segmented_reduce_config_selectorIfEEZNS1_21segmented_reduce_implIS3_PKfPfPKlfN6hipcub16HIPCUB_304000_NS6detail27convert_result_type_wrapperIS8_S9_N2at6native12_GLOBAL__N_19CustomMaxEEEEE10hipError_tPvRmT0_T1_jT2_SQ_T4_T3_P12ihipStream_tbEUlT_E_NS1_11comp_targetILNS1_3genE3ELNS1_11target_archE908ELNS1_3gpuE7ELNS1_3repE0EEENS1_30default_config_static_selectorELNS0_4arch9wavefront6targetE1EEEvSP_
; %bb.0:
	.section	.rodata,"a",@progbits
	.p2align	6, 0x0
	.amdhsa_kernel _ZN7rocprim17ROCPRIM_400000_NS6detail17trampoline_kernelINS0_14default_configENS1_32segmented_reduce_config_selectorIfEEZNS1_21segmented_reduce_implIS3_PKfPfPKlfN6hipcub16HIPCUB_304000_NS6detail27convert_result_type_wrapperIS8_S9_N2at6native12_GLOBAL__N_19CustomMaxEEEEE10hipError_tPvRmT0_T1_jT2_SQ_T4_T3_P12ihipStream_tbEUlT_E_NS1_11comp_targetILNS1_3genE3ELNS1_11target_archE908ELNS1_3gpuE7ELNS1_3repE0EEENS1_30default_config_static_selectorELNS0_4arch9wavefront6targetE1EEEvSP_
		.amdhsa_group_segment_fixed_size 0
		.amdhsa_private_segment_fixed_size 0
		.amdhsa_kernarg_size 48
		.amdhsa_user_sgpr_count 6
		.amdhsa_user_sgpr_private_segment_buffer 1
		.amdhsa_user_sgpr_dispatch_ptr 0
		.amdhsa_user_sgpr_queue_ptr 0
		.amdhsa_user_sgpr_kernarg_segment_ptr 1
		.amdhsa_user_sgpr_dispatch_id 0
		.amdhsa_user_sgpr_flat_scratch_init 0
		.amdhsa_user_sgpr_private_segment_size 0
		.amdhsa_uses_dynamic_stack 0
		.amdhsa_system_sgpr_private_segment_wavefront_offset 0
		.amdhsa_system_sgpr_workgroup_id_x 1
		.amdhsa_system_sgpr_workgroup_id_y 0
		.amdhsa_system_sgpr_workgroup_id_z 0
		.amdhsa_system_sgpr_workgroup_info 0
		.amdhsa_system_vgpr_workitem_id 0
		.amdhsa_next_free_vgpr 1
		.amdhsa_next_free_sgpr 0
		.amdhsa_reserve_vcc 0
		.amdhsa_reserve_flat_scratch 0
		.amdhsa_float_round_mode_32 0
		.amdhsa_float_round_mode_16_64 0
		.amdhsa_float_denorm_mode_32 3
		.amdhsa_float_denorm_mode_16_64 3
		.amdhsa_dx10_clamp 1
		.amdhsa_ieee_mode 1
		.amdhsa_fp16_overflow 0
		.amdhsa_exception_fp_ieee_invalid_op 0
		.amdhsa_exception_fp_denorm_src 0
		.amdhsa_exception_fp_ieee_div_zero 0
		.amdhsa_exception_fp_ieee_overflow 0
		.amdhsa_exception_fp_ieee_underflow 0
		.amdhsa_exception_fp_ieee_inexact 0
		.amdhsa_exception_int_div_zero 0
	.end_amdhsa_kernel
	.section	.text._ZN7rocprim17ROCPRIM_400000_NS6detail17trampoline_kernelINS0_14default_configENS1_32segmented_reduce_config_selectorIfEEZNS1_21segmented_reduce_implIS3_PKfPfPKlfN6hipcub16HIPCUB_304000_NS6detail27convert_result_type_wrapperIS8_S9_N2at6native12_GLOBAL__N_19CustomMaxEEEEE10hipError_tPvRmT0_T1_jT2_SQ_T4_T3_P12ihipStream_tbEUlT_E_NS1_11comp_targetILNS1_3genE3ELNS1_11target_archE908ELNS1_3gpuE7ELNS1_3repE0EEENS1_30default_config_static_selectorELNS0_4arch9wavefront6targetE1EEEvSP_,"axG",@progbits,_ZN7rocprim17ROCPRIM_400000_NS6detail17trampoline_kernelINS0_14default_configENS1_32segmented_reduce_config_selectorIfEEZNS1_21segmented_reduce_implIS3_PKfPfPKlfN6hipcub16HIPCUB_304000_NS6detail27convert_result_type_wrapperIS8_S9_N2at6native12_GLOBAL__N_19CustomMaxEEEEE10hipError_tPvRmT0_T1_jT2_SQ_T4_T3_P12ihipStream_tbEUlT_E_NS1_11comp_targetILNS1_3genE3ELNS1_11target_archE908ELNS1_3gpuE7ELNS1_3repE0EEENS1_30default_config_static_selectorELNS0_4arch9wavefront6targetE1EEEvSP_,comdat
.Lfunc_end183:
	.size	_ZN7rocprim17ROCPRIM_400000_NS6detail17trampoline_kernelINS0_14default_configENS1_32segmented_reduce_config_selectorIfEEZNS1_21segmented_reduce_implIS3_PKfPfPKlfN6hipcub16HIPCUB_304000_NS6detail27convert_result_type_wrapperIS8_S9_N2at6native12_GLOBAL__N_19CustomMaxEEEEE10hipError_tPvRmT0_T1_jT2_SQ_T4_T3_P12ihipStream_tbEUlT_E_NS1_11comp_targetILNS1_3genE3ELNS1_11target_archE908ELNS1_3gpuE7ELNS1_3repE0EEENS1_30default_config_static_selectorELNS0_4arch9wavefront6targetE1EEEvSP_, .Lfunc_end183-_ZN7rocprim17ROCPRIM_400000_NS6detail17trampoline_kernelINS0_14default_configENS1_32segmented_reduce_config_selectorIfEEZNS1_21segmented_reduce_implIS3_PKfPfPKlfN6hipcub16HIPCUB_304000_NS6detail27convert_result_type_wrapperIS8_S9_N2at6native12_GLOBAL__N_19CustomMaxEEEEE10hipError_tPvRmT0_T1_jT2_SQ_T4_T3_P12ihipStream_tbEUlT_E_NS1_11comp_targetILNS1_3genE3ELNS1_11target_archE908ELNS1_3gpuE7ELNS1_3repE0EEENS1_30default_config_static_selectorELNS0_4arch9wavefront6targetE1EEEvSP_
                                        ; -- End function
	.set _ZN7rocprim17ROCPRIM_400000_NS6detail17trampoline_kernelINS0_14default_configENS1_32segmented_reduce_config_selectorIfEEZNS1_21segmented_reduce_implIS3_PKfPfPKlfN6hipcub16HIPCUB_304000_NS6detail27convert_result_type_wrapperIS8_S9_N2at6native12_GLOBAL__N_19CustomMaxEEEEE10hipError_tPvRmT0_T1_jT2_SQ_T4_T3_P12ihipStream_tbEUlT_E_NS1_11comp_targetILNS1_3genE3ELNS1_11target_archE908ELNS1_3gpuE7ELNS1_3repE0EEENS1_30default_config_static_selectorELNS0_4arch9wavefront6targetE1EEEvSP_.num_vgpr, 0
	.set _ZN7rocprim17ROCPRIM_400000_NS6detail17trampoline_kernelINS0_14default_configENS1_32segmented_reduce_config_selectorIfEEZNS1_21segmented_reduce_implIS3_PKfPfPKlfN6hipcub16HIPCUB_304000_NS6detail27convert_result_type_wrapperIS8_S9_N2at6native12_GLOBAL__N_19CustomMaxEEEEE10hipError_tPvRmT0_T1_jT2_SQ_T4_T3_P12ihipStream_tbEUlT_E_NS1_11comp_targetILNS1_3genE3ELNS1_11target_archE908ELNS1_3gpuE7ELNS1_3repE0EEENS1_30default_config_static_selectorELNS0_4arch9wavefront6targetE1EEEvSP_.num_agpr, 0
	.set _ZN7rocprim17ROCPRIM_400000_NS6detail17trampoline_kernelINS0_14default_configENS1_32segmented_reduce_config_selectorIfEEZNS1_21segmented_reduce_implIS3_PKfPfPKlfN6hipcub16HIPCUB_304000_NS6detail27convert_result_type_wrapperIS8_S9_N2at6native12_GLOBAL__N_19CustomMaxEEEEE10hipError_tPvRmT0_T1_jT2_SQ_T4_T3_P12ihipStream_tbEUlT_E_NS1_11comp_targetILNS1_3genE3ELNS1_11target_archE908ELNS1_3gpuE7ELNS1_3repE0EEENS1_30default_config_static_selectorELNS0_4arch9wavefront6targetE1EEEvSP_.numbered_sgpr, 0
	.set _ZN7rocprim17ROCPRIM_400000_NS6detail17trampoline_kernelINS0_14default_configENS1_32segmented_reduce_config_selectorIfEEZNS1_21segmented_reduce_implIS3_PKfPfPKlfN6hipcub16HIPCUB_304000_NS6detail27convert_result_type_wrapperIS8_S9_N2at6native12_GLOBAL__N_19CustomMaxEEEEE10hipError_tPvRmT0_T1_jT2_SQ_T4_T3_P12ihipStream_tbEUlT_E_NS1_11comp_targetILNS1_3genE3ELNS1_11target_archE908ELNS1_3gpuE7ELNS1_3repE0EEENS1_30default_config_static_selectorELNS0_4arch9wavefront6targetE1EEEvSP_.num_named_barrier, 0
	.set _ZN7rocprim17ROCPRIM_400000_NS6detail17trampoline_kernelINS0_14default_configENS1_32segmented_reduce_config_selectorIfEEZNS1_21segmented_reduce_implIS3_PKfPfPKlfN6hipcub16HIPCUB_304000_NS6detail27convert_result_type_wrapperIS8_S9_N2at6native12_GLOBAL__N_19CustomMaxEEEEE10hipError_tPvRmT0_T1_jT2_SQ_T4_T3_P12ihipStream_tbEUlT_E_NS1_11comp_targetILNS1_3genE3ELNS1_11target_archE908ELNS1_3gpuE7ELNS1_3repE0EEENS1_30default_config_static_selectorELNS0_4arch9wavefront6targetE1EEEvSP_.private_seg_size, 0
	.set _ZN7rocprim17ROCPRIM_400000_NS6detail17trampoline_kernelINS0_14default_configENS1_32segmented_reduce_config_selectorIfEEZNS1_21segmented_reduce_implIS3_PKfPfPKlfN6hipcub16HIPCUB_304000_NS6detail27convert_result_type_wrapperIS8_S9_N2at6native12_GLOBAL__N_19CustomMaxEEEEE10hipError_tPvRmT0_T1_jT2_SQ_T4_T3_P12ihipStream_tbEUlT_E_NS1_11comp_targetILNS1_3genE3ELNS1_11target_archE908ELNS1_3gpuE7ELNS1_3repE0EEENS1_30default_config_static_selectorELNS0_4arch9wavefront6targetE1EEEvSP_.uses_vcc, 0
	.set _ZN7rocprim17ROCPRIM_400000_NS6detail17trampoline_kernelINS0_14default_configENS1_32segmented_reduce_config_selectorIfEEZNS1_21segmented_reduce_implIS3_PKfPfPKlfN6hipcub16HIPCUB_304000_NS6detail27convert_result_type_wrapperIS8_S9_N2at6native12_GLOBAL__N_19CustomMaxEEEEE10hipError_tPvRmT0_T1_jT2_SQ_T4_T3_P12ihipStream_tbEUlT_E_NS1_11comp_targetILNS1_3genE3ELNS1_11target_archE908ELNS1_3gpuE7ELNS1_3repE0EEENS1_30default_config_static_selectorELNS0_4arch9wavefront6targetE1EEEvSP_.uses_flat_scratch, 0
	.set _ZN7rocprim17ROCPRIM_400000_NS6detail17trampoline_kernelINS0_14default_configENS1_32segmented_reduce_config_selectorIfEEZNS1_21segmented_reduce_implIS3_PKfPfPKlfN6hipcub16HIPCUB_304000_NS6detail27convert_result_type_wrapperIS8_S9_N2at6native12_GLOBAL__N_19CustomMaxEEEEE10hipError_tPvRmT0_T1_jT2_SQ_T4_T3_P12ihipStream_tbEUlT_E_NS1_11comp_targetILNS1_3genE3ELNS1_11target_archE908ELNS1_3gpuE7ELNS1_3repE0EEENS1_30default_config_static_selectorELNS0_4arch9wavefront6targetE1EEEvSP_.has_dyn_sized_stack, 0
	.set _ZN7rocprim17ROCPRIM_400000_NS6detail17trampoline_kernelINS0_14default_configENS1_32segmented_reduce_config_selectorIfEEZNS1_21segmented_reduce_implIS3_PKfPfPKlfN6hipcub16HIPCUB_304000_NS6detail27convert_result_type_wrapperIS8_S9_N2at6native12_GLOBAL__N_19CustomMaxEEEEE10hipError_tPvRmT0_T1_jT2_SQ_T4_T3_P12ihipStream_tbEUlT_E_NS1_11comp_targetILNS1_3genE3ELNS1_11target_archE908ELNS1_3gpuE7ELNS1_3repE0EEENS1_30default_config_static_selectorELNS0_4arch9wavefront6targetE1EEEvSP_.has_recursion, 0
	.set _ZN7rocprim17ROCPRIM_400000_NS6detail17trampoline_kernelINS0_14default_configENS1_32segmented_reduce_config_selectorIfEEZNS1_21segmented_reduce_implIS3_PKfPfPKlfN6hipcub16HIPCUB_304000_NS6detail27convert_result_type_wrapperIS8_S9_N2at6native12_GLOBAL__N_19CustomMaxEEEEE10hipError_tPvRmT0_T1_jT2_SQ_T4_T3_P12ihipStream_tbEUlT_E_NS1_11comp_targetILNS1_3genE3ELNS1_11target_archE908ELNS1_3gpuE7ELNS1_3repE0EEENS1_30default_config_static_selectorELNS0_4arch9wavefront6targetE1EEEvSP_.has_indirect_call, 0
	.section	.AMDGPU.csdata,"",@progbits
; Kernel info:
; codeLenInByte = 0
; TotalNumSgprs: 4
; NumVgprs: 0
; ScratchSize: 0
; MemoryBound: 0
; FloatMode: 240
; IeeeMode: 1
; LDSByteSize: 0 bytes/workgroup (compile time only)
; SGPRBlocks: 0
; VGPRBlocks: 0
; NumSGPRsForWavesPerEU: 4
; NumVGPRsForWavesPerEU: 1
; Occupancy: 10
; WaveLimiterHint : 0
; COMPUTE_PGM_RSRC2:SCRATCH_EN: 0
; COMPUTE_PGM_RSRC2:USER_SGPR: 6
; COMPUTE_PGM_RSRC2:TRAP_HANDLER: 0
; COMPUTE_PGM_RSRC2:TGID_X_EN: 1
; COMPUTE_PGM_RSRC2:TGID_Y_EN: 0
; COMPUTE_PGM_RSRC2:TGID_Z_EN: 0
; COMPUTE_PGM_RSRC2:TIDIG_COMP_CNT: 0
	.section	.text._ZN7rocprim17ROCPRIM_400000_NS6detail17trampoline_kernelINS0_14default_configENS1_32segmented_reduce_config_selectorIfEEZNS1_21segmented_reduce_implIS3_PKfPfPKlfN6hipcub16HIPCUB_304000_NS6detail27convert_result_type_wrapperIS8_S9_N2at6native12_GLOBAL__N_19CustomMaxEEEEE10hipError_tPvRmT0_T1_jT2_SQ_T4_T3_P12ihipStream_tbEUlT_E_NS1_11comp_targetILNS1_3genE2ELNS1_11target_archE906ELNS1_3gpuE6ELNS1_3repE0EEENS1_30default_config_static_selectorELNS0_4arch9wavefront6targetE1EEEvSP_,"axG",@progbits,_ZN7rocprim17ROCPRIM_400000_NS6detail17trampoline_kernelINS0_14default_configENS1_32segmented_reduce_config_selectorIfEEZNS1_21segmented_reduce_implIS3_PKfPfPKlfN6hipcub16HIPCUB_304000_NS6detail27convert_result_type_wrapperIS8_S9_N2at6native12_GLOBAL__N_19CustomMaxEEEEE10hipError_tPvRmT0_T1_jT2_SQ_T4_T3_P12ihipStream_tbEUlT_E_NS1_11comp_targetILNS1_3genE2ELNS1_11target_archE906ELNS1_3gpuE6ELNS1_3repE0EEENS1_30default_config_static_selectorELNS0_4arch9wavefront6targetE1EEEvSP_,comdat
	.globl	_ZN7rocprim17ROCPRIM_400000_NS6detail17trampoline_kernelINS0_14default_configENS1_32segmented_reduce_config_selectorIfEEZNS1_21segmented_reduce_implIS3_PKfPfPKlfN6hipcub16HIPCUB_304000_NS6detail27convert_result_type_wrapperIS8_S9_N2at6native12_GLOBAL__N_19CustomMaxEEEEE10hipError_tPvRmT0_T1_jT2_SQ_T4_T3_P12ihipStream_tbEUlT_E_NS1_11comp_targetILNS1_3genE2ELNS1_11target_archE906ELNS1_3gpuE6ELNS1_3repE0EEENS1_30default_config_static_selectorELNS0_4arch9wavefront6targetE1EEEvSP_ ; -- Begin function _ZN7rocprim17ROCPRIM_400000_NS6detail17trampoline_kernelINS0_14default_configENS1_32segmented_reduce_config_selectorIfEEZNS1_21segmented_reduce_implIS3_PKfPfPKlfN6hipcub16HIPCUB_304000_NS6detail27convert_result_type_wrapperIS8_S9_N2at6native12_GLOBAL__N_19CustomMaxEEEEE10hipError_tPvRmT0_T1_jT2_SQ_T4_T3_P12ihipStream_tbEUlT_E_NS1_11comp_targetILNS1_3genE2ELNS1_11target_archE906ELNS1_3gpuE6ELNS1_3repE0EEENS1_30default_config_static_selectorELNS0_4arch9wavefront6targetE1EEEvSP_
	.p2align	8
	.type	_ZN7rocprim17ROCPRIM_400000_NS6detail17trampoline_kernelINS0_14default_configENS1_32segmented_reduce_config_selectorIfEEZNS1_21segmented_reduce_implIS3_PKfPfPKlfN6hipcub16HIPCUB_304000_NS6detail27convert_result_type_wrapperIS8_S9_N2at6native12_GLOBAL__N_19CustomMaxEEEEE10hipError_tPvRmT0_T1_jT2_SQ_T4_T3_P12ihipStream_tbEUlT_E_NS1_11comp_targetILNS1_3genE2ELNS1_11target_archE906ELNS1_3gpuE6ELNS1_3repE0EEENS1_30default_config_static_selectorELNS0_4arch9wavefront6targetE1EEEvSP_,@function
_ZN7rocprim17ROCPRIM_400000_NS6detail17trampoline_kernelINS0_14default_configENS1_32segmented_reduce_config_selectorIfEEZNS1_21segmented_reduce_implIS3_PKfPfPKlfN6hipcub16HIPCUB_304000_NS6detail27convert_result_type_wrapperIS8_S9_N2at6native12_GLOBAL__N_19CustomMaxEEEEE10hipError_tPvRmT0_T1_jT2_SQ_T4_T3_P12ihipStream_tbEUlT_E_NS1_11comp_targetILNS1_3genE2ELNS1_11target_archE906ELNS1_3gpuE6ELNS1_3repE0EEENS1_30default_config_static_selectorELNS0_4arch9wavefront6targetE1EEEvSP_: ; @_ZN7rocprim17ROCPRIM_400000_NS6detail17trampoline_kernelINS0_14default_configENS1_32segmented_reduce_config_selectorIfEEZNS1_21segmented_reduce_implIS3_PKfPfPKlfN6hipcub16HIPCUB_304000_NS6detail27convert_result_type_wrapperIS8_S9_N2at6native12_GLOBAL__N_19CustomMaxEEEEE10hipError_tPvRmT0_T1_jT2_SQ_T4_T3_P12ihipStream_tbEUlT_E_NS1_11comp_targetILNS1_3genE2ELNS1_11target_archE906ELNS1_3gpuE6ELNS1_3repE0EEENS1_30default_config_static_selectorELNS0_4arch9wavefront6targetE1EEEvSP_
; %bb.0:
	s_load_dwordx8 s[8:15], s[4:5], 0x0
	s_load_dwordx2 s[0:1], s[4:5], 0x20
	s_load_dword s22, s[4:5], 0x2c
	s_mov_b32 s7, 0
	s_waitcnt lgkmcnt(0)
	s_lshl_b64 s[2:3], s[12:13], 3
	s_add_u32 s4, s14, s2
	s_addc_u32 s5, s15, s3
	s_add_u32 s16, s0, s2
	s_addc_u32 s17, s1, s3
	s_lshl_b64 s[0:1], s[6:7], 3
	s_add_u32 s2, s4, s0
	s_addc_u32 s3, s5, s1
	s_load_dwordx2 s[14:15], s[2:3], 0x0
	s_add_u32 s0, s16, s0
	s_addc_u32 s1, s17, s1
	s_load_dwordx2 s[4:5], s[0:1], 0x0
	v_cmp_eq_u32_e64 s[0:1], 0, v0
	s_waitcnt lgkmcnt(0)
	v_mov_b32_e32 v1, s14
	v_mov_b32_e32 v2, s15
	v_cmp_gt_i64_e32 vcc, s[4:5], v[1:2]
	s_cbranch_vccnz .LBB184_3
; %bb.1:
	s_and_b64 s[2:3], s[0:1], exec
	s_cbranch_execz .LBB184_4
; %bb.2:
	v_mov_b32_e32 v1, s22
	s_and_saveexec_b64 s[0:1], s[2:3]
	s_cbranch_execnz .LBB184_373
	s_branch .LBB184_374
.LBB184_3:
	s_mov_b64 s[2:3], 0
.LBB184_4:
	s_add_u32 s0, s14, 0x1000
	v_mov_b32_e32 v1, s4
	s_addc_u32 s1, s15, 0
	v_mov_b32_e32 v2, s5
	v_cmp_le_i64_e32 vcc, s[0:1], v[1:2]
	s_cbranch_vccz .LBB184_20
; %bb.5:
	s_lshl_b64 s[16:17], s[14:15], 2
	s_add_u32 s18, s8, s16
	s_addc_u32 s19, s9, s17
	v_lshlrev_b32_e32 v20, 2, v0
	v_mov_b32_e32 v1, s19
	v_add_co_u32_e32 v3, vcc, s18, v20
	v_addc_co_u32_e32 v4, vcc, 0, v1, vcc
	v_add_co_u32_e32 v1, vcc, 0x1000, v3
	v_addc_co_u32_e32 v2, vcc, 0, v4, vcc
	global_load_dword v19, v20, s[18:19]
	global_load_dword v18, v20, s[18:19] offset:1024
	global_load_dword v17, v20, s[18:19] offset:2048
	;; [unrolled: 1-line block ×3, first 2 shown]
	global_load_dword v15, v[1:2], off
	global_load_dword v14, v[1:2], off offset:1024
	global_load_dword v13, v[1:2], off offset:2048
	global_load_dword v12, v[1:2], off offset:3072
	v_add_co_u32_e32 v1, vcc, 0x2000, v3
	v_addc_co_u32_e32 v2, vcc, 0, v4, vcc
	v_add_co_u32_e32 v21, vcc, 0x3000, v3
	v_addc_co_u32_e32 v22, vcc, 0, v4, vcc
	global_load_dword v11, v[1:2], off
	global_load_dword v10, v[1:2], off offset:1024
	global_load_dword v8, v[1:2], off offset:2048
	;; [unrolled: 1-line block ×3, first 2 shown]
	global_load_dword v6, v[21:22], off
	global_load_dword v5, v[21:22], off offset:1024
	global_load_dword v4, v[21:22], off offset:2048
	;; [unrolled: 1-line block ×3, first 2 shown]
	s_waitcnt vmcnt(15)
	v_cmp_o_f32_e32 vcc, v19, v19
	v_mov_b32_e32 v9, v19
	s_and_saveexec_b64 s[18:19], vcc
	s_cbranch_execnz .LBB184_21
; %bb.6:
	s_or_b64 exec, exec, s[18:19]
	v_cmp_o_f32_e32 vcc, v9, v9
	s_and_saveexec_b64 s[18:19], vcc
	s_cbranch_execnz .LBB184_24
.LBB184_7:
	s_or_b64 exec, exec, s[18:19]
	v_cmp_o_f32_e32 vcc, v9, v9
	s_and_saveexec_b64 s[18:19], vcc
	s_cbranch_execnz .LBB184_27
.LBB184_8:
	s_or_b64 exec, exec, s[18:19]
	v_cmp_o_f32_e32 vcc, v9, v9
	s_and_saveexec_b64 s[18:19], vcc
	s_cbranch_execnz .LBB184_30
.LBB184_9:
	s_or_b64 exec, exec, s[18:19]
	v_cmp_o_f32_e32 vcc, v9, v9
	s_and_saveexec_b64 s[18:19], vcc
	s_cbranch_execnz .LBB184_33
.LBB184_10:
	s_or_b64 exec, exec, s[18:19]
	v_cmp_o_f32_e32 vcc, v9, v9
	s_and_saveexec_b64 s[18:19], vcc
	s_cbranch_execnz .LBB184_36
.LBB184_11:
	s_or_b64 exec, exec, s[18:19]
	v_cmp_o_f32_e32 vcc, v9, v9
	s_and_saveexec_b64 s[18:19], vcc
	s_cbranch_execnz .LBB184_39
.LBB184_12:
	s_or_b64 exec, exec, s[18:19]
	v_cmp_o_f32_e32 vcc, v9, v9
	s_and_saveexec_b64 s[18:19], vcc
	s_cbranch_execnz .LBB184_42
.LBB184_13:
	s_or_b64 exec, exec, s[18:19]
	v_cmp_o_f32_e32 vcc, v9, v9
	s_and_saveexec_b64 s[18:19], vcc
	s_cbranch_execnz .LBB184_45
.LBB184_14:
	s_or_b64 exec, exec, s[18:19]
	v_cmp_o_f32_e32 vcc, v9, v9
	s_and_saveexec_b64 s[18:19], vcc
	s_cbranch_execnz .LBB184_48
.LBB184_15:
	s_or_b64 exec, exec, s[18:19]
	v_cmp_o_f32_e32 vcc, v9, v9
	s_and_saveexec_b64 s[18:19], vcc
	s_cbranch_execnz .LBB184_51
.LBB184_16:
	s_or_b64 exec, exec, s[18:19]
	v_cmp_o_f32_e32 vcc, v9, v9
	s_and_saveexec_b64 s[18:19], vcc
	s_cbranch_execnz .LBB184_54
.LBB184_17:
	s_or_b64 exec, exec, s[18:19]
	v_cmp_o_f32_e32 vcc, v9, v9
	s_and_saveexec_b64 s[18:19], vcc
	s_cbranch_execnz .LBB184_57
.LBB184_18:
	s_or_b64 exec, exec, s[18:19]
	v_cmp_o_f32_e32 vcc, v9, v9
	s_and_saveexec_b64 s[18:19], vcc
	s_cbranch_execnz .LBB184_60
.LBB184_19:
	s_or_b64 exec, exec, s[18:19]
	v_cmp_o_f32_e32 vcc, v9, v9
	s_and_saveexec_b64 s[18:19], vcc
	s_cbranch_execnz .LBB184_63
	s_branch .LBB184_66
.LBB184_20:
                                        ; implicit-def: $vgpr3
	s_cbranch_execnz .LBB184_268
	s_branch .LBB184_366
.LBB184_21:
	s_waitcnt vmcnt(14)
	v_cmp_o_f32_e32 vcc, v18, v18
	v_mov_b32_e32 v9, v18
	s_and_saveexec_b64 s[20:21], vcc
; %bb.22:
	v_cmp_lt_f32_e32 vcc, v19, v18
	v_cndmask_b32_e32 v9, v19, v18, vcc
; %bb.23:
	s_or_b64 exec, exec, s[20:21]
	s_or_b64 exec, exec, s[18:19]
	v_cmp_o_f32_e32 vcc, v9, v9
	s_and_saveexec_b64 s[18:19], vcc
	s_cbranch_execz .LBB184_7
.LBB184_24:
	s_waitcnt vmcnt(13)
	v_cmp_o_f32_e32 vcc, v17, v17
	v_mov_b32_e32 v1, v17
	s_and_saveexec_b64 s[20:21], vcc
; %bb.25:
	v_cmp_lt_f32_e32 vcc, v9, v17
	v_cndmask_b32_e32 v1, v9, v17, vcc
; %bb.26:
	s_or_b64 exec, exec, s[20:21]
	v_mov_b32_e32 v9, v1
	s_or_b64 exec, exec, s[18:19]
	v_cmp_o_f32_e32 vcc, v9, v9
	s_and_saveexec_b64 s[18:19], vcc
	s_cbranch_execz .LBB184_8
.LBB184_27:
	s_waitcnt vmcnt(12)
	v_cmp_o_f32_e32 vcc, v16, v16
	v_mov_b32_e32 v1, v16
	s_and_saveexec_b64 s[20:21], vcc
; %bb.28:
	v_cmp_lt_f32_e32 vcc, v9, v16
	v_cndmask_b32_e32 v1, v9, v16, vcc
; %bb.29:
	s_or_b64 exec, exec, s[20:21]
	v_mov_b32_e32 v9, v1
	s_or_b64 exec, exec, s[18:19]
	v_cmp_o_f32_e32 vcc, v9, v9
	s_and_saveexec_b64 s[18:19], vcc
	s_cbranch_execz .LBB184_9
.LBB184_30:
	s_waitcnt vmcnt(11)
	v_cmp_o_f32_e32 vcc, v15, v15
	v_mov_b32_e32 v1, v15
	s_and_saveexec_b64 s[20:21], vcc
; %bb.31:
	v_cmp_lt_f32_e32 vcc, v9, v15
	v_cndmask_b32_e32 v1, v9, v15, vcc
; %bb.32:
	s_or_b64 exec, exec, s[20:21]
	v_mov_b32_e32 v9, v1
	s_or_b64 exec, exec, s[18:19]
	v_cmp_o_f32_e32 vcc, v9, v9
	s_and_saveexec_b64 s[18:19], vcc
	s_cbranch_execz .LBB184_10
.LBB184_33:
	s_waitcnt vmcnt(10)
	v_cmp_o_f32_e32 vcc, v14, v14
	v_mov_b32_e32 v1, v14
	s_and_saveexec_b64 s[20:21], vcc
; %bb.34:
	v_cmp_lt_f32_e32 vcc, v9, v14
	v_cndmask_b32_e32 v1, v9, v14, vcc
; %bb.35:
	s_or_b64 exec, exec, s[20:21]
	v_mov_b32_e32 v9, v1
	s_or_b64 exec, exec, s[18:19]
	v_cmp_o_f32_e32 vcc, v9, v9
	s_and_saveexec_b64 s[18:19], vcc
	s_cbranch_execz .LBB184_11
.LBB184_36:
	s_waitcnt vmcnt(9)
	v_cmp_o_f32_e32 vcc, v13, v13
	v_mov_b32_e32 v1, v13
	s_and_saveexec_b64 s[20:21], vcc
; %bb.37:
	v_cmp_lt_f32_e32 vcc, v9, v13
	v_cndmask_b32_e32 v1, v9, v13, vcc
; %bb.38:
	s_or_b64 exec, exec, s[20:21]
	v_mov_b32_e32 v9, v1
	s_or_b64 exec, exec, s[18:19]
	v_cmp_o_f32_e32 vcc, v9, v9
	s_and_saveexec_b64 s[18:19], vcc
	s_cbranch_execz .LBB184_12
.LBB184_39:
	s_waitcnt vmcnt(8)
	v_cmp_o_f32_e32 vcc, v12, v12
	v_mov_b32_e32 v1, v12
	s_and_saveexec_b64 s[20:21], vcc
; %bb.40:
	v_cmp_lt_f32_e32 vcc, v9, v12
	v_cndmask_b32_e32 v1, v9, v12, vcc
; %bb.41:
	s_or_b64 exec, exec, s[20:21]
	v_mov_b32_e32 v9, v1
	s_or_b64 exec, exec, s[18:19]
	v_cmp_o_f32_e32 vcc, v9, v9
	s_and_saveexec_b64 s[18:19], vcc
	s_cbranch_execz .LBB184_13
.LBB184_42:
	s_waitcnt vmcnt(7)
	v_cmp_o_f32_e32 vcc, v11, v11
	v_mov_b32_e32 v1, v11
	s_and_saveexec_b64 s[20:21], vcc
; %bb.43:
	v_cmp_lt_f32_e32 vcc, v9, v11
	v_cndmask_b32_e32 v1, v9, v11, vcc
; %bb.44:
	s_or_b64 exec, exec, s[20:21]
	v_mov_b32_e32 v9, v1
	s_or_b64 exec, exec, s[18:19]
	v_cmp_o_f32_e32 vcc, v9, v9
	s_and_saveexec_b64 s[18:19], vcc
	s_cbranch_execz .LBB184_14
.LBB184_45:
	s_waitcnt vmcnt(6)
	v_cmp_o_f32_e32 vcc, v10, v10
	v_mov_b32_e32 v1, v10
	s_and_saveexec_b64 s[20:21], vcc
; %bb.46:
	v_cmp_lt_f32_e32 vcc, v9, v10
	v_cndmask_b32_e32 v1, v9, v10, vcc
; %bb.47:
	s_or_b64 exec, exec, s[20:21]
	v_mov_b32_e32 v9, v1
	s_or_b64 exec, exec, s[18:19]
	v_cmp_o_f32_e32 vcc, v9, v9
	s_and_saveexec_b64 s[18:19], vcc
	s_cbranch_execz .LBB184_15
.LBB184_48:
	s_waitcnt vmcnt(5)
	v_cmp_o_f32_e32 vcc, v8, v8
	v_mov_b32_e32 v1, v8
	s_and_saveexec_b64 s[20:21], vcc
; %bb.49:
	v_cmp_lt_f32_e32 vcc, v9, v8
	v_cndmask_b32_e32 v1, v9, v8, vcc
; %bb.50:
	s_or_b64 exec, exec, s[20:21]
	v_mov_b32_e32 v9, v1
	s_or_b64 exec, exec, s[18:19]
	v_cmp_o_f32_e32 vcc, v9, v9
	s_and_saveexec_b64 s[18:19], vcc
	s_cbranch_execz .LBB184_16
.LBB184_51:
	s_waitcnt vmcnt(4)
	v_cmp_o_f32_e32 vcc, v7, v7
	v_mov_b32_e32 v1, v7
	s_and_saveexec_b64 s[20:21], vcc
; %bb.52:
	v_cmp_lt_f32_e32 vcc, v9, v7
	v_cndmask_b32_e32 v1, v9, v7, vcc
; %bb.53:
	s_or_b64 exec, exec, s[20:21]
	v_mov_b32_e32 v9, v1
	s_or_b64 exec, exec, s[18:19]
	v_cmp_o_f32_e32 vcc, v9, v9
	s_and_saveexec_b64 s[18:19], vcc
	s_cbranch_execz .LBB184_17
.LBB184_54:
	s_waitcnt vmcnt(3)
	v_cmp_o_f32_e32 vcc, v6, v6
	v_mov_b32_e32 v1, v6
	s_and_saveexec_b64 s[20:21], vcc
; %bb.55:
	v_cmp_lt_f32_e32 vcc, v9, v6
	v_cndmask_b32_e32 v1, v9, v6, vcc
; %bb.56:
	s_or_b64 exec, exec, s[20:21]
	v_mov_b32_e32 v9, v1
	s_or_b64 exec, exec, s[18:19]
	v_cmp_o_f32_e32 vcc, v9, v9
	s_and_saveexec_b64 s[18:19], vcc
	s_cbranch_execz .LBB184_18
.LBB184_57:
	s_waitcnt vmcnt(2)
	v_cmp_o_f32_e32 vcc, v5, v5
	v_mov_b32_e32 v1, v5
	s_and_saveexec_b64 s[20:21], vcc
; %bb.58:
	v_cmp_lt_f32_e32 vcc, v9, v5
	v_cndmask_b32_e32 v1, v9, v5, vcc
; %bb.59:
	s_or_b64 exec, exec, s[20:21]
	v_mov_b32_e32 v9, v1
	s_or_b64 exec, exec, s[18:19]
	v_cmp_o_f32_e32 vcc, v9, v9
	s_and_saveexec_b64 s[18:19], vcc
	s_cbranch_execz .LBB184_19
.LBB184_60:
	s_waitcnt vmcnt(1)
	v_cmp_o_f32_e32 vcc, v4, v4
	v_mov_b32_e32 v1, v4
	s_and_saveexec_b64 s[20:21], vcc
; %bb.61:
	v_cmp_lt_f32_e32 vcc, v9, v4
	v_cndmask_b32_e32 v1, v9, v4, vcc
; %bb.62:
	s_or_b64 exec, exec, s[20:21]
	v_mov_b32_e32 v9, v1
	s_or_b64 exec, exec, s[18:19]
	v_cmp_o_f32_e32 vcc, v9, v9
	s_and_saveexec_b64 s[18:19], vcc
	s_cbranch_execz .LBB184_66
.LBB184_63:
	s_waitcnt vmcnt(0)
	v_cmp_o_f32_e32 vcc, v3, v3
	v_mov_b32_e32 v1, v3
	s_and_saveexec_b64 s[20:21], vcc
; %bb.64:
	v_cmp_lt_f32_e32 vcc, v9, v3
	v_cndmask_b32_e32 v1, v9, v3, vcc
; %bb.65:
	s_or_b64 exec, exec, s[20:21]
	v_mov_b32_e32 v9, v1
.LBB184_66:
	s_or_b64 exec, exec, s[18:19]
	s_add_u32 s18, s14, 0x2000
	v_mov_b32_e32 v1, s4
	s_addc_u32 s19, s15, 0
	v_mov_b32_e32 v2, s5
	v_cmp_ge_i64_e32 vcc, s[18:19], v[1:2]
	s_cbranch_vccnz .LBB184_134
; %bb.67:
	s_add_u32 s16, s8, s16
	s_addc_u32 s17, s9, s17
	v_mov_b32_e32 v1, s17
	v_add_co_u32_e32 v2, vcc, s16, v20
	s_waitcnt vmcnt(0)
	v_addc_co_u32_e32 v3, vcc, 0, v1, vcc
	v_add_co_u32_e32 v1, vcc, 0x4000, v2
	v_addc_co_u32_e32 v2, vcc, 0, v3, vcc
.LBB184_68:                             ; =>This Inner Loop Header: Depth=1
	s_waitcnt vmcnt(0)
	v_add_co_u32_e32 v3, vcc, 0x1000, v1
	v_addc_co_u32_e32 v4, vcc, 0, v2, vcc
	v_add_co_u32_e32 v5, vcc, 0x2000, v1
	v_addc_co_u32_e32 v6, vcc, 0, v2, vcc
	v_add_co_u32_e32 v21, vcc, 0x3000, v1
	global_load_dword v15, v[3:4], off
	global_load_dword v14, v[3:4], off offset:1024
	global_load_dword v13, v[3:4], off offset:2048
	;; [unrolled: 1-line block ×3, first 2 shown]
	global_load_dword v11, v[5:6], off
	global_load_dword v10, v[5:6], off offset:1024
	global_load_dword v8, v[5:6], off offset:2048
	;; [unrolled: 1-line block ×3, first 2 shown]
	v_addc_co_u32_e32 v22, vcc, 0, v2, vcc
	global_load_dword v19, v[1:2], off
	global_load_dword v18, v[1:2], off offset:1024
	global_load_dword v17, v[1:2], off offset:2048
	;; [unrolled: 1-line block ×3, first 2 shown]
	global_load_dword v6, v[21:22], off
	global_load_dword v5, v[21:22], off offset:1024
	global_load_dword v4, v[21:22], off offset:2048
	global_load_dword v3, v[21:22], off offset:3072
	v_cmp_o_f32_e32 vcc, v9, v9
	s_and_saveexec_b64 s[16:17], vcc
	s_cbranch_execnz .LBB184_84
; %bb.69:                               ;   in Loop: Header=BB184_68 Depth=1
	s_or_b64 exec, exec, s[16:17]
	v_cmp_o_f32_e32 vcc, v9, v9
	s_and_saveexec_b64 s[16:17], vcc
	s_cbranch_execnz .LBB184_87
.LBB184_70:                             ;   in Loop: Header=BB184_68 Depth=1
	s_or_b64 exec, exec, s[16:17]
	v_cmp_o_f32_e32 vcc, v9, v9
	s_and_saveexec_b64 s[16:17], vcc
	s_cbranch_execnz .LBB184_90
.LBB184_71:                             ;   in Loop: Header=BB184_68 Depth=1
	s_or_b64 exec, exec, s[16:17]
	v_cmp_o_f32_e32 vcc, v9, v9
	s_and_saveexec_b64 s[16:17], vcc
	s_cbranch_execnz .LBB184_93
.LBB184_72:                             ;   in Loop: Header=BB184_68 Depth=1
	s_or_b64 exec, exec, s[16:17]
	v_cmp_o_f32_e32 vcc, v9, v9
	s_and_saveexec_b64 s[16:17], vcc
	s_cbranch_execnz .LBB184_96
.LBB184_73:                             ;   in Loop: Header=BB184_68 Depth=1
	s_or_b64 exec, exec, s[16:17]
	v_cmp_o_f32_e32 vcc, v9, v9
	s_and_saveexec_b64 s[16:17], vcc
	s_cbranch_execnz .LBB184_99
.LBB184_74:                             ;   in Loop: Header=BB184_68 Depth=1
	s_or_b64 exec, exec, s[16:17]
	v_cmp_o_f32_e32 vcc, v9, v9
	s_and_saveexec_b64 s[16:17], vcc
	s_cbranch_execnz .LBB184_102
.LBB184_75:                             ;   in Loop: Header=BB184_68 Depth=1
	s_or_b64 exec, exec, s[16:17]
	v_cmp_o_f32_e32 vcc, v9, v9
	s_and_saveexec_b64 s[16:17], vcc
	s_cbranch_execnz .LBB184_105
.LBB184_76:                             ;   in Loop: Header=BB184_68 Depth=1
	s_or_b64 exec, exec, s[16:17]
	v_cmp_o_f32_e32 vcc, v9, v9
	s_and_saveexec_b64 s[16:17], vcc
	s_cbranch_execnz .LBB184_108
.LBB184_77:                             ;   in Loop: Header=BB184_68 Depth=1
	s_or_b64 exec, exec, s[16:17]
	v_cmp_o_f32_e32 vcc, v9, v9
	s_and_saveexec_b64 s[16:17], vcc
	s_cbranch_execnz .LBB184_111
.LBB184_78:                             ;   in Loop: Header=BB184_68 Depth=1
	s_or_b64 exec, exec, s[16:17]
	v_cmp_o_f32_e32 vcc, v9, v9
	s_and_saveexec_b64 s[16:17], vcc
	s_cbranch_execnz .LBB184_114
.LBB184_79:                             ;   in Loop: Header=BB184_68 Depth=1
	s_or_b64 exec, exec, s[16:17]
	v_cmp_o_f32_e32 vcc, v9, v9
	s_and_saveexec_b64 s[16:17], vcc
	s_cbranch_execnz .LBB184_117
.LBB184_80:                             ;   in Loop: Header=BB184_68 Depth=1
	s_or_b64 exec, exec, s[16:17]
	v_cmp_o_f32_e32 vcc, v9, v9
	s_and_saveexec_b64 s[16:17], vcc
	s_cbranch_execnz .LBB184_120
.LBB184_81:                             ;   in Loop: Header=BB184_68 Depth=1
	s_or_b64 exec, exec, s[16:17]
	v_cmp_o_f32_e32 vcc, v9, v9
	s_and_saveexec_b64 s[16:17], vcc
	s_cbranch_execnz .LBB184_123
.LBB184_82:                             ;   in Loop: Header=BB184_68 Depth=1
	s_or_b64 exec, exec, s[16:17]
	v_cmp_o_f32_e32 vcc, v9, v9
	s_and_saveexec_b64 s[16:17], vcc
	s_cbranch_execnz .LBB184_126
.LBB184_83:                             ;   in Loop: Header=BB184_68 Depth=1
	s_or_b64 exec, exec, s[16:17]
	v_cmp_o_f32_e32 vcc, v9, v9
	s_and_saveexec_b64 s[16:17], vcc
	s_cbranch_execnz .LBB184_129
	s_branch .LBB184_132
.LBB184_84:                             ;   in Loop: Header=BB184_68 Depth=1
	s_waitcnt vmcnt(7)
	v_cmp_o_f32_e32 vcc, v19, v19
	v_mov_b32_e32 v21, v19
	s_and_saveexec_b64 s[18:19], vcc
; %bb.85:                               ;   in Loop: Header=BB184_68 Depth=1
	v_cmp_lt_f32_e32 vcc, v9, v19
	v_cndmask_b32_e32 v21, v9, v19, vcc
; %bb.86:                               ;   in Loop: Header=BB184_68 Depth=1
	s_or_b64 exec, exec, s[18:19]
	v_mov_b32_e32 v9, v21
	s_or_b64 exec, exec, s[16:17]
	v_cmp_o_f32_e32 vcc, v9, v9
	s_and_saveexec_b64 s[16:17], vcc
	s_cbranch_execz .LBB184_70
.LBB184_87:                             ;   in Loop: Header=BB184_68 Depth=1
	s_waitcnt vmcnt(6)
	v_cmp_o_f32_e32 vcc, v18, v18
	v_mov_b32_e32 v21, v18
	s_and_saveexec_b64 s[18:19], vcc
; %bb.88:                               ;   in Loop: Header=BB184_68 Depth=1
	v_cmp_lt_f32_e32 vcc, v9, v18
	v_cndmask_b32_e32 v21, v9, v18, vcc
; %bb.89:                               ;   in Loop: Header=BB184_68 Depth=1
	s_or_b64 exec, exec, s[18:19]
	v_mov_b32_e32 v9, v21
	s_or_b64 exec, exec, s[16:17]
	v_cmp_o_f32_e32 vcc, v9, v9
	s_and_saveexec_b64 s[16:17], vcc
	s_cbranch_execz .LBB184_71
.LBB184_90:                             ;   in Loop: Header=BB184_68 Depth=1
	s_waitcnt vmcnt(5)
	v_cmp_o_f32_e32 vcc, v17, v17
	v_mov_b32_e32 v21, v17
	s_and_saveexec_b64 s[18:19], vcc
; %bb.91:                               ;   in Loop: Header=BB184_68 Depth=1
	v_cmp_lt_f32_e32 vcc, v9, v17
	v_cndmask_b32_e32 v21, v9, v17, vcc
; %bb.92:                               ;   in Loop: Header=BB184_68 Depth=1
	s_or_b64 exec, exec, s[18:19]
	v_mov_b32_e32 v9, v21
	s_or_b64 exec, exec, s[16:17]
	v_cmp_o_f32_e32 vcc, v9, v9
	s_and_saveexec_b64 s[16:17], vcc
	s_cbranch_execz .LBB184_72
.LBB184_93:                             ;   in Loop: Header=BB184_68 Depth=1
	s_waitcnt vmcnt(4)
	v_cmp_o_f32_e32 vcc, v16, v16
	v_mov_b32_e32 v21, v16
	s_and_saveexec_b64 s[18:19], vcc
; %bb.94:                               ;   in Loop: Header=BB184_68 Depth=1
	v_cmp_lt_f32_e32 vcc, v9, v16
	v_cndmask_b32_e32 v21, v9, v16, vcc
; %bb.95:                               ;   in Loop: Header=BB184_68 Depth=1
	s_or_b64 exec, exec, s[18:19]
	v_mov_b32_e32 v9, v21
	s_or_b64 exec, exec, s[16:17]
	v_cmp_o_f32_e32 vcc, v9, v9
	s_and_saveexec_b64 s[16:17], vcc
	s_cbranch_execz .LBB184_73
.LBB184_96:                             ;   in Loop: Header=BB184_68 Depth=1
	s_waitcnt vmcnt(15)
	v_cmp_o_f32_e32 vcc, v15, v15
	v_mov_b32_e32 v21, v15
	s_and_saveexec_b64 s[18:19], vcc
; %bb.97:                               ;   in Loop: Header=BB184_68 Depth=1
	v_cmp_lt_f32_e32 vcc, v9, v15
	v_cndmask_b32_e32 v21, v9, v15, vcc
; %bb.98:                               ;   in Loop: Header=BB184_68 Depth=1
	s_or_b64 exec, exec, s[18:19]
	v_mov_b32_e32 v9, v21
	s_or_b64 exec, exec, s[16:17]
	v_cmp_o_f32_e32 vcc, v9, v9
	s_and_saveexec_b64 s[16:17], vcc
	s_cbranch_execz .LBB184_74
.LBB184_99:                             ;   in Loop: Header=BB184_68 Depth=1
	s_waitcnt vmcnt(14)
	v_cmp_o_f32_e32 vcc, v14, v14
	v_mov_b32_e32 v21, v14
	s_and_saveexec_b64 s[18:19], vcc
; %bb.100:                              ;   in Loop: Header=BB184_68 Depth=1
	v_cmp_lt_f32_e32 vcc, v9, v14
	v_cndmask_b32_e32 v21, v9, v14, vcc
; %bb.101:                              ;   in Loop: Header=BB184_68 Depth=1
	s_or_b64 exec, exec, s[18:19]
	v_mov_b32_e32 v9, v21
	s_or_b64 exec, exec, s[16:17]
	v_cmp_o_f32_e32 vcc, v9, v9
	s_and_saveexec_b64 s[16:17], vcc
	s_cbranch_execz .LBB184_75
.LBB184_102:                            ;   in Loop: Header=BB184_68 Depth=1
	s_waitcnt vmcnt(13)
	v_cmp_o_f32_e32 vcc, v13, v13
	v_mov_b32_e32 v21, v13
	s_and_saveexec_b64 s[18:19], vcc
; %bb.103:                              ;   in Loop: Header=BB184_68 Depth=1
	v_cmp_lt_f32_e32 vcc, v9, v13
	v_cndmask_b32_e32 v21, v9, v13, vcc
; %bb.104:                              ;   in Loop: Header=BB184_68 Depth=1
	s_or_b64 exec, exec, s[18:19]
	v_mov_b32_e32 v9, v21
	s_or_b64 exec, exec, s[16:17]
	v_cmp_o_f32_e32 vcc, v9, v9
	s_and_saveexec_b64 s[16:17], vcc
	s_cbranch_execz .LBB184_76
.LBB184_105:                            ;   in Loop: Header=BB184_68 Depth=1
	s_waitcnt vmcnt(12)
	v_cmp_o_f32_e32 vcc, v12, v12
	v_mov_b32_e32 v21, v12
	s_and_saveexec_b64 s[18:19], vcc
; %bb.106:                              ;   in Loop: Header=BB184_68 Depth=1
	v_cmp_lt_f32_e32 vcc, v9, v12
	v_cndmask_b32_e32 v21, v9, v12, vcc
; %bb.107:                              ;   in Loop: Header=BB184_68 Depth=1
	s_or_b64 exec, exec, s[18:19]
	v_mov_b32_e32 v9, v21
	s_or_b64 exec, exec, s[16:17]
	v_cmp_o_f32_e32 vcc, v9, v9
	s_and_saveexec_b64 s[16:17], vcc
	s_cbranch_execz .LBB184_77
.LBB184_108:                            ;   in Loop: Header=BB184_68 Depth=1
	s_waitcnt vmcnt(11)
	v_cmp_o_f32_e32 vcc, v11, v11
	v_mov_b32_e32 v21, v11
	s_and_saveexec_b64 s[18:19], vcc
; %bb.109:                              ;   in Loop: Header=BB184_68 Depth=1
	v_cmp_lt_f32_e32 vcc, v9, v11
	v_cndmask_b32_e32 v21, v9, v11, vcc
; %bb.110:                              ;   in Loop: Header=BB184_68 Depth=1
	s_or_b64 exec, exec, s[18:19]
	v_mov_b32_e32 v9, v21
	s_or_b64 exec, exec, s[16:17]
	v_cmp_o_f32_e32 vcc, v9, v9
	s_and_saveexec_b64 s[16:17], vcc
	s_cbranch_execz .LBB184_78
.LBB184_111:                            ;   in Loop: Header=BB184_68 Depth=1
	s_waitcnt vmcnt(10)
	v_cmp_o_f32_e32 vcc, v10, v10
	v_mov_b32_e32 v21, v10
	s_and_saveexec_b64 s[18:19], vcc
; %bb.112:                              ;   in Loop: Header=BB184_68 Depth=1
	v_cmp_lt_f32_e32 vcc, v9, v10
	v_cndmask_b32_e32 v21, v9, v10, vcc
; %bb.113:                              ;   in Loop: Header=BB184_68 Depth=1
	s_or_b64 exec, exec, s[18:19]
	v_mov_b32_e32 v9, v21
	s_or_b64 exec, exec, s[16:17]
	v_cmp_o_f32_e32 vcc, v9, v9
	s_and_saveexec_b64 s[16:17], vcc
	s_cbranch_execz .LBB184_79
.LBB184_114:                            ;   in Loop: Header=BB184_68 Depth=1
	s_waitcnt vmcnt(9)
	v_cmp_o_f32_e32 vcc, v8, v8
	v_mov_b32_e32 v21, v8
	s_and_saveexec_b64 s[18:19], vcc
; %bb.115:                              ;   in Loop: Header=BB184_68 Depth=1
	v_cmp_lt_f32_e32 vcc, v9, v8
	v_cndmask_b32_e32 v21, v9, v8, vcc
; %bb.116:                              ;   in Loop: Header=BB184_68 Depth=1
	s_or_b64 exec, exec, s[18:19]
	v_mov_b32_e32 v9, v21
	s_or_b64 exec, exec, s[16:17]
	v_cmp_o_f32_e32 vcc, v9, v9
	s_and_saveexec_b64 s[16:17], vcc
	s_cbranch_execz .LBB184_80
.LBB184_117:                            ;   in Loop: Header=BB184_68 Depth=1
	s_waitcnt vmcnt(8)
	v_cmp_o_f32_e32 vcc, v7, v7
	v_mov_b32_e32 v21, v7
	s_and_saveexec_b64 s[18:19], vcc
; %bb.118:                              ;   in Loop: Header=BB184_68 Depth=1
	v_cmp_lt_f32_e32 vcc, v9, v7
	v_cndmask_b32_e32 v21, v9, v7, vcc
; %bb.119:                              ;   in Loop: Header=BB184_68 Depth=1
	s_or_b64 exec, exec, s[18:19]
	v_mov_b32_e32 v9, v21
	s_or_b64 exec, exec, s[16:17]
	v_cmp_o_f32_e32 vcc, v9, v9
	s_and_saveexec_b64 s[16:17], vcc
	s_cbranch_execz .LBB184_81
.LBB184_120:                            ;   in Loop: Header=BB184_68 Depth=1
	s_waitcnt vmcnt(3)
	v_cmp_o_f32_e32 vcc, v6, v6
	v_mov_b32_e32 v21, v6
	s_and_saveexec_b64 s[18:19], vcc
; %bb.121:                              ;   in Loop: Header=BB184_68 Depth=1
	v_cmp_lt_f32_e32 vcc, v9, v6
	v_cndmask_b32_e32 v21, v9, v6, vcc
; %bb.122:                              ;   in Loop: Header=BB184_68 Depth=1
	s_or_b64 exec, exec, s[18:19]
	v_mov_b32_e32 v9, v21
	s_or_b64 exec, exec, s[16:17]
	v_cmp_o_f32_e32 vcc, v9, v9
	s_and_saveexec_b64 s[16:17], vcc
	s_cbranch_execz .LBB184_82
.LBB184_123:                            ;   in Loop: Header=BB184_68 Depth=1
	s_waitcnt vmcnt(2)
	v_cmp_o_f32_e32 vcc, v5, v5
	v_mov_b32_e32 v21, v5
	s_and_saveexec_b64 s[18:19], vcc
; %bb.124:                              ;   in Loop: Header=BB184_68 Depth=1
	v_cmp_lt_f32_e32 vcc, v9, v5
	v_cndmask_b32_e32 v21, v9, v5, vcc
; %bb.125:                              ;   in Loop: Header=BB184_68 Depth=1
	s_or_b64 exec, exec, s[18:19]
	v_mov_b32_e32 v9, v21
	s_or_b64 exec, exec, s[16:17]
	v_cmp_o_f32_e32 vcc, v9, v9
	s_and_saveexec_b64 s[16:17], vcc
	s_cbranch_execz .LBB184_83
.LBB184_126:                            ;   in Loop: Header=BB184_68 Depth=1
	s_waitcnt vmcnt(1)
	v_cmp_o_f32_e32 vcc, v4, v4
	v_mov_b32_e32 v21, v4
	s_and_saveexec_b64 s[18:19], vcc
; %bb.127:                              ;   in Loop: Header=BB184_68 Depth=1
	v_cmp_lt_f32_e32 vcc, v9, v4
	v_cndmask_b32_e32 v21, v9, v4, vcc
; %bb.128:                              ;   in Loop: Header=BB184_68 Depth=1
	s_or_b64 exec, exec, s[18:19]
	v_mov_b32_e32 v9, v21
	s_or_b64 exec, exec, s[16:17]
	v_cmp_o_f32_e32 vcc, v9, v9
	s_and_saveexec_b64 s[16:17], vcc
	s_cbranch_execz .LBB184_132
.LBB184_129:                            ;   in Loop: Header=BB184_68 Depth=1
	s_waitcnt vmcnt(0)
	v_cmp_o_f32_e32 vcc, v3, v3
	v_mov_b32_e32 v21, v3
	s_and_saveexec_b64 s[18:19], vcc
; %bb.130:                              ;   in Loop: Header=BB184_68 Depth=1
	v_cmp_lt_f32_e32 vcc, v9, v3
	v_cndmask_b32_e32 v21, v9, v3, vcc
; %bb.131:                              ;   in Loop: Header=BB184_68 Depth=1
	s_or_b64 exec, exec, s[18:19]
	v_mov_b32_e32 v9, v21
.LBB184_132:                            ;   in Loop: Header=BB184_68 Depth=1
	s_or_b64 exec, exec, s[16:17]
	s_add_u32 s16, s0, 0x1000
	s_addc_u32 s17, s1, 0
	s_add_u32 s0, s0, 0x2000
	v_mov_b32_e32 v22, s5
	s_addc_u32 s1, s1, 0
	v_mov_b32_e32 v21, s4
	v_add_co_u32_e32 v1, vcc, 0x4000, v1
	v_cmp_lt_i64_e64 s[0:1], s[0:1], v[21:22]
	v_addc_co_u32_e32 v2, vcc, 0, v2, vcc
	s_and_b64 vcc, exec, s[0:1]
	s_cbranch_vccz .LBB184_135
; %bb.133:                              ;   in Loop: Header=BB184_68 Depth=1
	s_mov_b64 s[0:1], s[16:17]
	s_branch .LBB184_68
.LBB184_134:
	s_mov_b64 s[16:17], s[0:1]
.LBB184_135:
	s_sub_i32 s18, s4, s16
	s_lshl_b64 s[0:1], s[16:17], 2
	s_add_u32 s0, s8, s0
	s_addc_u32 s1, s9, s1
	v_cmp_gt_u32_e32 vcc, s18, v0
	s_and_saveexec_b64 s[16:17], vcc
	s_cbranch_execz .LBB184_137
; %bb.136:
	global_load_dword v19, v20, s[0:1]
.LBB184_137:
	s_or_b64 exec, exec, s[16:17]
	v_or_b32_e32 v32, 0x100, v0
	v_cmp_gt_u32_e32 vcc, s18, v32
	s_and_saveexec_b64 s[16:17], vcc
	s_cbranch_execz .LBB184_139
; %bb.138:
	global_load_dword v18, v20, s[0:1] offset:1024
.LBB184_139:
	s_or_b64 exec, exec, s[16:17]
	v_or_b32_e32 v31, 0x200, v0
	v_cmp_gt_u32_e32 vcc, s18, v31
	s_and_saveexec_b64 s[16:17], vcc
	s_cbranch_execz .LBB184_141
; %bb.140:
	global_load_dword v17, v20, s[0:1] offset:2048
.LBB184_141:
	;; [unrolled: 8-line block ×3, first 2 shown]
	s_or_b64 exec, exec, s[16:17]
	v_or_b32_e32 v29, 0x400, v0
	v_cmp_gt_u32_e32 vcc, s18, v29
	s_and_saveexec_b64 s[16:17], vcc
	s_cbranch_execz .LBB184_145
; %bb.144:
	v_lshlrev_b32_e32 v1, 2, v29
	global_load_dword v15, v1, s[0:1]
.LBB184_145:
	s_or_b64 exec, exec, s[16:17]
	v_or_b32_e32 v28, 0x500, v0
	v_cmp_gt_u32_e32 vcc, s18, v28
	s_and_saveexec_b64 s[16:17], vcc
	s_cbranch_execz .LBB184_147
; %bb.146:
	v_lshlrev_b32_e32 v1, 2, v28
	global_load_dword v14, v1, s[0:1]
.LBB184_147:
	;; [unrolled: 9-line block ×11, first 2 shown]
	s_or_b64 exec, exec, s[16:17]
	v_or_b32_e32 v1, 0xf00, v0
	v_cmp_gt_u32_e32 vcc, s18, v1
	s_and_saveexec_b64 s[16:17], vcc
	s_cbranch_execz .LBB184_167
; %bb.166:
	s_waitcnt vmcnt(0)
	v_lshlrev_b32_e32 v3, 2, v1
	global_load_dword v3, v3, s[0:1]
.LBB184_167:
	s_or_b64 exec, exec, s[16:17]
	v_cmp_gt_u32_e32 vcc, s18, v0
	v_cmp_o_f32_e64 s[0:1], v9, v9
	s_and_b64 s[16:17], vcc, s[0:1]
	s_and_saveexec_b64 s[0:1], s[16:17]
	s_cbranch_execz .LBB184_171
; %bb.168:
	s_waitcnt vmcnt(0)
	v_cmp_o_f32_e32 vcc, v19, v19
	s_and_saveexec_b64 s[16:17], vcc
; %bb.169:
	v_cmp_lt_f32_e32 vcc, v9, v19
	v_cndmask_b32_e32 v19, v9, v19, vcc
; %bb.170:
	s_or_b64 exec, exec, s[16:17]
	v_mov_b32_e32 v9, v19
.LBB184_171:
	s_or_b64 exec, exec, s[0:1]
	v_cmp_gt_u32_e32 vcc, s18, v32
	v_cmp_o_f32_e64 s[0:1], v9, v9
	s_and_b64 s[16:17], vcc, s[0:1]
	s_and_saveexec_b64 s[0:1], s[16:17]
	s_cbranch_execz .LBB184_175
; %bb.172:
	s_waitcnt vmcnt(0)
	v_cmp_o_f32_e32 vcc, v18, v18
	s_and_saveexec_b64 s[16:17], vcc
; %bb.173:
	v_cmp_lt_f32_e32 vcc, v9, v18
	v_cndmask_b32_e32 v18, v9, v18, vcc
; %bb.174:
	s_or_b64 exec, exec, s[16:17]
	v_mov_b32_e32 v9, v18
.LBB184_175:
	;; [unrolled: 17-line block ×16, first 2 shown]
	s_or_b64 exec, exec, s[0:1]
	s_nop 0
	v_mov_b32_dpp v1, v9 quad_perm:[1,0,3,2] row_mask:0xf bank_mask:0xf bound_ctrl:1
	v_cmp_o_f32_e32 vcc, v1, v1
	s_and_saveexec_b64 s[0:1], vcc
	s_xor_b64 s[0:1], exec, s[0:1]
	s_cbranch_execz .LBB184_235
; %bb.232:
	v_cmp_o_f32_e32 vcc, v9, v9
	s_and_saveexec_b64 s[16:17], vcc
; %bb.233:
	v_cmp_gt_f32_e32 vcc, v9, v1
	v_cndmask_b32_e32 v9, v1, v9, vcc
; %bb.234:
	s_or_b64 exec, exec, s[16:17]
	v_mov_b32_e32 v1, v9
.LBB184_235:
	s_or_b64 exec, exec, s[0:1]
	s_nop 0
	v_mov_b32_dpp v2, v1 quad_perm:[2,3,0,1] row_mask:0xf bank_mask:0xf bound_ctrl:1
	v_cmp_o_f32_e32 vcc, v2, v2
	s_and_saveexec_b64 s[0:1], vcc
	s_cbranch_execz .LBB184_239
; %bb.236:
	v_cmp_o_f32_e32 vcc, v1, v1
	s_and_saveexec_b64 s[16:17], vcc
; %bb.237:
	v_cmp_gt_f32_e32 vcc, v1, v2
	v_cndmask_b32_e32 v1, v2, v1, vcc
; %bb.238:
	s_or_b64 exec, exec, s[16:17]
	v_mov_b32_e32 v2, v1
.LBB184_239:
	s_or_b64 exec, exec, s[0:1]
	s_nop 0
	v_mov_b32_dpp v1, v2 row_ror:4 row_mask:0xf bank_mask:0xf bound_ctrl:1
	v_cmp_o_f32_e32 vcc, v1, v1
	s_and_saveexec_b64 s[0:1], vcc
	s_cbranch_execz .LBB184_243
; %bb.240:
	v_cmp_o_f32_e32 vcc, v2, v2
	s_and_saveexec_b64 s[16:17], vcc
; %bb.241:
	v_cmp_gt_f32_e32 vcc, v2, v1
	v_cndmask_b32_e32 v2, v1, v2, vcc
; %bb.242:
	s_or_b64 exec, exec, s[16:17]
	v_mov_b32_e32 v1, v2
.LBB184_243:
	s_or_b64 exec, exec, s[0:1]
	s_nop 0
	v_mov_b32_dpp v2, v1 row_ror:8 row_mask:0xf bank_mask:0xf bound_ctrl:1
	v_cmp_o_f32_e32 vcc, v2, v2
	s_and_saveexec_b64 s[0:1], vcc
	s_cbranch_execz .LBB184_247
; %bb.244:
	v_cmp_o_f32_e32 vcc, v1, v1
	s_and_saveexec_b64 s[16:17], vcc
; %bb.245:
	v_cmp_gt_f32_e32 vcc, v1, v2
	v_cndmask_b32_e32 v1, v2, v1, vcc
; %bb.246:
	s_or_b64 exec, exec, s[16:17]
	v_mov_b32_e32 v2, v1
.LBB184_247:
	s_or_b64 exec, exec, s[0:1]
	s_nop 0
	v_mov_b32_dpp v1, v2 row_bcast:15 row_mask:0xf bank_mask:0xf bound_ctrl:1
	v_cmp_o_f32_e32 vcc, v1, v1
	s_and_saveexec_b64 s[0:1], vcc
	s_cbranch_execz .LBB184_251
; %bb.248:
	v_cmp_o_f32_e32 vcc, v2, v2
	s_and_saveexec_b64 s[16:17], vcc
; %bb.249:
	v_cmp_gt_f32_e32 vcc, v2, v1
	v_cndmask_b32_e32 v2, v1, v2, vcc
; %bb.250:
	s_or_b64 exec, exec, s[16:17]
	v_mov_b32_e32 v1, v2
.LBB184_251:
	s_or_b64 exec, exec, s[0:1]
	s_waitcnt vmcnt(0)
	v_mov_b32_dpp v3, v1 row_bcast:31 row_mask:0xf bank_mask:0xf bound_ctrl:1
	v_cmp_o_f32_e32 vcc, v3, v3
	s_and_saveexec_b64 s[0:1], vcc
	s_cbranch_execz .LBB184_255
; %bb.252:
	v_cmp_o_f32_e32 vcc, v1, v1
	s_and_saveexec_b64 s[16:17], vcc
; %bb.253:
	v_cmp_gt_f32_e32 vcc, v1, v3
	v_cndmask_b32_e32 v1, v3, v1, vcc
; %bb.254:
	s_or_b64 exec, exec, s[16:17]
	v_mov_b32_e32 v3, v1
.LBB184_255:
	s_or_b64 exec, exec, s[0:1]
	v_mbcnt_lo_u32_b32 v1, -1, 0
	v_mbcnt_hi_u32_b32 v2, -1, v1
	v_lshlrev_b32_e32 v1, 2, v2
	v_or_b32_e32 v4, 0xfc, v1
	ds_bpermute_b32 v3, v4, v3
	v_cmp_eq_u32_e32 vcc, 0, v2
	s_and_saveexec_b64 s[0:1], vcc
	s_cbranch_execz .LBB184_257
; %bb.256:
	v_lshrrev_b32_e32 v4, 4, v0
	v_and_b32_e32 v4, 12, v4
	s_waitcnt lgkmcnt(0)
	ds_write_b32 v4, v3
.LBB184_257:
	s_or_b64 exec, exec, s[0:1]
	v_cmp_gt_u32_e32 vcc, 64, v0
	s_waitcnt lgkmcnt(0)
	s_barrier
	s_and_saveexec_b64 s[0:1], vcc
	s_cbranch_execz .LBB184_267
; %bb.258:
	v_and_b32_e32 v4, 3, v2
	v_lshlrev_b32_e32 v3, 2, v4
	ds_read_b32 v3, v3
	v_cmp_ne_u32_e32 vcc, 3, v4
	v_addc_co_u32_e32 v2, vcc, 0, v2, vcc
	v_lshlrev_b32_e32 v2, 2, v2
	s_waitcnt lgkmcnt(0)
	ds_bpermute_b32 v2, v2, v3
	v_cmp_o_f32_e32 vcc, v3, v3
	s_and_saveexec_b64 s[16:17], vcc
	s_cbranch_execz .LBB184_262
; %bb.259:
	s_waitcnt lgkmcnt(0)
	v_cmp_o_f32_e32 vcc, v2, v2
	s_and_saveexec_b64 s[18:19], vcc
; %bb.260:
	v_cmp_lt_f32_e32 vcc, v3, v2
	v_cndmask_b32_e32 v2, v3, v2, vcc
; %bb.261:
	s_or_b64 exec, exec, s[18:19]
	v_mov_b32_e32 v3, v2
.LBB184_262:
	s_or_b64 exec, exec, s[16:17]
	v_or_b32_e32 v1, 8, v1
	ds_bpermute_b32 v1, v1, v3
	v_cmp_o_f32_e32 vcc, v3, v3
	s_and_saveexec_b64 s[16:17], vcc
	s_cbranch_execz .LBB184_266
; %bb.263:
	s_waitcnt lgkmcnt(0)
	v_cmp_o_f32_e32 vcc, v1, v1
	s_and_saveexec_b64 s[18:19], vcc
; %bb.264:
	v_cmp_lt_f32_e32 vcc, v3, v1
	v_cndmask_b32_e32 v1, v3, v1, vcc
; %bb.265:
	s_or_b64 exec, exec, s[18:19]
	v_mov_b32_e32 v3, v1
.LBB184_266:
	s_or_b64 exec, exec, s[16:17]
.LBB184_267:
	s_or_b64 exec, exec, s[0:1]
	s_branch .LBB184_366
.LBB184_268:
	s_sub_i32 s20, s4, s14
	v_cmp_gt_u32_e32 vcc, s20, v0
                                        ; implicit-def: $vgpr5
	s_and_saveexec_b64 s[16:17], vcc
	s_cbranch_execz .LBB184_278
; %bb.269:
	s_waitcnt lgkmcnt(0)
	v_mov_b32_e32 v1, s15
	v_add_co_u32_e32 v6, vcc, s14, v0
	v_addc_co_u32_e32 v7, vcc, 0, v1, vcc
	v_lshlrev_b64 v[2:3], 2, v[6:7]
	v_mov_b32_e32 v1, s9
	v_add_co_u32_e64 v4, s[0:1], s8, v2
	v_addc_co_u32_e64 v5, vcc, v1, v3, s[0:1]
	global_load_dword v5, v[4:5], off
	v_add_co_u32_e32 v1, vcc, 0x100, v6
	v_addc_co_u32_e32 v2, vcc, 0, v7, vcc
	v_cmp_gt_i64_e32 vcc, s[4:5], v[1:2]
	s_and_saveexec_b64 s[14:15], vcc
	s_cbranch_execz .LBB184_277
; %bb.270:
	v_mov_b32_e32 v6, s9
	v_addc_co_u32_e64 v6, vcc, v6, v3, s[0:1]
	v_add_co_u32_e32 v3, vcc, 0x400, v4
	v_addc_co_u32_e32 v4, vcc, 0, v6, vcc
	s_mov_b64 s[8:9], 0
	s_branch .LBB184_273
.LBB184_271:                            ;   in Loop: Header=BB184_273 Depth=1
	s_or_b64 exec, exec, s[18:19]
	v_mov_b32_e32 v5, v6
.LBB184_272:                            ;   in Loop: Header=BB184_273 Depth=1
	s_or_b64 exec, exec, s[0:1]
	v_add_co_u32_e32 v1, vcc, 0x100, v1
	v_addc_co_u32_e32 v2, vcc, 0, v2, vcc
	v_cmp_le_i64_e64 s[0:1], s[4:5], v[1:2]
	v_add_co_u32_e32 v3, vcc, 0x400, v3
	s_or_b64 s[8:9], s[0:1], s[8:9]
	v_addc_co_u32_e32 v4, vcc, 0, v4, vcc
	s_andn2_b64 exec, exec, s[8:9]
	s_cbranch_execz .LBB184_276
.LBB184_273:                            ; =>This Inner Loop Header: Depth=1
	s_waitcnt vmcnt(0)
	v_cmp_o_f32_e32 vcc, v5, v5
	s_and_saveexec_b64 s[0:1], vcc
	s_cbranch_execz .LBB184_272
; %bb.274:                              ;   in Loop: Header=BB184_273 Depth=1
	global_load_dword v6, v[3:4], off
	s_waitcnt vmcnt(0)
	v_cmp_o_f32_e32 vcc, v6, v6
	s_and_saveexec_b64 s[18:19], vcc
	s_cbranch_execz .LBB184_271
; %bb.275:                              ;   in Loop: Header=BB184_273 Depth=1
	v_cmp_lt_f32_e32 vcc, v5, v6
	v_cndmask_b32_e32 v6, v5, v6, vcc
	s_branch .LBB184_271
.LBB184_276:
	s_or_b64 exec, exec, s[8:9]
.LBB184_277:
	s_or_b64 exec, exec, s[14:15]
.LBB184_278:
	s_or_b64 exec, exec, s[16:17]
	s_waitcnt lgkmcnt(0)
	v_mbcnt_lo_u32_b32 v1, -1, 0
	s_cmpk_lt_u32 s20, 0x100
	v_lshrrev_b32_e32 v2, 6, v0
	v_mbcnt_hi_u32_b32 v1, -1, v1
	s_cbranch_scc0 .LBB184_328
; %bb.279:
	v_and_b32_e32 v4, 63, v1
	v_cmp_ne_u32_e32 vcc, 63, v4
	v_addc_co_u32_e32 v6, vcc, 0, v1, vcc
	v_lshlrev_b32_e32 v6, 2, v6
	s_waitcnt vmcnt(0)
	ds_bpermute_b32 v7, v6, v5
	v_and_b32_e32 v3, 0xc0, v0
	v_sub_u32_e64 v6, s20, v3 clamp
	v_add_u32_e32 v3, 1, v4
	v_cmp_lt_u32_e32 vcc, v3, v6
	v_mov_b32_e32 v3, v5
	s_and_saveexec_b64 s[0:1], vcc
	s_cbranch_execz .LBB184_285
; %bb.280:
	v_cmp_o_f32_e32 vcc, v5, v5
	v_mov_b32_e32 v3, v5
	s_and_saveexec_b64 s[4:5], vcc
	s_cbranch_execz .LBB184_284
; %bb.281:
	s_waitcnt lgkmcnt(0)
	v_cmp_o_f32_e32 vcc, v7, v7
	s_and_saveexec_b64 s[8:9], vcc
; %bb.282:
	v_cmp_lt_f32_e32 vcc, v5, v7
	v_cndmask_b32_e32 v7, v5, v7, vcc
; %bb.283:
	s_or_b64 exec, exec, s[8:9]
	v_mov_b32_e32 v3, v7
.LBB184_284:
	s_or_b64 exec, exec, s[4:5]
.LBB184_285:
	s_or_b64 exec, exec, s[0:1]
	v_cmp_gt_u32_e32 vcc, 62, v4
	s_waitcnt lgkmcnt(0)
	v_cndmask_b32_e64 v7, 0, 2, vcc
	v_add_lshl_u32 v7, v7, v1, 2
	ds_bpermute_b32 v7, v7, v3
	v_add_u32_e32 v8, 2, v4
	v_cmp_lt_u32_e32 vcc, v8, v6
	s_and_saveexec_b64 s[0:1], vcc
	s_cbranch_execz .LBB184_291
; %bb.286:
	v_cmp_o_f32_e32 vcc, v3, v3
	s_and_saveexec_b64 s[4:5], vcc
	s_cbranch_execz .LBB184_290
; %bb.287:
	s_waitcnt lgkmcnt(0)
	v_cmp_o_f32_e32 vcc, v7, v7
	s_and_saveexec_b64 s[8:9], vcc
; %bb.288:
	v_cmp_lt_f32_e32 vcc, v3, v7
	v_cndmask_b32_e32 v7, v3, v7, vcc
; %bb.289:
	s_or_b64 exec, exec, s[8:9]
	v_mov_b32_e32 v3, v7
.LBB184_290:
	s_or_b64 exec, exec, s[4:5]
.LBB184_291:
	s_or_b64 exec, exec, s[0:1]
	v_cmp_gt_u32_e32 vcc, 60, v4
	s_waitcnt lgkmcnt(0)
	v_cndmask_b32_e64 v7, 0, 4, vcc
	v_add_lshl_u32 v7, v7, v1, 2
	ds_bpermute_b32 v7, v7, v3
	v_add_u32_e32 v8, 4, v4
	v_cmp_lt_u32_e32 vcc, v8, v6
	s_and_saveexec_b64 s[0:1], vcc
	s_cbranch_execz .LBB184_297
; %bb.292:
	v_cmp_o_f32_e32 vcc, v3, v3
	s_and_saveexec_b64 s[4:5], vcc
	s_cbranch_execz .LBB184_296
; %bb.293:
	s_waitcnt lgkmcnt(0)
	v_cmp_o_f32_e32 vcc, v7, v7
	s_and_saveexec_b64 s[8:9], vcc
; %bb.294:
	v_cmp_lt_f32_e32 vcc, v3, v7
	v_cndmask_b32_e32 v7, v3, v7, vcc
; %bb.295:
	s_or_b64 exec, exec, s[8:9]
	v_mov_b32_e32 v3, v7
.LBB184_296:
	s_or_b64 exec, exec, s[4:5]
.LBB184_297:
	;; [unrolled: 27-line block ×4, first 2 shown]
	s_or_b64 exec, exec, s[0:1]
	s_waitcnt lgkmcnt(0)
	v_lshlrev_b32_e32 v7, 2, v1
	v_or_b32_e32 v8, 0x80, v7
	ds_bpermute_b32 v8, v8, v3
	v_add_u32_e32 v4, 32, v4
	v_cmp_lt_u32_e32 vcc, v4, v6
	v_cmp_o_f32_e64 s[0:1], v3, v3
	s_and_b64 s[4:5], vcc, s[0:1]
	s_and_saveexec_b64 s[0:1], s[4:5]
	s_cbranch_execz .LBB184_313
; %bb.310:
	s_waitcnt lgkmcnt(0)
	v_cmp_o_f32_e32 vcc, v8, v8
	s_and_saveexec_b64 s[4:5], vcc
; %bb.311:
	v_cmp_lt_f32_e32 vcc, v3, v8
	v_cndmask_b32_e32 v8, v3, v8, vcc
; %bb.312:
	s_or_b64 exec, exec, s[4:5]
	v_mov_b32_e32 v3, v8
.LBB184_313:
	s_or_b64 exec, exec, s[0:1]
	v_cmp_eq_u32_e32 vcc, 0, v1
	s_and_saveexec_b64 s[0:1], vcc
; %bb.314:
	v_lshlrev_b32_e32 v4, 2, v2
	ds_write_b32 v4, v3
; %bb.315:
	s_or_b64 exec, exec, s[0:1]
	v_cmp_gt_u32_e32 vcc, 4, v0
	s_waitcnt lgkmcnt(0)
	s_barrier
	s_and_saveexec_b64 s[4:5], vcc
	s_cbranch_execz .LBB184_327
; %bb.316:
	ds_read_b32 v3, v7
	v_and_b32_e32 v4, 3, v1
	v_cmp_ne_u32_e32 vcc, 3, v4
	v_addc_co_u32_e32 v6, vcc, 0, v1, vcc
	v_lshlrev_b32_e32 v6, 2, v6
	s_waitcnt lgkmcnt(0)
	ds_bpermute_b32 v6, v6, v3
	s_add_i32 s20, s20, 63
	s_lshr_b32 s16, s20, 6
	v_add_u32_e32 v8, 1, v4
	v_cmp_gt_u32_e32 vcc, s16, v8
	s_and_saveexec_b64 s[0:1], vcc
	s_cbranch_execz .LBB184_322
; %bb.317:
	v_cmp_o_f32_e32 vcc, v3, v3
	s_and_saveexec_b64 s[8:9], vcc
	s_cbranch_execz .LBB184_321
; %bb.318:
	s_waitcnt lgkmcnt(0)
	v_cmp_o_f32_e32 vcc, v6, v6
	s_and_saveexec_b64 s[14:15], vcc
; %bb.319:
	v_cmp_lt_f32_e32 vcc, v3, v6
	v_cndmask_b32_e32 v6, v3, v6, vcc
; %bb.320:
	s_or_b64 exec, exec, s[14:15]
	v_mov_b32_e32 v3, v6
.LBB184_321:
	s_or_b64 exec, exec, s[8:9]
.LBB184_322:
	s_or_b64 exec, exec, s[0:1]
	s_waitcnt lgkmcnt(0)
	v_or_b32_e32 v6, 8, v7
	ds_bpermute_b32 v6, v6, v3
	v_add_u32_e32 v4, 2, v4
	v_cmp_gt_u32_e32 vcc, s16, v4
	v_cmp_o_f32_e64 s[0:1], v3, v3
	s_and_b64 s[8:9], vcc, s[0:1]
	s_and_saveexec_b64 s[0:1], s[8:9]
	s_cbranch_execz .LBB184_326
; %bb.323:
	s_waitcnt lgkmcnt(0)
	v_cmp_o_f32_e32 vcc, v6, v6
	s_and_saveexec_b64 s[8:9], vcc
; %bb.324:
	v_cmp_lt_f32_e32 vcc, v3, v6
	v_cndmask_b32_e32 v6, v3, v6, vcc
; %bb.325:
	s_or_b64 exec, exec, s[8:9]
	v_mov_b32_e32 v3, v6
.LBB184_326:
	s_or_b64 exec, exec, s[0:1]
.LBB184_327:
	s_or_b64 exec, exec, s[4:5]
	s_branch .LBB184_366
.LBB184_328:
                                        ; implicit-def: $vgpr3
	s_cbranch_execz .LBB184_366
; %bb.329:
	s_waitcnt vmcnt(0)
	v_mov_b32_dpp v3, v5 quad_perm:[1,0,3,2] row_mask:0xf bank_mask:0xf bound_ctrl:1
	v_cmp_o_f32_e32 vcc, v3, v3
	s_and_saveexec_b64 s[0:1], vcc
	s_cbranch_execz .LBB184_333
; %bb.330:
	v_cmp_o_f32_e32 vcc, v5, v5
	s_and_saveexec_b64 s[4:5], vcc
; %bb.331:
	v_cmp_gt_f32_e32 vcc, v5, v3
	v_cndmask_b32_e32 v5, v3, v5, vcc
; %bb.332:
	s_or_b64 exec, exec, s[4:5]
	v_mov_b32_e32 v3, v5
.LBB184_333:
	s_or_b64 exec, exec, s[0:1]
	s_nop 0
	v_mov_b32_dpp v4, v3 quad_perm:[2,3,0,1] row_mask:0xf bank_mask:0xf bound_ctrl:1
	v_cmp_o_f32_e32 vcc, v4, v4
	s_and_saveexec_b64 s[0:1], vcc
	s_cbranch_execz .LBB184_337
; %bb.334:
	v_cmp_o_f32_e32 vcc, v3, v3
	s_and_saveexec_b64 s[4:5], vcc
; %bb.335:
	v_cmp_gt_f32_e32 vcc, v3, v4
	v_cndmask_b32_e32 v3, v4, v3, vcc
; %bb.336:
	s_or_b64 exec, exec, s[4:5]
	v_mov_b32_e32 v4, v3
.LBB184_337:
	s_or_b64 exec, exec, s[0:1]
	s_nop 0
	v_mov_b32_dpp v3, v4 row_ror:4 row_mask:0xf bank_mask:0xf bound_ctrl:1
	v_cmp_o_f32_e32 vcc, v3, v3
	s_and_saveexec_b64 s[0:1], vcc
	s_cbranch_execz .LBB184_341
; %bb.338:
	v_cmp_o_f32_e32 vcc, v4, v4
	s_and_saveexec_b64 s[4:5], vcc
; %bb.339:
	v_cmp_gt_f32_e32 vcc, v4, v3
	v_cndmask_b32_e32 v4, v3, v4, vcc
; %bb.340:
	s_or_b64 exec, exec, s[4:5]
	v_mov_b32_e32 v3, v4
.LBB184_341:
	s_or_b64 exec, exec, s[0:1]
	s_nop 0
	v_mov_b32_dpp v4, v3 row_ror:8 row_mask:0xf bank_mask:0xf bound_ctrl:1
	v_cmp_o_f32_e32 vcc, v4, v4
	s_and_saveexec_b64 s[0:1], vcc
	s_cbranch_execz .LBB184_345
; %bb.342:
	v_cmp_o_f32_e32 vcc, v3, v3
	s_and_saveexec_b64 s[4:5], vcc
; %bb.343:
	v_cmp_gt_f32_e32 vcc, v3, v4
	v_cndmask_b32_e32 v3, v4, v3, vcc
; %bb.344:
	s_or_b64 exec, exec, s[4:5]
	v_mov_b32_e32 v4, v3
.LBB184_345:
	s_or_b64 exec, exec, s[0:1]
	s_nop 0
	v_mov_b32_dpp v3, v4 row_bcast:15 row_mask:0xf bank_mask:0xf bound_ctrl:1
	v_cmp_o_f32_e32 vcc, v3, v3
	s_and_saveexec_b64 s[0:1], vcc
	s_cbranch_execz .LBB184_349
; %bb.346:
	v_cmp_o_f32_e32 vcc, v4, v4
	s_and_saveexec_b64 s[4:5], vcc
; %bb.347:
	v_cmp_gt_f32_e32 vcc, v4, v3
	v_cndmask_b32_e32 v4, v3, v4, vcc
; %bb.348:
	s_or_b64 exec, exec, s[4:5]
	v_mov_b32_e32 v3, v4
.LBB184_349:
	s_or_b64 exec, exec, s[0:1]
	s_nop 0
	v_mov_b32_dpp v5, v3 row_bcast:31 row_mask:0xf bank_mask:0xf bound_ctrl:1
	v_cmp_o_f32_e32 vcc, v5, v5
	s_and_saveexec_b64 s[0:1], vcc
	s_cbranch_execz .LBB184_353
; %bb.350:
	v_cmp_o_f32_e32 vcc, v3, v3
	s_and_saveexec_b64 s[4:5], vcc
; %bb.351:
	v_cmp_gt_f32_e32 vcc, v3, v5
	v_cndmask_b32_e32 v3, v5, v3, vcc
; %bb.352:
	s_or_b64 exec, exec, s[4:5]
	v_mov_b32_e32 v5, v3
.LBB184_353:
	s_or_b64 exec, exec, s[0:1]
	v_lshlrev_b32_e32 v4, 2, v1
	v_or_b32_e32 v3, 0xfc, v4
	ds_bpermute_b32 v3, v3, v5
	v_cmp_eq_u32_e32 vcc, 0, v1
	s_and_saveexec_b64 s[0:1], vcc
	s_cbranch_execz .LBB184_355
; %bb.354:
	v_lshlrev_b32_e32 v2, 2, v2
	s_waitcnt lgkmcnt(0)
	ds_write_b32 v2, v3
.LBB184_355:
	s_or_b64 exec, exec, s[0:1]
	v_cmp_gt_u32_e32 vcc, 64, v0
	s_waitcnt lgkmcnt(0)
	s_barrier
	s_and_saveexec_b64 s[0:1], vcc
	s_cbranch_execz .LBB184_365
; %bb.356:
	v_and_b32_e32 v2, 3, v1
	v_lshlrev_b32_e32 v3, 2, v2
	ds_read_b32 v3, v3
	v_cmp_ne_u32_e32 vcc, 3, v2
	v_addc_co_u32_e32 v1, vcc, 0, v1, vcc
	v_lshlrev_b32_e32 v1, 2, v1
	s_waitcnt lgkmcnt(0)
	ds_bpermute_b32 v1, v1, v3
	v_cmp_o_f32_e32 vcc, v3, v3
	s_and_saveexec_b64 s[4:5], vcc
	s_cbranch_execz .LBB184_360
; %bb.357:
	s_waitcnt lgkmcnt(0)
	v_cmp_o_f32_e32 vcc, v1, v1
	s_and_saveexec_b64 s[8:9], vcc
; %bb.358:
	v_cmp_lt_f32_e32 vcc, v3, v1
	v_cndmask_b32_e32 v1, v3, v1, vcc
; %bb.359:
	s_or_b64 exec, exec, s[8:9]
	v_mov_b32_e32 v3, v1
.LBB184_360:
	s_or_b64 exec, exec, s[4:5]
	s_waitcnt lgkmcnt(0)
	v_or_b32_e32 v1, 8, v4
	ds_bpermute_b32 v1, v1, v3
	v_cmp_o_f32_e32 vcc, v3, v3
	s_and_saveexec_b64 s[4:5], vcc
	s_cbranch_execz .LBB184_364
; %bb.361:
	s_waitcnt lgkmcnt(0)
	v_cmp_o_f32_e32 vcc, v1, v1
	s_and_saveexec_b64 s[8:9], vcc
; %bb.362:
	v_cmp_lt_f32_e32 vcc, v3, v1
	v_cndmask_b32_e32 v1, v3, v1, vcc
; %bb.363:
	s_or_b64 exec, exec, s[8:9]
	v_mov_b32_e32 v3, v1
.LBB184_364:
	s_or_b64 exec, exec, s[4:5]
.LBB184_365:
	s_or_b64 exec, exec, s[0:1]
.LBB184_366:
	v_cmp_eq_u32_e32 vcc, 0, v0
                                        ; implicit-def: $vgpr1
	s_and_saveexec_b64 s[0:1], vcc
	s_cbranch_execz .LBB184_372
; %bb.367:
	v_cmp_u_f32_e64 s[4:5], s22, s22
	s_and_b64 vcc, exec, s[4:5]
	s_waitcnt lgkmcnt(0)
	v_mov_b32_e32 v1, s22
	s_cbranch_vccnz .LBB184_371
; %bb.368:
	v_cmp_o_f32_e32 vcc, v3, v3
	s_and_saveexec_b64 s[4:5], vcc
; %bb.369:
	v_mov_b32_e32 v0, s22
	v_cmp_lt_f32_e32 vcc, s22, v3
	v_cndmask_b32_e32 v3, v0, v3, vcc
; %bb.370:
	s_or_b64 exec, exec, s[4:5]
	v_mov_b32_e32 v1, v3
.LBB184_371:
	s_or_b64 s[2:3], s[2:3], exec
.LBB184_372:
	s_or_b64 exec, exec, s[0:1]
	s_and_saveexec_b64 s[0:1], s[2:3]
	s_cbranch_execz .LBB184_374
.LBB184_373:
	s_lshl_b64 s[0:1], s[12:13], 2
	s_add_u32 s2, s10, s0
	s_addc_u32 s3, s11, s1
	s_lshl_b64 s[0:1], s[6:7], 2
	s_add_u32 s0, s2, s0
	s_addc_u32 s1, s3, s1
	v_mov_b32_e32 v0, 0
	s_waitcnt lgkmcnt(0)
	global_store_dword v0, v1, s[0:1]
.LBB184_374:
	s_endpgm
	.section	.rodata,"a",@progbits
	.p2align	6, 0x0
	.amdhsa_kernel _ZN7rocprim17ROCPRIM_400000_NS6detail17trampoline_kernelINS0_14default_configENS1_32segmented_reduce_config_selectorIfEEZNS1_21segmented_reduce_implIS3_PKfPfPKlfN6hipcub16HIPCUB_304000_NS6detail27convert_result_type_wrapperIS8_S9_N2at6native12_GLOBAL__N_19CustomMaxEEEEE10hipError_tPvRmT0_T1_jT2_SQ_T4_T3_P12ihipStream_tbEUlT_E_NS1_11comp_targetILNS1_3genE2ELNS1_11target_archE906ELNS1_3gpuE6ELNS1_3repE0EEENS1_30default_config_static_selectorELNS0_4arch9wavefront6targetE1EEEvSP_
		.amdhsa_group_segment_fixed_size 16
		.amdhsa_private_segment_fixed_size 0
		.amdhsa_kernarg_size 48
		.amdhsa_user_sgpr_count 6
		.amdhsa_user_sgpr_private_segment_buffer 1
		.amdhsa_user_sgpr_dispatch_ptr 0
		.amdhsa_user_sgpr_queue_ptr 0
		.amdhsa_user_sgpr_kernarg_segment_ptr 1
		.amdhsa_user_sgpr_dispatch_id 0
		.amdhsa_user_sgpr_flat_scratch_init 0
		.amdhsa_user_sgpr_private_segment_size 0
		.amdhsa_uses_dynamic_stack 0
		.amdhsa_system_sgpr_private_segment_wavefront_offset 0
		.amdhsa_system_sgpr_workgroup_id_x 1
		.amdhsa_system_sgpr_workgroup_id_y 0
		.amdhsa_system_sgpr_workgroup_id_z 0
		.amdhsa_system_sgpr_workgroup_info 0
		.amdhsa_system_vgpr_workitem_id 0
		.amdhsa_next_free_vgpr 33
		.amdhsa_next_free_sgpr 23
		.amdhsa_reserve_vcc 1
		.amdhsa_reserve_flat_scratch 0
		.amdhsa_float_round_mode_32 0
		.amdhsa_float_round_mode_16_64 0
		.amdhsa_float_denorm_mode_32 3
		.amdhsa_float_denorm_mode_16_64 3
		.amdhsa_dx10_clamp 1
		.amdhsa_ieee_mode 1
		.amdhsa_fp16_overflow 0
		.amdhsa_exception_fp_ieee_invalid_op 0
		.amdhsa_exception_fp_denorm_src 0
		.amdhsa_exception_fp_ieee_div_zero 0
		.amdhsa_exception_fp_ieee_overflow 0
		.amdhsa_exception_fp_ieee_underflow 0
		.amdhsa_exception_fp_ieee_inexact 0
		.amdhsa_exception_int_div_zero 0
	.end_amdhsa_kernel
	.section	.text._ZN7rocprim17ROCPRIM_400000_NS6detail17trampoline_kernelINS0_14default_configENS1_32segmented_reduce_config_selectorIfEEZNS1_21segmented_reduce_implIS3_PKfPfPKlfN6hipcub16HIPCUB_304000_NS6detail27convert_result_type_wrapperIS8_S9_N2at6native12_GLOBAL__N_19CustomMaxEEEEE10hipError_tPvRmT0_T1_jT2_SQ_T4_T3_P12ihipStream_tbEUlT_E_NS1_11comp_targetILNS1_3genE2ELNS1_11target_archE906ELNS1_3gpuE6ELNS1_3repE0EEENS1_30default_config_static_selectorELNS0_4arch9wavefront6targetE1EEEvSP_,"axG",@progbits,_ZN7rocprim17ROCPRIM_400000_NS6detail17trampoline_kernelINS0_14default_configENS1_32segmented_reduce_config_selectorIfEEZNS1_21segmented_reduce_implIS3_PKfPfPKlfN6hipcub16HIPCUB_304000_NS6detail27convert_result_type_wrapperIS8_S9_N2at6native12_GLOBAL__N_19CustomMaxEEEEE10hipError_tPvRmT0_T1_jT2_SQ_T4_T3_P12ihipStream_tbEUlT_E_NS1_11comp_targetILNS1_3genE2ELNS1_11target_archE906ELNS1_3gpuE6ELNS1_3repE0EEENS1_30default_config_static_selectorELNS0_4arch9wavefront6targetE1EEEvSP_,comdat
.Lfunc_end184:
	.size	_ZN7rocprim17ROCPRIM_400000_NS6detail17trampoline_kernelINS0_14default_configENS1_32segmented_reduce_config_selectorIfEEZNS1_21segmented_reduce_implIS3_PKfPfPKlfN6hipcub16HIPCUB_304000_NS6detail27convert_result_type_wrapperIS8_S9_N2at6native12_GLOBAL__N_19CustomMaxEEEEE10hipError_tPvRmT0_T1_jT2_SQ_T4_T3_P12ihipStream_tbEUlT_E_NS1_11comp_targetILNS1_3genE2ELNS1_11target_archE906ELNS1_3gpuE6ELNS1_3repE0EEENS1_30default_config_static_selectorELNS0_4arch9wavefront6targetE1EEEvSP_, .Lfunc_end184-_ZN7rocprim17ROCPRIM_400000_NS6detail17trampoline_kernelINS0_14default_configENS1_32segmented_reduce_config_selectorIfEEZNS1_21segmented_reduce_implIS3_PKfPfPKlfN6hipcub16HIPCUB_304000_NS6detail27convert_result_type_wrapperIS8_S9_N2at6native12_GLOBAL__N_19CustomMaxEEEEE10hipError_tPvRmT0_T1_jT2_SQ_T4_T3_P12ihipStream_tbEUlT_E_NS1_11comp_targetILNS1_3genE2ELNS1_11target_archE906ELNS1_3gpuE6ELNS1_3repE0EEENS1_30default_config_static_selectorELNS0_4arch9wavefront6targetE1EEEvSP_
                                        ; -- End function
	.set _ZN7rocprim17ROCPRIM_400000_NS6detail17trampoline_kernelINS0_14default_configENS1_32segmented_reduce_config_selectorIfEEZNS1_21segmented_reduce_implIS3_PKfPfPKlfN6hipcub16HIPCUB_304000_NS6detail27convert_result_type_wrapperIS8_S9_N2at6native12_GLOBAL__N_19CustomMaxEEEEE10hipError_tPvRmT0_T1_jT2_SQ_T4_T3_P12ihipStream_tbEUlT_E_NS1_11comp_targetILNS1_3genE2ELNS1_11target_archE906ELNS1_3gpuE6ELNS1_3repE0EEENS1_30default_config_static_selectorELNS0_4arch9wavefront6targetE1EEEvSP_.num_vgpr, 33
	.set _ZN7rocprim17ROCPRIM_400000_NS6detail17trampoline_kernelINS0_14default_configENS1_32segmented_reduce_config_selectorIfEEZNS1_21segmented_reduce_implIS3_PKfPfPKlfN6hipcub16HIPCUB_304000_NS6detail27convert_result_type_wrapperIS8_S9_N2at6native12_GLOBAL__N_19CustomMaxEEEEE10hipError_tPvRmT0_T1_jT2_SQ_T4_T3_P12ihipStream_tbEUlT_E_NS1_11comp_targetILNS1_3genE2ELNS1_11target_archE906ELNS1_3gpuE6ELNS1_3repE0EEENS1_30default_config_static_selectorELNS0_4arch9wavefront6targetE1EEEvSP_.num_agpr, 0
	.set _ZN7rocprim17ROCPRIM_400000_NS6detail17trampoline_kernelINS0_14default_configENS1_32segmented_reduce_config_selectorIfEEZNS1_21segmented_reduce_implIS3_PKfPfPKlfN6hipcub16HIPCUB_304000_NS6detail27convert_result_type_wrapperIS8_S9_N2at6native12_GLOBAL__N_19CustomMaxEEEEE10hipError_tPvRmT0_T1_jT2_SQ_T4_T3_P12ihipStream_tbEUlT_E_NS1_11comp_targetILNS1_3genE2ELNS1_11target_archE906ELNS1_3gpuE6ELNS1_3repE0EEENS1_30default_config_static_selectorELNS0_4arch9wavefront6targetE1EEEvSP_.numbered_sgpr, 23
	.set _ZN7rocprim17ROCPRIM_400000_NS6detail17trampoline_kernelINS0_14default_configENS1_32segmented_reduce_config_selectorIfEEZNS1_21segmented_reduce_implIS3_PKfPfPKlfN6hipcub16HIPCUB_304000_NS6detail27convert_result_type_wrapperIS8_S9_N2at6native12_GLOBAL__N_19CustomMaxEEEEE10hipError_tPvRmT0_T1_jT2_SQ_T4_T3_P12ihipStream_tbEUlT_E_NS1_11comp_targetILNS1_3genE2ELNS1_11target_archE906ELNS1_3gpuE6ELNS1_3repE0EEENS1_30default_config_static_selectorELNS0_4arch9wavefront6targetE1EEEvSP_.num_named_barrier, 0
	.set _ZN7rocprim17ROCPRIM_400000_NS6detail17trampoline_kernelINS0_14default_configENS1_32segmented_reduce_config_selectorIfEEZNS1_21segmented_reduce_implIS3_PKfPfPKlfN6hipcub16HIPCUB_304000_NS6detail27convert_result_type_wrapperIS8_S9_N2at6native12_GLOBAL__N_19CustomMaxEEEEE10hipError_tPvRmT0_T1_jT2_SQ_T4_T3_P12ihipStream_tbEUlT_E_NS1_11comp_targetILNS1_3genE2ELNS1_11target_archE906ELNS1_3gpuE6ELNS1_3repE0EEENS1_30default_config_static_selectorELNS0_4arch9wavefront6targetE1EEEvSP_.private_seg_size, 0
	.set _ZN7rocprim17ROCPRIM_400000_NS6detail17trampoline_kernelINS0_14default_configENS1_32segmented_reduce_config_selectorIfEEZNS1_21segmented_reduce_implIS3_PKfPfPKlfN6hipcub16HIPCUB_304000_NS6detail27convert_result_type_wrapperIS8_S9_N2at6native12_GLOBAL__N_19CustomMaxEEEEE10hipError_tPvRmT0_T1_jT2_SQ_T4_T3_P12ihipStream_tbEUlT_E_NS1_11comp_targetILNS1_3genE2ELNS1_11target_archE906ELNS1_3gpuE6ELNS1_3repE0EEENS1_30default_config_static_selectorELNS0_4arch9wavefront6targetE1EEEvSP_.uses_vcc, 1
	.set _ZN7rocprim17ROCPRIM_400000_NS6detail17trampoline_kernelINS0_14default_configENS1_32segmented_reduce_config_selectorIfEEZNS1_21segmented_reduce_implIS3_PKfPfPKlfN6hipcub16HIPCUB_304000_NS6detail27convert_result_type_wrapperIS8_S9_N2at6native12_GLOBAL__N_19CustomMaxEEEEE10hipError_tPvRmT0_T1_jT2_SQ_T4_T3_P12ihipStream_tbEUlT_E_NS1_11comp_targetILNS1_3genE2ELNS1_11target_archE906ELNS1_3gpuE6ELNS1_3repE0EEENS1_30default_config_static_selectorELNS0_4arch9wavefront6targetE1EEEvSP_.uses_flat_scratch, 0
	.set _ZN7rocprim17ROCPRIM_400000_NS6detail17trampoline_kernelINS0_14default_configENS1_32segmented_reduce_config_selectorIfEEZNS1_21segmented_reduce_implIS3_PKfPfPKlfN6hipcub16HIPCUB_304000_NS6detail27convert_result_type_wrapperIS8_S9_N2at6native12_GLOBAL__N_19CustomMaxEEEEE10hipError_tPvRmT0_T1_jT2_SQ_T4_T3_P12ihipStream_tbEUlT_E_NS1_11comp_targetILNS1_3genE2ELNS1_11target_archE906ELNS1_3gpuE6ELNS1_3repE0EEENS1_30default_config_static_selectorELNS0_4arch9wavefront6targetE1EEEvSP_.has_dyn_sized_stack, 0
	.set _ZN7rocprim17ROCPRIM_400000_NS6detail17trampoline_kernelINS0_14default_configENS1_32segmented_reduce_config_selectorIfEEZNS1_21segmented_reduce_implIS3_PKfPfPKlfN6hipcub16HIPCUB_304000_NS6detail27convert_result_type_wrapperIS8_S9_N2at6native12_GLOBAL__N_19CustomMaxEEEEE10hipError_tPvRmT0_T1_jT2_SQ_T4_T3_P12ihipStream_tbEUlT_E_NS1_11comp_targetILNS1_3genE2ELNS1_11target_archE906ELNS1_3gpuE6ELNS1_3repE0EEENS1_30default_config_static_selectorELNS0_4arch9wavefront6targetE1EEEvSP_.has_recursion, 0
	.set _ZN7rocprim17ROCPRIM_400000_NS6detail17trampoline_kernelINS0_14default_configENS1_32segmented_reduce_config_selectorIfEEZNS1_21segmented_reduce_implIS3_PKfPfPKlfN6hipcub16HIPCUB_304000_NS6detail27convert_result_type_wrapperIS8_S9_N2at6native12_GLOBAL__N_19CustomMaxEEEEE10hipError_tPvRmT0_T1_jT2_SQ_T4_T3_P12ihipStream_tbEUlT_E_NS1_11comp_targetILNS1_3genE2ELNS1_11target_archE906ELNS1_3gpuE6ELNS1_3repE0EEENS1_30default_config_static_selectorELNS0_4arch9wavefront6targetE1EEEvSP_.has_indirect_call, 0
	.section	.AMDGPU.csdata,"",@progbits
; Kernel info:
; codeLenInByte = 6420
; TotalNumSgprs: 27
; NumVgprs: 33
; ScratchSize: 0
; MemoryBound: 0
; FloatMode: 240
; IeeeMode: 1
; LDSByteSize: 16 bytes/workgroup (compile time only)
; SGPRBlocks: 3
; VGPRBlocks: 8
; NumSGPRsForWavesPerEU: 27
; NumVGPRsForWavesPerEU: 33
; Occupancy: 7
; WaveLimiterHint : 1
; COMPUTE_PGM_RSRC2:SCRATCH_EN: 0
; COMPUTE_PGM_RSRC2:USER_SGPR: 6
; COMPUTE_PGM_RSRC2:TRAP_HANDLER: 0
; COMPUTE_PGM_RSRC2:TGID_X_EN: 1
; COMPUTE_PGM_RSRC2:TGID_Y_EN: 0
; COMPUTE_PGM_RSRC2:TGID_Z_EN: 0
; COMPUTE_PGM_RSRC2:TIDIG_COMP_CNT: 0
	.section	.text._ZN7rocprim17ROCPRIM_400000_NS6detail17trampoline_kernelINS0_14default_configENS1_32segmented_reduce_config_selectorIfEEZNS1_21segmented_reduce_implIS3_PKfPfPKlfN6hipcub16HIPCUB_304000_NS6detail27convert_result_type_wrapperIS8_S9_N2at6native12_GLOBAL__N_19CustomMaxEEEEE10hipError_tPvRmT0_T1_jT2_SQ_T4_T3_P12ihipStream_tbEUlT_E_NS1_11comp_targetILNS1_3genE9ELNS1_11target_archE1100ELNS1_3gpuE3ELNS1_3repE0EEENS1_30default_config_static_selectorELNS0_4arch9wavefront6targetE1EEEvSP_,"axG",@progbits,_ZN7rocprim17ROCPRIM_400000_NS6detail17trampoline_kernelINS0_14default_configENS1_32segmented_reduce_config_selectorIfEEZNS1_21segmented_reduce_implIS3_PKfPfPKlfN6hipcub16HIPCUB_304000_NS6detail27convert_result_type_wrapperIS8_S9_N2at6native12_GLOBAL__N_19CustomMaxEEEEE10hipError_tPvRmT0_T1_jT2_SQ_T4_T3_P12ihipStream_tbEUlT_E_NS1_11comp_targetILNS1_3genE9ELNS1_11target_archE1100ELNS1_3gpuE3ELNS1_3repE0EEENS1_30default_config_static_selectorELNS0_4arch9wavefront6targetE1EEEvSP_,comdat
	.globl	_ZN7rocprim17ROCPRIM_400000_NS6detail17trampoline_kernelINS0_14default_configENS1_32segmented_reduce_config_selectorIfEEZNS1_21segmented_reduce_implIS3_PKfPfPKlfN6hipcub16HIPCUB_304000_NS6detail27convert_result_type_wrapperIS8_S9_N2at6native12_GLOBAL__N_19CustomMaxEEEEE10hipError_tPvRmT0_T1_jT2_SQ_T4_T3_P12ihipStream_tbEUlT_E_NS1_11comp_targetILNS1_3genE9ELNS1_11target_archE1100ELNS1_3gpuE3ELNS1_3repE0EEENS1_30default_config_static_selectorELNS0_4arch9wavefront6targetE1EEEvSP_ ; -- Begin function _ZN7rocprim17ROCPRIM_400000_NS6detail17trampoline_kernelINS0_14default_configENS1_32segmented_reduce_config_selectorIfEEZNS1_21segmented_reduce_implIS3_PKfPfPKlfN6hipcub16HIPCUB_304000_NS6detail27convert_result_type_wrapperIS8_S9_N2at6native12_GLOBAL__N_19CustomMaxEEEEE10hipError_tPvRmT0_T1_jT2_SQ_T4_T3_P12ihipStream_tbEUlT_E_NS1_11comp_targetILNS1_3genE9ELNS1_11target_archE1100ELNS1_3gpuE3ELNS1_3repE0EEENS1_30default_config_static_selectorELNS0_4arch9wavefront6targetE1EEEvSP_
	.p2align	8
	.type	_ZN7rocprim17ROCPRIM_400000_NS6detail17trampoline_kernelINS0_14default_configENS1_32segmented_reduce_config_selectorIfEEZNS1_21segmented_reduce_implIS3_PKfPfPKlfN6hipcub16HIPCUB_304000_NS6detail27convert_result_type_wrapperIS8_S9_N2at6native12_GLOBAL__N_19CustomMaxEEEEE10hipError_tPvRmT0_T1_jT2_SQ_T4_T3_P12ihipStream_tbEUlT_E_NS1_11comp_targetILNS1_3genE9ELNS1_11target_archE1100ELNS1_3gpuE3ELNS1_3repE0EEENS1_30default_config_static_selectorELNS0_4arch9wavefront6targetE1EEEvSP_,@function
_ZN7rocprim17ROCPRIM_400000_NS6detail17trampoline_kernelINS0_14default_configENS1_32segmented_reduce_config_selectorIfEEZNS1_21segmented_reduce_implIS3_PKfPfPKlfN6hipcub16HIPCUB_304000_NS6detail27convert_result_type_wrapperIS8_S9_N2at6native12_GLOBAL__N_19CustomMaxEEEEE10hipError_tPvRmT0_T1_jT2_SQ_T4_T3_P12ihipStream_tbEUlT_E_NS1_11comp_targetILNS1_3genE9ELNS1_11target_archE1100ELNS1_3gpuE3ELNS1_3repE0EEENS1_30default_config_static_selectorELNS0_4arch9wavefront6targetE1EEEvSP_: ; @_ZN7rocprim17ROCPRIM_400000_NS6detail17trampoline_kernelINS0_14default_configENS1_32segmented_reduce_config_selectorIfEEZNS1_21segmented_reduce_implIS3_PKfPfPKlfN6hipcub16HIPCUB_304000_NS6detail27convert_result_type_wrapperIS8_S9_N2at6native12_GLOBAL__N_19CustomMaxEEEEE10hipError_tPvRmT0_T1_jT2_SQ_T4_T3_P12ihipStream_tbEUlT_E_NS1_11comp_targetILNS1_3genE9ELNS1_11target_archE1100ELNS1_3gpuE3ELNS1_3repE0EEENS1_30default_config_static_selectorELNS0_4arch9wavefront6targetE1EEEvSP_
; %bb.0:
	.section	.rodata,"a",@progbits
	.p2align	6, 0x0
	.amdhsa_kernel _ZN7rocprim17ROCPRIM_400000_NS6detail17trampoline_kernelINS0_14default_configENS1_32segmented_reduce_config_selectorIfEEZNS1_21segmented_reduce_implIS3_PKfPfPKlfN6hipcub16HIPCUB_304000_NS6detail27convert_result_type_wrapperIS8_S9_N2at6native12_GLOBAL__N_19CustomMaxEEEEE10hipError_tPvRmT0_T1_jT2_SQ_T4_T3_P12ihipStream_tbEUlT_E_NS1_11comp_targetILNS1_3genE9ELNS1_11target_archE1100ELNS1_3gpuE3ELNS1_3repE0EEENS1_30default_config_static_selectorELNS0_4arch9wavefront6targetE1EEEvSP_
		.amdhsa_group_segment_fixed_size 0
		.amdhsa_private_segment_fixed_size 0
		.amdhsa_kernarg_size 48
		.amdhsa_user_sgpr_count 6
		.amdhsa_user_sgpr_private_segment_buffer 1
		.amdhsa_user_sgpr_dispatch_ptr 0
		.amdhsa_user_sgpr_queue_ptr 0
		.amdhsa_user_sgpr_kernarg_segment_ptr 1
		.amdhsa_user_sgpr_dispatch_id 0
		.amdhsa_user_sgpr_flat_scratch_init 0
		.amdhsa_user_sgpr_private_segment_size 0
		.amdhsa_uses_dynamic_stack 0
		.amdhsa_system_sgpr_private_segment_wavefront_offset 0
		.amdhsa_system_sgpr_workgroup_id_x 1
		.amdhsa_system_sgpr_workgroup_id_y 0
		.amdhsa_system_sgpr_workgroup_id_z 0
		.amdhsa_system_sgpr_workgroup_info 0
		.amdhsa_system_vgpr_workitem_id 0
		.amdhsa_next_free_vgpr 1
		.amdhsa_next_free_sgpr 0
		.amdhsa_reserve_vcc 0
		.amdhsa_reserve_flat_scratch 0
		.amdhsa_float_round_mode_32 0
		.amdhsa_float_round_mode_16_64 0
		.amdhsa_float_denorm_mode_32 3
		.amdhsa_float_denorm_mode_16_64 3
		.amdhsa_dx10_clamp 1
		.amdhsa_ieee_mode 1
		.amdhsa_fp16_overflow 0
		.amdhsa_exception_fp_ieee_invalid_op 0
		.amdhsa_exception_fp_denorm_src 0
		.amdhsa_exception_fp_ieee_div_zero 0
		.amdhsa_exception_fp_ieee_overflow 0
		.amdhsa_exception_fp_ieee_underflow 0
		.amdhsa_exception_fp_ieee_inexact 0
		.amdhsa_exception_int_div_zero 0
	.end_amdhsa_kernel
	.section	.text._ZN7rocprim17ROCPRIM_400000_NS6detail17trampoline_kernelINS0_14default_configENS1_32segmented_reduce_config_selectorIfEEZNS1_21segmented_reduce_implIS3_PKfPfPKlfN6hipcub16HIPCUB_304000_NS6detail27convert_result_type_wrapperIS8_S9_N2at6native12_GLOBAL__N_19CustomMaxEEEEE10hipError_tPvRmT0_T1_jT2_SQ_T4_T3_P12ihipStream_tbEUlT_E_NS1_11comp_targetILNS1_3genE9ELNS1_11target_archE1100ELNS1_3gpuE3ELNS1_3repE0EEENS1_30default_config_static_selectorELNS0_4arch9wavefront6targetE1EEEvSP_,"axG",@progbits,_ZN7rocprim17ROCPRIM_400000_NS6detail17trampoline_kernelINS0_14default_configENS1_32segmented_reduce_config_selectorIfEEZNS1_21segmented_reduce_implIS3_PKfPfPKlfN6hipcub16HIPCUB_304000_NS6detail27convert_result_type_wrapperIS8_S9_N2at6native12_GLOBAL__N_19CustomMaxEEEEE10hipError_tPvRmT0_T1_jT2_SQ_T4_T3_P12ihipStream_tbEUlT_E_NS1_11comp_targetILNS1_3genE9ELNS1_11target_archE1100ELNS1_3gpuE3ELNS1_3repE0EEENS1_30default_config_static_selectorELNS0_4arch9wavefront6targetE1EEEvSP_,comdat
.Lfunc_end185:
	.size	_ZN7rocprim17ROCPRIM_400000_NS6detail17trampoline_kernelINS0_14default_configENS1_32segmented_reduce_config_selectorIfEEZNS1_21segmented_reduce_implIS3_PKfPfPKlfN6hipcub16HIPCUB_304000_NS6detail27convert_result_type_wrapperIS8_S9_N2at6native12_GLOBAL__N_19CustomMaxEEEEE10hipError_tPvRmT0_T1_jT2_SQ_T4_T3_P12ihipStream_tbEUlT_E_NS1_11comp_targetILNS1_3genE9ELNS1_11target_archE1100ELNS1_3gpuE3ELNS1_3repE0EEENS1_30default_config_static_selectorELNS0_4arch9wavefront6targetE1EEEvSP_, .Lfunc_end185-_ZN7rocprim17ROCPRIM_400000_NS6detail17trampoline_kernelINS0_14default_configENS1_32segmented_reduce_config_selectorIfEEZNS1_21segmented_reduce_implIS3_PKfPfPKlfN6hipcub16HIPCUB_304000_NS6detail27convert_result_type_wrapperIS8_S9_N2at6native12_GLOBAL__N_19CustomMaxEEEEE10hipError_tPvRmT0_T1_jT2_SQ_T4_T3_P12ihipStream_tbEUlT_E_NS1_11comp_targetILNS1_3genE9ELNS1_11target_archE1100ELNS1_3gpuE3ELNS1_3repE0EEENS1_30default_config_static_selectorELNS0_4arch9wavefront6targetE1EEEvSP_
                                        ; -- End function
	.set _ZN7rocprim17ROCPRIM_400000_NS6detail17trampoline_kernelINS0_14default_configENS1_32segmented_reduce_config_selectorIfEEZNS1_21segmented_reduce_implIS3_PKfPfPKlfN6hipcub16HIPCUB_304000_NS6detail27convert_result_type_wrapperIS8_S9_N2at6native12_GLOBAL__N_19CustomMaxEEEEE10hipError_tPvRmT0_T1_jT2_SQ_T4_T3_P12ihipStream_tbEUlT_E_NS1_11comp_targetILNS1_3genE9ELNS1_11target_archE1100ELNS1_3gpuE3ELNS1_3repE0EEENS1_30default_config_static_selectorELNS0_4arch9wavefront6targetE1EEEvSP_.num_vgpr, 0
	.set _ZN7rocprim17ROCPRIM_400000_NS6detail17trampoline_kernelINS0_14default_configENS1_32segmented_reduce_config_selectorIfEEZNS1_21segmented_reduce_implIS3_PKfPfPKlfN6hipcub16HIPCUB_304000_NS6detail27convert_result_type_wrapperIS8_S9_N2at6native12_GLOBAL__N_19CustomMaxEEEEE10hipError_tPvRmT0_T1_jT2_SQ_T4_T3_P12ihipStream_tbEUlT_E_NS1_11comp_targetILNS1_3genE9ELNS1_11target_archE1100ELNS1_3gpuE3ELNS1_3repE0EEENS1_30default_config_static_selectorELNS0_4arch9wavefront6targetE1EEEvSP_.num_agpr, 0
	.set _ZN7rocprim17ROCPRIM_400000_NS6detail17trampoline_kernelINS0_14default_configENS1_32segmented_reduce_config_selectorIfEEZNS1_21segmented_reduce_implIS3_PKfPfPKlfN6hipcub16HIPCUB_304000_NS6detail27convert_result_type_wrapperIS8_S9_N2at6native12_GLOBAL__N_19CustomMaxEEEEE10hipError_tPvRmT0_T1_jT2_SQ_T4_T3_P12ihipStream_tbEUlT_E_NS1_11comp_targetILNS1_3genE9ELNS1_11target_archE1100ELNS1_3gpuE3ELNS1_3repE0EEENS1_30default_config_static_selectorELNS0_4arch9wavefront6targetE1EEEvSP_.numbered_sgpr, 0
	.set _ZN7rocprim17ROCPRIM_400000_NS6detail17trampoline_kernelINS0_14default_configENS1_32segmented_reduce_config_selectorIfEEZNS1_21segmented_reduce_implIS3_PKfPfPKlfN6hipcub16HIPCUB_304000_NS6detail27convert_result_type_wrapperIS8_S9_N2at6native12_GLOBAL__N_19CustomMaxEEEEE10hipError_tPvRmT0_T1_jT2_SQ_T4_T3_P12ihipStream_tbEUlT_E_NS1_11comp_targetILNS1_3genE9ELNS1_11target_archE1100ELNS1_3gpuE3ELNS1_3repE0EEENS1_30default_config_static_selectorELNS0_4arch9wavefront6targetE1EEEvSP_.num_named_barrier, 0
	.set _ZN7rocprim17ROCPRIM_400000_NS6detail17trampoline_kernelINS0_14default_configENS1_32segmented_reduce_config_selectorIfEEZNS1_21segmented_reduce_implIS3_PKfPfPKlfN6hipcub16HIPCUB_304000_NS6detail27convert_result_type_wrapperIS8_S9_N2at6native12_GLOBAL__N_19CustomMaxEEEEE10hipError_tPvRmT0_T1_jT2_SQ_T4_T3_P12ihipStream_tbEUlT_E_NS1_11comp_targetILNS1_3genE9ELNS1_11target_archE1100ELNS1_3gpuE3ELNS1_3repE0EEENS1_30default_config_static_selectorELNS0_4arch9wavefront6targetE1EEEvSP_.private_seg_size, 0
	.set _ZN7rocprim17ROCPRIM_400000_NS6detail17trampoline_kernelINS0_14default_configENS1_32segmented_reduce_config_selectorIfEEZNS1_21segmented_reduce_implIS3_PKfPfPKlfN6hipcub16HIPCUB_304000_NS6detail27convert_result_type_wrapperIS8_S9_N2at6native12_GLOBAL__N_19CustomMaxEEEEE10hipError_tPvRmT0_T1_jT2_SQ_T4_T3_P12ihipStream_tbEUlT_E_NS1_11comp_targetILNS1_3genE9ELNS1_11target_archE1100ELNS1_3gpuE3ELNS1_3repE0EEENS1_30default_config_static_selectorELNS0_4arch9wavefront6targetE1EEEvSP_.uses_vcc, 0
	.set _ZN7rocprim17ROCPRIM_400000_NS6detail17trampoline_kernelINS0_14default_configENS1_32segmented_reduce_config_selectorIfEEZNS1_21segmented_reduce_implIS3_PKfPfPKlfN6hipcub16HIPCUB_304000_NS6detail27convert_result_type_wrapperIS8_S9_N2at6native12_GLOBAL__N_19CustomMaxEEEEE10hipError_tPvRmT0_T1_jT2_SQ_T4_T3_P12ihipStream_tbEUlT_E_NS1_11comp_targetILNS1_3genE9ELNS1_11target_archE1100ELNS1_3gpuE3ELNS1_3repE0EEENS1_30default_config_static_selectorELNS0_4arch9wavefront6targetE1EEEvSP_.uses_flat_scratch, 0
	.set _ZN7rocprim17ROCPRIM_400000_NS6detail17trampoline_kernelINS0_14default_configENS1_32segmented_reduce_config_selectorIfEEZNS1_21segmented_reduce_implIS3_PKfPfPKlfN6hipcub16HIPCUB_304000_NS6detail27convert_result_type_wrapperIS8_S9_N2at6native12_GLOBAL__N_19CustomMaxEEEEE10hipError_tPvRmT0_T1_jT2_SQ_T4_T3_P12ihipStream_tbEUlT_E_NS1_11comp_targetILNS1_3genE9ELNS1_11target_archE1100ELNS1_3gpuE3ELNS1_3repE0EEENS1_30default_config_static_selectorELNS0_4arch9wavefront6targetE1EEEvSP_.has_dyn_sized_stack, 0
	.set _ZN7rocprim17ROCPRIM_400000_NS6detail17trampoline_kernelINS0_14default_configENS1_32segmented_reduce_config_selectorIfEEZNS1_21segmented_reduce_implIS3_PKfPfPKlfN6hipcub16HIPCUB_304000_NS6detail27convert_result_type_wrapperIS8_S9_N2at6native12_GLOBAL__N_19CustomMaxEEEEE10hipError_tPvRmT0_T1_jT2_SQ_T4_T3_P12ihipStream_tbEUlT_E_NS1_11comp_targetILNS1_3genE9ELNS1_11target_archE1100ELNS1_3gpuE3ELNS1_3repE0EEENS1_30default_config_static_selectorELNS0_4arch9wavefront6targetE1EEEvSP_.has_recursion, 0
	.set _ZN7rocprim17ROCPRIM_400000_NS6detail17trampoline_kernelINS0_14default_configENS1_32segmented_reduce_config_selectorIfEEZNS1_21segmented_reduce_implIS3_PKfPfPKlfN6hipcub16HIPCUB_304000_NS6detail27convert_result_type_wrapperIS8_S9_N2at6native12_GLOBAL__N_19CustomMaxEEEEE10hipError_tPvRmT0_T1_jT2_SQ_T4_T3_P12ihipStream_tbEUlT_E_NS1_11comp_targetILNS1_3genE9ELNS1_11target_archE1100ELNS1_3gpuE3ELNS1_3repE0EEENS1_30default_config_static_selectorELNS0_4arch9wavefront6targetE1EEEvSP_.has_indirect_call, 0
	.section	.AMDGPU.csdata,"",@progbits
; Kernel info:
; codeLenInByte = 0
; TotalNumSgprs: 4
; NumVgprs: 0
; ScratchSize: 0
; MemoryBound: 0
; FloatMode: 240
; IeeeMode: 1
; LDSByteSize: 0 bytes/workgroup (compile time only)
; SGPRBlocks: 0
; VGPRBlocks: 0
; NumSGPRsForWavesPerEU: 4
; NumVGPRsForWavesPerEU: 1
; Occupancy: 10
; WaveLimiterHint : 0
; COMPUTE_PGM_RSRC2:SCRATCH_EN: 0
; COMPUTE_PGM_RSRC2:USER_SGPR: 6
; COMPUTE_PGM_RSRC2:TRAP_HANDLER: 0
; COMPUTE_PGM_RSRC2:TGID_X_EN: 1
; COMPUTE_PGM_RSRC2:TGID_Y_EN: 0
; COMPUTE_PGM_RSRC2:TGID_Z_EN: 0
; COMPUTE_PGM_RSRC2:TIDIG_COMP_CNT: 0
	.section	.text._ZN7rocprim17ROCPRIM_400000_NS6detail17trampoline_kernelINS0_14default_configENS1_32segmented_reduce_config_selectorIfEEZNS1_21segmented_reduce_implIS3_PKfPfPKlfN6hipcub16HIPCUB_304000_NS6detail27convert_result_type_wrapperIS8_S9_N2at6native12_GLOBAL__N_19CustomMaxEEEEE10hipError_tPvRmT0_T1_jT2_SQ_T4_T3_P12ihipStream_tbEUlT_E_NS1_11comp_targetILNS1_3genE8ELNS1_11target_archE1030ELNS1_3gpuE2ELNS1_3repE0EEENS1_30default_config_static_selectorELNS0_4arch9wavefront6targetE1EEEvSP_,"axG",@progbits,_ZN7rocprim17ROCPRIM_400000_NS6detail17trampoline_kernelINS0_14default_configENS1_32segmented_reduce_config_selectorIfEEZNS1_21segmented_reduce_implIS3_PKfPfPKlfN6hipcub16HIPCUB_304000_NS6detail27convert_result_type_wrapperIS8_S9_N2at6native12_GLOBAL__N_19CustomMaxEEEEE10hipError_tPvRmT0_T1_jT2_SQ_T4_T3_P12ihipStream_tbEUlT_E_NS1_11comp_targetILNS1_3genE8ELNS1_11target_archE1030ELNS1_3gpuE2ELNS1_3repE0EEENS1_30default_config_static_selectorELNS0_4arch9wavefront6targetE1EEEvSP_,comdat
	.globl	_ZN7rocprim17ROCPRIM_400000_NS6detail17trampoline_kernelINS0_14default_configENS1_32segmented_reduce_config_selectorIfEEZNS1_21segmented_reduce_implIS3_PKfPfPKlfN6hipcub16HIPCUB_304000_NS6detail27convert_result_type_wrapperIS8_S9_N2at6native12_GLOBAL__N_19CustomMaxEEEEE10hipError_tPvRmT0_T1_jT2_SQ_T4_T3_P12ihipStream_tbEUlT_E_NS1_11comp_targetILNS1_3genE8ELNS1_11target_archE1030ELNS1_3gpuE2ELNS1_3repE0EEENS1_30default_config_static_selectorELNS0_4arch9wavefront6targetE1EEEvSP_ ; -- Begin function _ZN7rocprim17ROCPRIM_400000_NS6detail17trampoline_kernelINS0_14default_configENS1_32segmented_reduce_config_selectorIfEEZNS1_21segmented_reduce_implIS3_PKfPfPKlfN6hipcub16HIPCUB_304000_NS6detail27convert_result_type_wrapperIS8_S9_N2at6native12_GLOBAL__N_19CustomMaxEEEEE10hipError_tPvRmT0_T1_jT2_SQ_T4_T3_P12ihipStream_tbEUlT_E_NS1_11comp_targetILNS1_3genE8ELNS1_11target_archE1030ELNS1_3gpuE2ELNS1_3repE0EEENS1_30default_config_static_selectorELNS0_4arch9wavefront6targetE1EEEvSP_
	.p2align	8
	.type	_ZN7rocprim17ROCPRIM_400000_NS6detail17trampoline_kernelINS0_14default_configENS1_32segmented_reduce_config_selectorIfEEZNS1_21segmented_reduce_implIS3_PKfPfPKlfN6hipcub16HIPCUB_304000_NS6detail27convert_result_type_wrapperIS8_S9_N2at6native12_GLOBAL__N_19CustomMaxEEEEE10hipError_tPvRmT0_T1_jT2_SQ_T4_T3_P12ihipStream_tbEUlT_E_NS1_11comp_targetILNS1_3genE8ELNS1_11target_archE1030ELNS1_3gpuE2ELNS1_3repE0EEENS1_30default_config_static_selectorELNS0_4arch9wavefront6targetE1EEEvSP_,@function
_ZN7rocprim17ROCPRIM_400000_NS6detail17trampoline_kernelINS0_14default_configENS1_32segmented_reduce_config_selectorIfEEZNS1_21segmented_reduce_implIS3_PKfPfPKlfN6hipcub16HIPCUB_304000_NS6detail27convert_result_type_wrapperIS8_S9_N2at6native12_GLOBAL__N_19CustomMaxEEEEE10hipError_tPvRmT0_T1_jT2_SQ_T4_T3_P12ihipStream_tbEUlT_E_NS1_11comp_targetILNS1_3genE8ELNS1_11target_archE1030ELNS1_3gpuE2ELNS1_3repE0EEENS1_30default_config_static_selectorELNS0_4arch9wavefront6targetE1EEEvSP_: ; @_ZN7rocprim17ROCPRIM_400000_NS6detail17trampoline_kernelINS0_14default_configENS1_32segmented_reduce_config_selectorIfEEZNS1_21segmented_reduce_implIS3_PKfPfPKlfN6hipcub16HIPCUB_304000_NS6detail27convert_result_type_wrapperIS8_S9_N2at6native12_GLOBAL__N_19CustomMaxEEEEE10hipError_tPvRmT0_T1_jT2_SQ_T4_T3_P12ihipStream_tbEUlT_E_NS1_11comp_targetILNS1_3genE8ELNS1_11target_archE1030ELNS1_3gpuE2ELNS1_3repE0EEENS1_30default_config_static_selectorELNS0_4arch9wavefront6targetE1EEEvSP_
; %bb.0:
	.section	.rodata,"a",@progbits
	.p2align	6, 0x0
	.amdhsa_kernel _ZN7rocprim17ROCPRIM_400000_NS6detail17trampoline_kernelINS0_14default_configENS1_32segmented_reduce_config_selectorIfEEZNS1_21segmented_reduce_implIS3_PKfPfPKlfN6hipcub16HIPCUB_304000_NS6detail27convert_result_type_wrapperIS8_S9_N2at6native12_GLOBAL__N_19CustomMaxEEEEE10hipError_tPvRmT0_T1_jT2_SQ_T4_T3_P12ihipStream_tbEUlT_E_NS1_11comp_targetILNS1_3genE8ELNS1_11target_archE1030ELNS1_3gpuE2ELNS1_3repE0EEENS1_30default_config_static_selectorELNS0_4arch9wavefront6targetE1EEEvSP_
		.amdhsa_group_segment_fixed_size 0
		.amdhsa_private_segment_fixed_size 0
		.amdhsa_kernarg_size 48
		.amdhsa_user_sgpr_count 6
		.amdhsa_user_sgpr_private_segment_buffer 1
		.amdhsa_user_sgpr_dispatch_ptr 0
		.amdhsa_user_sgpr_queue_ptr 0
		.amdhsa_user_sgpr_kernarg_segment_ptr 1
		.amdhsa_user_sgpr_dispatch_id 0
		.amdhsa_user_sgpr_flat_scratch_init 0
		.amdhsa_user_sgpr_private_segment_size 0
		.amdhsa_uses_dynamic_stack 0
		.amdhsa_system_sgpr_private_segment_wavefront_offset 0
		.amdhsa_system_sgpr_workgroup_id_x 1
		.amdhsa_system_sgpr_workgroup_id_y 0
		.amdhsa_system_sgpr_workgroup_id_z 0
		.amdhsa_system_sgpr_workgroup_info 0
		.amdhsa_system_vgpr_workitem_id 0
		.amdhsa_next_free_vgpr 1
		.amdhsa_next_free_sgpr 0
		.amdhsa_reserve_vcc 0
		.amdhsa_reserve_flat_scratch 0
		.amdhsa_float_round_mode_32 0
		.amdhsa_float_round_mode_16_64 0
		.amdhsa_float_denorm_mode_32 3
		.amdhsa_float_denorm_mode_16_64 3
		.amdhsa_dx10_clamp 1
		.amdhsa_ieee_mode 1
		.amdhsa_fp16_overflow 0
		.amdhsa_exception_fp_ieee_invalid_op 0
		.amdhsa_exception_fp_denorm_src 0
		.amdhsa_exception_fp_ieee_div_zero 0
		.amdhsa_exception_fp_ieee_overflow 0
		.amdhsa_exception_fp_ieee_underflow 0
		.amdhsa_exception_fp_ieee_inexact 0
		.amdhsa_exception_int_div_zero 0
	.end_amdhsa_kernel
	.section	.text._ZN7rocprim17ROCPRIM_400000_NS6detail17trampoline_kernelINS0_14default_configENS1_32segmented_reduce_config_selectorIfEEZNS1_21segmented_reduce_implIS3_PKfPfPKlfN6hipcub16HIPCUB_304000_NS6detail27convert_result_type_wrapperIS8_S9_N2at6native12_GLOBAL__N_19CustomMaxEEEEE10hipError_tPvRmT0_T1_jT2_SQ_T4_T3_P12ihipStream_tbEUlT_E_NS1_11comp_targetILNS1_3genE8ELNS1_11target_archE1030ELNS1_3gpuE2ELNS1_3repE0EEENS1_30default_config_static_selectorELNS0_4arch9wavefront6targetE1EEEvSP_,"axG",@progbits,_ZN7rocprim17ROCPRIM_400000_NS6detail17trampoline_kernelINS0_14default_configENS1_32segmented_reduce_config_selectorIfEEZNS1_21segmented_reduce_implIS3_PKfPfPKlfN6hipcub16HIPCUB_304000_NS6detail27convert_result_type_wrapperIS8_S9_N2at6native12_GLOBAL__N_19CustomMaxEEEEE10hipError_tPvRmT0_T1_jT2_SQ_T4_T3_P12ihipStream_tbEUlT_E_NS1_11comp_targetILNS1_3genE8ELNS1_11target_archE1030ELNS1_3gpuE2ELNS1_3repE0EEENS1_30default_config_static_selectorELNS0_4arch9wavefront6targetE1EEEvSP_,comdat
.Lfunc_end186:
	.size	_ZN7rocprim17ROCPRIM_400000_NS6detail17trampoline_kernelINS0_14default_configENS1_32segmented_reduce_config_selectorIfEEZNS1_21segmented_reduce_implIS3_PKfPfPKlfN6hipcub16HIPCUB_304000_NS6detail27convert_result_type_wrapperIS8_S9_N2at6native12_GLOBAL__N_19CustomMaxEEEEE10hipError_tPvRmT0_T1_jT2_SQ_T4_T3_P12ihipStream_tbEUlT_E_NS1_11comp_targetILNS1_3genE8ELNS1_11target_archE1030ELNS1_3gpuE2ELNS1_3repE0EEENS1_30default_config_static_selectorELNS0_4arch9wavefront6targetE1EEEvSP_, .Lfunc_end186-_ZN7rocprim17ROCPRIM_400000_NS6detail17trampoline_kernelINS0_14default_configENS1_32segmented_reduce_config_selectorIfEEZNS1_21segmented_reduce_implIS3_PKfPfPKlfN6hipcub16HIPCUB_304000_NS6detail27convert_result_type_wrapperIS8_S9_N2at6native12_GLOBAL__N_19CustomMaxEEEEE10hipError_tPvRmT0_T1_jT2_SQ_T4_T3_P12ihipStream_tbEUlT_E_NS1_11comp_targetILNS1_3genE8ELNS1_11target_archE1030ELNS1_3gpuE2ELNS1_3repE0EEENS1_30default_config_static_selectorELNS0_4arch9wavefront6targetE1EEEvSP_
                                        ; -- End function
	.set _ZN7rocprim17ROCPRIM_400000_NS6detail17trampoline_kernelINS0_14default_configENS1_32segmented_reduce_config_selectorIfEEZNS1_21segmented_reduce_implIS3_PKfPfPKlfN6hipcub16HIPCUB_304000_NS6detail27convert_result_type_wrapperIS8_S9_N2at6native12_GLOBAL__N_19CustomMaxEEEEE10hipError_tPvRmT0_T1_jT2_SQ_T4_T3_P12ihipStream_tbEUlT_E_NS1_11comp_targetILNS1_3genE8ELNS1_11target_archE1030ELNS1_3gpuE2ELNS1_3repE0EEENS1_30default_config_static_selectorELNS0_4arch9wavefront6targetE1EEEvSP_.num_vgpr, 0
	.set _ZN7rocprim17ROCPRIM_400000_NS6detail17trampoline_kernelINS0_14default_configENS1_32segmented_reduce_config_selectorIfEEZNS1_21segmented_reduce_implIS3_PKfPfPKlfN6hipcub16HIPCUB_304000_NS6detail27convert_result_type_wrapperIS8_S9_N2at6native12_GLOBAL__N_19CustomMaxEEEEE10hipError_tPvRmT0_T1_jT2_SQ_T4_T3_P12ihipStream_tbEUlT_E_NS1_11comp_targetILNS1_3genE8ELNS1_11target_archE1030ELNS1_3gpuE2ELNS1_3repE0EEENS1_30default_config_static_selectorELNS0_4arch9wavefront6targetE1EEEvSP_.num_agpr, 0
	.set _ZN7rocprim17ROCPRIM_400000_NS6detail17trampoline_kernelINS0_14default_configENS1_32segmented_reduce_config_selectorIfEEZNS1_21segmented_reduce_implIS3_PKfPfPKlfN6hipcub16HIPCUB_304000_NS6detail27convert_result_type_wrapperIS8_S9_N2at6native12_GLOBAL__N_19CustomMaxEEEEE10hipError_tPvRmT0_T1_jT2_SQ_T4_T3_P12ihipStream_tbEUlT_E_NS1_11comp_targetILNS1_3genE8ELNS1_11target_archE1030ELNS1_3gpuE2ELNS1_3repE0EEENS1_30default_config_static_selectorELNS0_4arch9wavefront6targetE1EEEvSP_.numbered_sgpr, 0
	.set _ZN7rocprim17ROCPRIM_400000_NS6detail17trampoline_kernelINS0_14default_configENS1_32segmented_reduce_config_selectorIfEEZNS1_21segmented_reduce_implIS3_PKfPfPKlfN6hipcub16HIPCUB_304000_NS6detail27convert_result_type_wrapperIS8_S9_N2at6native12_GLOBAL__N_19CustomMaxEEEEE10hipError_tPvRmT0_T1_jT2_SQ_T4_T3_P12ihipStream_tbEUlT_E_NS1_11comp_targetILNS1_3genE8ELNS1_11target_archE1030ELNS1_3gpuE2ELNS1_3repE0EEENS1_30default_config_static_selectorELNS0_4arch9wavefront6targetE1EEEvSP_.num_named_barrier, 0
	.set _ZN7rocprim17ROCPRIM_400000_NS6detail17trampoline_kernelINS0_14default_configENS1_32segmented_reduce_config_selectorIfEEZNS1_21segmented_reduce_implIS3_PKfPfPKlfN6hipcub16HIPCUB_304000_NS6detail27convert_result_type_wrapperIS8_S9_N2at6native12_GLOBAL__N_19CustomMaxEEEEE10hipError_tPvRmT0_T1_jT2_SQ_T4_T3_P12ihipStream_tbEUlT_E_NS1_11comp_targetILNS1_3genE8ELNS1_11target_archE1030ELNS1_3gpuE2ELNS1_3repE0EEENS1_30default_config_static_selectorELNS0_4arch9wavefront6targetE1EEEvSP_.private_seg_size, 0
	.set _ZN7rocprim17ROCPRIM_400000_NS6detail17trampoline_kernelINS0_14default_configENS1_32segmented_reduce_config_selectorIfEEZNS1_21segmented_reduce_implIS3_PKfPfPKlfN6hipcub16HIPCUB_304000_NS6detail27convert_result_type_wrapperIS8_S9_N2at6native12_GLOBAL__N_19CustomMaxEEEEE10hipError_tPvRmT0_T1_jT2_SQ_T4_T3_P12ihipStream_tbEUlT_E_NS1_11comp_targetILNS1_3genE8ELNS1_11target_archE1030ELNS1_3gpuE2ELNS1_3repE0EEENS1_30default_config_static_selectorELNS0_4arch9wavefront6targetE1EEEvSP_.uses_vcc, 0
	.set _ZN7rocprim17ROCPRIM_400000_NS6detail17trampoline_kernelINS0_14default_configENS1_32segmented_reduce_config_selectorIfEEZNS1_21segmented_reduce_implIS3_PKfPfPKlfN6hipcub16HIPCUB_304000_NS6detail27convert_result_type_wrapperIS8_S9_N2at6native12_GLOBAL__N_19CustomMaxEEEEE10hipError_tPvRmT0_T1_jT2_SQ_T4_T3_P12ihipStream_tbEUlT_E_NS1_11comp_targetILNS1_3genE8ELNS1_11target_archE1030ELNS1_3gpuE2ELNS1_3repE0EEENS1_30default_config_static_selectorELNS0_4arch9wavefront6targetE1EEEvSP_.uses_flat_scratch, 0
	.set _ZN7rocprim17ROCPRIM_400000_NS6detail17trampoline_kernelINS0_14default_configENS1_32segmented_reduce_config_selectorIfEEZNS1_21segmented_reduce_implIS3_PKfPfPKlfN6hipcub16HIPCUB_304000_NS6detail27convert_result_type_wrapperIS8_S9_N2at6native12_GLOBAL__N_19CustomMaxEEEEE10hipError_tPvRmT0_T1_jT2_SQ_T4_T3_P12ihipStream_tbEUlT_E_NS1_11comp_targetILNS1_3genE8ELNS1_11target_archE1030ELNS1_3gpuE2ELNS1_3repE0EEENS1_30default_config_static_selectorELNS0_4arch9wavefront6targetE1EEEvSP_.has_dyn_sized_stack, 0
	.set _ZN7rocprim17ROCPRIM_400000_NS6detail17trampoline_kernelINS0_14default_configENS1_32segmented_reduce_config_selectorIfEEZNS1_21segmented_reduce_implIS3_PKfPfPKlfN6hipcub16HIPCUB_304000_NS6detail27convert_result_type_wrapperIS8_S9_N2at6native12_GLOBAL__N_19CustomMaxEEEEE10hipError_tPvRmT0_T1_jT2_SQ_T4_T3_P12ihipStream_tbEUlT_E_NS1_11comp_targetILNS1_3genE8ELNS1_11target_archE1030ELNS1_3gpuE2ELNS1_3repE0EEENS1_30default_config_static_selectorELNS0_4arch9wavefront6targetE1EEEvSP_.has_recursion, 0
	.set _ZN7rocprim17ROCPRIM_400000_NS6detail17trampoline_kernelINS0_14default_configENS1_32segmented_reduce_config_selectorIfEEZNS1_21segmented_reduce_implIS3_PKfPfPKlfN6hipcub16HIPCUB_304000_NS6detail27convert_result_type_wrapperIS8_S9_N2at6native12_GLOBAL__N_19CustomMaxEEEEE10hipError_tPvRmT0_T1_jT2_SQ_T4_T3_P12ihipStream_tbEUlT_E_NS1_11comp_targetILNS1_3genE8ELNS1_11target_archE1030ELNS1_3gpuE2ELNS1_3repE0EEENS1_30default_config_static_selectorELNS0_4arch9wavefront6targetE1EEEvSP_.has_indirect_call, 0
	.section	.AMDGPU.csdata,"",@progbits
; Kernel info:
; codeLenInByte = 0
; TotalNumSgprs: 4
; NumVgprs: 0
; ScratchSize: 0
; MemoryBound: 0
; FloatMode: 240
; IeeeMode: 1
; LDSByteSize: 0 bytes/workgroup (compile time only)
; SGPRBlocks: 0
; VGPRBlocks: 0
; NumSGPRsForWavesPerEU: 4
; NumVGPRsForWavesPerEU: 1
; Occupancy: 10
; WaveLimiterHint : 0
; COMPUTE_PGM_RSRC2:SCRATCH_EN: 0
; COMPUTE_PGM_RSRC2:USER_SGPR: 6
; COMPUTE_PGM_RSRC2:TRAP_HANDLER: 0
; COMPUTE_PGM_RSRC2:TGID_X_EN: 1
; COMPUTE_PGM_RSRC2:TGID_Y_EN: 0
; COMPUTE_PGM_RSRC2:TGID_Z_EN: 0
; COMPUTE_PGM_RSRC2:TIDIG_COMP_CNT: 0
	.section	.text._ZN7rocprim17ROCPRIM_400000_NS6detail17trampoline_kernelINS0_14default_configENS1_32segmented_reduce_config_selectorIfEEZNS1_21segmented_reduce_implIS3_PKfPfPKlfN6hipcub16HIPCUB_304000_NS6detail27convert_result_type_wrapperIS8_S9_N2at6native12_GLOBAL__N_19CustomSumEEEEE10hipError_tPvRmT0_T1_jT2_SQ_T4_T3_P12ihipStream_tbEUlT_E_NS1_11comp_targetILNS1_3genE0ELNS1_11target_archE4294967295ELNS1_3gpuE0ELNS1_3repE0EEENS1_30default_config_static_selectorELNS0_4arch9wavefront6targetE1EEEvSP_,"axG",@progbits,_ZN7rocprim17ROCPRIM_400000_NS6detail17trampoline_kernelINS0_14default_configENS1_32segmented_reduce_config_selectorIfEEZNS1_21segmented_reduce_implIS3_PKfPfPKlfN6hipcub16HIPCUB_304000_NS6detail27convert_result_type_wrapperIS8_S9_N2at6native12_GLOBAL__N_19CustomSumEEEEE10hipError_tPvRmT0_T1_jT2_SQ_T4_T3_P12ihipStream_tbEUlT_E_NS1_11comp_targetILNS1_3genE0ELNS1_11target_archE4294967295ELNS1_3gpuE0ELNS1_3repE0EEENS1_30default_config_static_selectorELNS0_4arch9wavefront6targetE1EEEvSP_,comdat
	.globl	_ZN7rocprim17ROCPRIM_400000_NS6detail17trampoline_kernelINS0_14default_configENS1_32segmented_reduce_config_selectorIfEEZNS1_21segmented_reduce_implIS3_PKfPfPKlfN6hipcub16HIPCUB_304000_NS6detail27convert_result_type_wrapperIS8_S9_N2at6native12_GLOBAL__N_19CustomSumEEEEE10hipError_tPvRmT0_T1_jT2_SQ_T4_T3_P12ihipStream_tbEUlT_E_NS1_11comp_targetILNS1_3genE0ELNS1_11target_archE4294967295ELNS1_3gpuE0ELNS1_3repE0EEENS1_30default_config_static_selectorELNS0_4arch9wavefront6targetE1EEEvSP_ ; -- Begin function _ZN7rocprim17ROCPRIM_400000_NS6detail17trampoline_kernelINS0_14default_configENS1_32segmented_reduce_config_selectorIfEEZNS1_21segmented_reduce_implIS3_PKfPfPKlfN6hipcub16HIPCUB_304000_NS6detail27convert_result_type_wrapperIS8_S9_N2at6native12_GLOBAL__N_19CustomSumEEEEE10hipError_tPvRmT0_T1_jT2_SQ_T4_T3_P12ihipStream_tbEUlT_E_NS1_11comp_targetILNS1_3genE0ELNS1_11target_archE4294967295ELNS1_3gpuE0ELNS1_3repE0EEENS1_30default_config_static_selectorELNS0_4arch9wavefront6targetE1EEEvSP_
	.p2align	8
	.type	_ZN7rocprim17ROCPRIM_400000_NS6detail17trampoline_kernelINS0_14default_configENS1_32segmented_reduce_config_selectorIfEEZNS1_21segmented_reduce_implIS3_PKfPfPKlfN6hipcub16HIPCUB_304000_NS6detail27convert_result_type_wrapperIS8_S9_N2at6native12_GLOBAL__N_19CustomSumEEEEE10hipError_tPvRmT0_T1_jT2_SQ_T4_T3_P12ihipStream_tbEUlT_E_NS1_11comp_targetILNS1_3genE0ELNS1_11target_archE4294967295ELNS1_3gpuE0ELNS1_3repE0EEENS1_30default_config_static_selectorELNS0_4arch9wavefront6targetE1EEEvSP_,@function
_ZN7rocprim17ROCPRIM_400000_NS6detail17trampoline_kernelINS0_14default_configENS1_32segmented_reduce_config_selectorIfEEZNS1_21segmented_reduce_implIS3_PKfPfPKlfN6hipcub16HIPCUB_304000_NS6detail27convert_result_type_wrapperIS8_S9_N2at6native12_GLOBAL__N_19CustomSumEEEEE10hipError_tPvRmT0_T1_jT2_SQ_T4_T3_P12ihipStream_tbEUlT_E_NS1_11comp_targetILNS1_3genE0ELNS1_11target_archE4294967295ELNS1_3gpuE0ELNS1_3repE0EEENS1_30default_config_static_selectorELNS0_4arch9wavefront6targetE1EEEvSP_: ; @_ZN7rocprim17ROCPRIM_400000_NS6detail17trampoline_kernelINS0_14default_configENS1_32segmented_reduce_config_selectorIfEEZNS1_21segmented_reduce_implIS3_PKfPfPKlfN6hipcub16HIPCUB_304000_NS6detail27convert_result_type_wrapperIS8_S9_N2at6native12_GLOBAL__N_19CustomSumEEEEE10hipError_tPvRmT0_T1_jT2_SQ_T4_T3_P12ihipStream_tbEUlT_E_NS1_11comp_targetILNS1_3genE0ELNS1_11target_archE4294967295ELNS1_3gpuE0ELNS1_3repE0EEENS1_30default_config_static_selectorELNS0_4arch9wavefront6targetE1EEEvSP_
; %bb.0:
	.section	.rodata,"a",@progbits
	.p2align	6, 0x0
	.amdhsa_kernel _ZN7rocprim17ROCPRIM_400000_NS6detail17trampoline_kernelINS0_14default_configENS1_32segmented_reduce_config_selectorIfEEZNS1_21segmented_reduce_implIS3_PKfPfPKlfN6hipcub16HIPCUB_304000_NS6detail27convert_result_type_wrapperIS8_S9_N2at6native12_GLOBAL__N_19CustomSumEEEEE10hipError_tPvRmT0_T1_jT2_SQ_T4_T3_P12ihipStream_tbEUlT_E_NS1_11comp_targetILNS1_3genE0ELNS1_11target_archE4294967295ELNS1_3gpuE0ELNS1_3repE0EEENS1_30default_config_static_selectorELNS0_4arch9wavefront6targetE1EEEvSP_
		.amdhsa_group_segment_fixed_size 0
		.amdhsa_private_segment_fixed_size 0
		.amdhsa_kernarg_size 48
		.amdhsa_user_sgpr_count 6
		.amdhsa_user_sgpr_private_segment_buffer 1
		.amdhsa_user_sgpr_dispatch_ptr 0
		.amdhsa_user_sgpr_queue_ptr 0
		.amdhsa_user_sgpr_kernarg_segment_ptr 1
		.amdhsa_user_sgpr_dispatch_id 0
		.amdhsa_user_sgpr_flat_scratch_init 0
		.amdhsa_user_sgpr_private_segment_size 0
		.amdhsa_uses_dynamic_stack 0
		.amdhsa_system_sgpr_private_segment_wavefront_offset 0
		.amdhsa_system_sgpr_workgroup_id_x 1
		.amdhsa_system_sgpr_workgroup_id_y 0
		.amdhsa_system_sgpr_workgroup_id_z 0
		.amdhsa_system_sgpr_workgroup_info 0
		.amdhsa_system_vgpr_workitem_id 0
		.amdhsa_next_free_vgpr 1
		.amdhsa_next_free_sgpr 0
		.amdhsa_reserve_vcc 0
		.amdhsa_reserve_flat_scratch 0
		.amdhsa_float_round_mode_32 0
		.amdhsa_float_round_mode_16_64 0
		.amdhsa_float_denorm_mode_32 3
		.amdhsa_float_denorm_mode_16_64 3
		.amdhsa_dx10_clamp 1
		.amdhsa_ieee_mode 1
		.amdhsa_fp16_overflow 0
		.amdhsa_exception_fp_ieee_invalid_op 0
		.amdhsa_exception_fp_denorm_src 0
		.amdhsa_exception_fp_ieee_div_zero 0
		.amdhsa_exception_fp_ieee_overflow 0
		.amdhsa_exception_fp_ieee_underflow 0
		.amdhsa_exception_fp_ieee_inexact 0
		.amdhsa_exception_int_div_zero 0
	.end_amdhsa_kernel
	.section	.text._ZN7rocprim17ROCPRIM_400000_NS6detail17trampoline_kernelINS0_14default_configENS1_32segmented_reduce_config_selectorIfEEZNS1_21segmented_reduce_implIS3_PKfPfPKlfN6hipcub16HIPCUB_304000_NS6detail27convert_result_type_wrapperIS8_S9_N2at6native12_GLOBAL__N_19CustomSumEEEEE10hipError_tPvRmT0_T1_jT2_SQ_T4_T3_P12ihipStream_tbEUlT_E_NS1_11comp_targetILNS1_3genE0ELNS1_11target_archE4294967295ELNS1_3gpuE0ELNS1_3repE0EEENS1_30default_config_static_selectorELNS0_4arch9wavefront6targetE1EEEvSP_,"axG",@progbits,_ZN7rocprim17ROCPRIM_400000_NS6detail17trampoline_kernelINS0_14default_configENS1_32segmented_reduce_config_selectorIfEEZNS1_21segmented_reduce_implIS3_PKfPfPKlfN6hipcub16HIPCUB_304000_NS6detail27convert_result_type_wrapperIS8_S9_N2at6native12_GLOBAL__N_19CustomSumEEEEE10hipError_tPvRmT0_T1_jT2_SQ_T4_T3_P12ihipStream_tbEUlT_E_NS1_11comp_targetILNS1_3genE0ELNS1_11target_archE4294967295ELNS1_3gpuE0ELNS1_3repE0EEENS1_30default_config_static_selectorELNS0_4arch9wavefront6targetE1EEEvSP_,comdat
.Lfunc_end187:
	.size	_ZN7rocprim17ROCPRIM_400000_NS6detail17trampoline_kernelINS0_14default_configENS1_32segmented_reduce_config_selectorIfEEZNS1_21segmented_reduce_implIS3_PKfPfPKlfN6hipcub16HIPCUB_304000_NS6detail27convert_result_type_wrapperIS8_S9_N2at6native12_GLOBAL__N_19CustomSumEEEEE10hipError_tPvRmT0_T1_jT2_SQ_T4_T3_P12ihipStream_tbEUlT_E_NS1_11comp_targetILNS1_3genE0ELNS1_11target_archE4294967295ELNS1_3gpuE0ELNS1_3repE0EEENS1_30default_config_static_selectorELNS0_4arch9wavefront6targetE1EEEvSP_, .Lfunc_end187-_ZN7rocprim17ROCPRIM_400000_NS6detail17trampoline_kernelINS0_14default_configENS1_32segmented_reduce_config_selectorIfEEZNS1_21segmented_reduce_implIS3_PKfPfPKlfN6hipcub16HIPCUB_304000_NS6detail27convert_result_type_wrapperIS8_S9_N2at6native12_GLOBAL__N_19CustomSumEEEEE10hipError_tPvRmT0_T1_jT2_SQ_T4_T3_P12ihipStream_tbEUlT_E_NS1_11comp_targetILNS1_3genE0ELNS1_11target_archE4294967295ELNS1_3gpuE0ELNS1_3repE0EEENS1_30default_config_static_selectorELNS0_4arch9wavefront6targetE1EEEvSP_
                                        ; -- End function
	.set _ZN7rocprim17ROCPRIM_400000_NS6detail17trampoline_kernelINS0_14default_configENS1_32segmented_reduce_config_selectorIfEEZNS1_21segmented_reduce_implIS3_PKfPfPKlfN6hipcub16HIPCUB_304000_NS6detail27convert_result_type_wrapperIS8_S9_N2at6native12_GLOBAL__N_19CustomSumEEEEE10hipError_tPvRmT0_T1_jT2_SQ_T4_T3_P12ihipStream_tbEUlT_E_NS1_11comp_targetILNS1_3genE0ELNS1_11target_archE4294967295ELNS1_3gpuE0ELNS1_3repE0EEENS1_30default_config_static_selectorELNS0_4arch9wavefront6targetE1EEEvSP_.num_vgpr, 0
	.set _ZN7rocprim17ROCPRIM_400000_NS6detail17trampoline_kernelINS0_14default_configENS1_32segmented_reduce_config_selectorIfEEZNS1_21segmented_reduce_implIS3_PKfPfPKlfN6hipcub16HIPCUB_304000_NS6detail27convert_result_type_wrapperIS8_S9_N2at6native12_GLOBAL__N_19CustomSumEEEEE10hipError_tPvRmT0_T1_jT2_SQ_T4_T3_P12ihipStream_tbEUlT_E_NS1_11comp_targetILNS1_3genE0ELNS1_11target_archE4294967295ELNS1_3gpuE0ELNS1_3repE0EEENS1_30default_config_static_selectorELNS0_4arch9wavefront6targetE1EEEvSP_.num_agpr, 0
	.set _ZN7rocprim17ROCPRIM_400000_NS6detail17trampoline_kernelINS0_14default_configENS1_32segmented_reduce_config_selectorIfEEZNS1_21segmented_reduce_implIS3_PKfPfPKlfN6hipcub16HIPCUB_304000_NS6detail27convert_result_type_wrapperIS8_S9_N2at6native12_GLOBAL__N_19CustomSumEEEEE10hipError_tPvRmT0_T1_jT2_SQ_T4_T3_P12ihipStream_tbEUlT_E_NS1_11comp_targetILNS1_3genE0ELNS1_11target_archE4294967295ELNS1_3gpuE0ELNS1_3repE0EEENS1_30default_config_static_selectorELNS0_4arch9wavefront6targetE1EEEvSP_.numbered_sgpr, 0
	.set _ZN7rocprim17ROCPRIM_400000_NS6detail17trampoline_kernelINS0_14default_configENS1_32segmented_reduce_config_selectorIfEEZNS1_21segmented_reduce_implIS3_PKfPfPKlfN6hipcub16HIPCUB_304000_NS6detail27convert_result_type_wrapperIS8_S9_N2at6native12_GLOBAL__N_19CustomSumEEEEE10hipError_tPvRmT0_T1_jT2_SQ_T4_T3_P12ihipStream_tbEUlT_E_NS1_11comp_targetILNS1_3genE0ELNS1_11target_archE4294967295ELNS1_3gpuE0ELNS1_3repE0EEENS1_30default_config_static_selectorELNS0_4arch9wavefront6targetE1EEEvSP_.num_named_barrier, 0
	.set _ZN7rocprim17ROCPRIM_400000_NS6detail17trampoline_kernelINS0_14default_configENS1_32segmented_reduce_config_selectorIfEEZNS1_21segmented_reduce_implIS3_PKfPfPKlfN6hipcub16HIPCUB_304000_NS6detail27convert_result_type_wrapperIS8_S9_N2at6native12_GLOBAL__N_19CustomSumEEEEE10hipError_tPvRmT0_T1_jT2_SQ_T4_T3_P12ihipStream_tbEUlT_E_NS1_11comp_targetILNS1_3genE0ELNS1_11target_archE4294967295ELNS1_3gpuE0ELNS1_3repE0EEENS1_30default_config_static_selectorELNS0_4arch9wavefront6targetE1EEEvSP_.private_seg_size, 0
	.set _ZN7rocprim17ROCPRIM_400000_NS6detail17trampoline_kernelINS0_14default_configENS1_32segmented_reduce_config_selectorIfEEZNS1_21segmented_reduce_implIS3_PKfPfPKlfN6hipcub16HIPCUB_304000_NS6detail27convert_result_type_wrapperIS8_S9_N2at6native12_GLOBAL__N_19CustomSumEEEEE10hipError_tPvRmT0_T1_jT2_SQ_T4_T3_P12ihipStream_tbEUlT_E_NS1_11comp_targetILNS1_3genE0ELNS1_11target_archE4294967295ELNS1_3gpuE0ELNS1_3repE0EEENS1_30default_config_static_selectorELNS0_4arch9wavefront6targetE1EEEvSP_.uses_vcc, 0
	.set _ZN7rocprim17ROCPRIM_400000_NS6detail17trampoline_kernelINS0_14default_configENS1_32segmented_reduce_config_selectorIfEEZNS1_21segmented_reduce_implIS3_PKfPfPKlfN6hipcub16HIPCUB_304000_NS6detail27convert_result_type_wrapperIS8_S9_N2at6native12_GLOBAL__N_19CustomSumEEEEE10hipError_tPvRmT0_T1_jT2_SQ_T4_T3_P12ihipStream_tbEUlT_E_NS1_11comp_targetILNS1_3genE0ELNS1_11target_archE4294967295ELNS1_3gpuE0ELNS1_3repE0EEENS1_30default_config_static_selectorELNS0_4arch9wavefront6targetE1EEEvSP_.uses_flat_scratch, 0
	.set _ZN7rocprim17ROCPRIM_400000_NS6detail17trampoline_kernelINS0_14default_configENS1_32segmented_reduce_config_selectorIfEEZNS1_21segmented_reduce_implIS3_PKfPfPKlfN6hipcub16HIPCUB_304000_NS6detail27convert_result_type_wrapperIS8_S9_N2at6native12_GLOBAL__N_19CustomSumEEEEE10hipError_tPvRmT0_T1_jT2_SQ_T4_T3_P12ihipStream_tbEUlT_E_NS1_11comp_targetILNS1_3genE0ELNS1_11target_archE4294967295ELNS1_3gpuE0ELNS1_3repE0EEENS1_30default_config_static_selectorELNS0_4arch9wavefront6targetE1EEEvSP_.has_dyn_sized_stack, 0
	.set _ZN7rocprim17ROCPRIM_400000_NS6detail17trampoline_kernelINS0_14default_configENS1_32segmented_reduce_config_selectorIfEEZNS1_21segmented_reduce_implIS3_PKfPfPKlfN6hipcub16HIPCUB_304000_NS6detail27convert_result_type_wrapperIS8_S9_N2at6native12_GLOBAL__N_19CustomSumEEEEE10hipError_tPvRmT0_T1_jT2_SQ_T4_T3_P12ihipStream_tbEUlT_E_NS1_11comp_targetILNS1_3genE0ELNS1_11target_archE4294967295ELNS1_3gpuE0ELNS1_3repE0EEENS1_30default_config_static_selectorELNS0_4arch9wavefront6targetE1EEEvSP_.has_recursion, 0
	.set _ZN7rocprim17ROCPRIM_400000_NS6detail17trampoline_kernelINS0_14default_configENS1_32segmented_reduce_config_selectorIfEEZNS1_21segmented_reduce_implIS3_PKfPfPKlfN6hipcub16HIPCUB_304000_NS6detail27convert_result_type_wrapperIS8_S9_N2at6native12_GLOBAL__N_19CustomSumEEEEE10hipError_tPvRmT0_T1_jT2_SQ_T4_T3_P12ihipStream_tbEUlT_E_NS1_11comp_targetILNS1_3genE0ELNS1_11target_archE4294967295ELNS1_3gpuE0ELNS1_3repE0EEENS1_30default_config_static_selectorELNS0_4arch9wavefront6targetE1EEEvSP_.has_indirect_call, 0
	.section	.AMDGPU.csdata,"",@progbits
; Kernel info:
; codeLenInByte = 0
; TotalNumSgprs: 4
; NumVgprs: 0
; ScratchSize: 0
; MemoryBound: 0
; FloatMode: 240
; IeeeMode: 1
; LDSByteSize: 0 bytes/workgroup (compile time only)
; SGPRBlocks: 0
; VGPRBlocks: 0
; NumSGPRsForWavesPerEU: 4
; NumVGPRsForWavesPerEU: 1
; Occupancy: 10
; WaveLimiterHint : 0
; COMPUTE_PGM_RSRC2:SCRATCH_EN: 0
; COMPUTE_PGM_RSRC2:USER_SGPR: 6
; COMPUTE_PGM_RSRC2:TRAP_HANDLER: 0
; COMPUTE_PGM_RSRC2:TGID_X_EN: 1
; COMPUTE_PGM_RSRC2:TGID_Y_EN: 0
; COMPUTE_PGM_RSRC2:TGID_Z_EN: 0
; COMPUTE_PGM_RSRC2:TIDIG_COMP_CNT: 0
	.section	.text._ZN7rocprim17ROCPRIM_400000_NS6detail17trampoline_kernelINS0_14default_configENS1_32segmented_reduce_config_selectorIfEEZNS1_21segmented_reduce_implIS3_PKfPfPKlfN6hipcub16HIPCUB_304000_NS6detail27convert_result_type_wrapperIS8_S9_N2at6native12_GLOBAL__N_19CustomSumEEEEE10hipError_tPvRmT0_T1_jT2_SQ_T4_T3_P12ihipStream_tbEUlT_E_NS1_11comp_targetILNS1_3genE5ELNS1_11target_archE942ELNS1_3gpuE9ELNS1_3repE0EEENS1_30default_config_static_selectorELNS0_4arch9wavefront6targetE1EEEvSP_,"axG",@progbits,_ZN7rocprim17ROCPRIM_400000_NS6detail17trampoline_kernelINS0_14default_configENS1_32segmented_reduce_config_selectorIfEEZNS1_21segmented_reduce_implIS3_PKfPfPKlfN6hipcub16HIPCUB_304000_NS6detail27convert_result_type_wrapperIS8_S9_N2at6native12_GLOBAL__N_19CustomSumEEEEE10hipError_tPvRmT0_T1_jT2_SQ_T4_T3_P12ihipStream_tbEUlT_E_NS1_11comp_targetILNS1_3genE5ELNS1_11target_archE942ELNS1_3gpuE9ELNS1_3repE0EEENS1_30default_config_static_selectorELNS0_4arch9wavefront6targetE1EEEvSP_,comdat
	.globl	_ZN7rocprim17ROCPRIM_400000_NS6detail17trampoline_kernelINS0_14default_configENS1_32segmented_reduce_config_selectorIfEEZNS1_21segmented_reduce_implIS3_PKfPfPKlfN6hipcub16HIPCUB_304000_NS6detail27convert_result_type_wrapperIS8_S9_N2at6native12_GLOBAL__N_19CustomSumEEEEE10hipError_tPvRmT0_T1_jT2_SQ_T4_T3_P12ihipStream_tbEUlT_E_NS1_11comp_targetILNS1_3genE5ELNS1_11target_archE942ELNS1_3gpuE9ELNS1_3repE0EEENS1_30default_config_static_selectorELNS0_4arch9wavefront6targetE1EEEvSP_ ; -- Begin function _ZN7rocprim17ROCPRIM_400000_NS6detail17trampoline_kernelINS0_14default_configENS1_32segmented_reduce_config_selectorIfEEZNS1_21segmented_reduce_implIS3_PKfPfPKlfN6hipcub16HIPCUB_304000_NS6detail27convert_result_type_wrapperIS8_S9_N2at6native12_GLOBAL__N_19CustomSumEEEEE10hipError_tPvRmT0_T1_jT2_SQ_T4_T3_P12ihipStream_tbEUlT_E_NS1_11comp_targetILNS1_3genE5ELNS1_11target_archE942ELNS1_3gpuE9ELNS1_3repE0EEENS1_30default_config_static_selectorELNS0_4arch9wavefront6targetE1EEEvSP_
	.p2align	8
	.type	_ZN7rocprim17ROCPRIM_400000_NS6detail17trampoline_kernelINS0_14default_configENS1_32segmented_reduce_config_selectorIfEEZNS1_21segmented_reduce_implIS3_PKfPfPKlfN6hipcub16HIPCUB_304000_NS6detail27convert_result_type_wrapperIS8_S9_N2at6native12_GLOBAL__N_19CustomSumEEEEE10hipError_tPvRmT0_T1_jT2_SQ_T4_T3_P12ihipStream_tbEUlT_E_NS1_11comp_targetILNS1_3genE5ELNS1_11target_archE942ELNS1_3gpuE9ELNS1_3repE0EEENS1_30default_config_static_selectorELNS0_4arch9wavefront6targetE1EEEvSP_,@function
_ZN7rocprim17ROCPRIM_400000_NS6detail17trampoline_kernelINS0_14default_configENS1_32segmented_reduce_config_selectorIfEEZNS1_21segmented_reduce_implIS3_PKfPfPKlfN6hipcub16HIPCUB_304000_NS6detail27convert_result_type_wrapperIS8_S9_N2at6native12_GLOBAL__N_19CustomSumEEEEE10hipError_tPvRmT0_T1_jT2_SQ_T4_T3_P12ihipStream_tbEUlT_E_NS1_11comp_targetILNS1_3genE5ELNS1_11target_archE942ELNS1_3gpuE9ELNS1_3repE0EEENS1_30default_config_static_selectorELNS0_4arch9wavefront6targetE1EEEvSP_: ; @_ZN7rocprim17ROCPRIM_400000_NS6detail17trampoline_kernelINS0_14default_configENS1_32segmented_reduce_config_selectorIfEEZNS1_21segmented_reduce_implIS3_PKfPfPKlfN6hipcub16HIPCUB_304000_NS6detail27convert_result_type_wrapperIS8_S9_N2at6native12_GLOBAL__N_19CustomSumEEEEE10hipError_tPvRmT0_T1_jT2_SQ_T4_T3_P12ihipStream_tbEUlT_E_NS1_11comp_targetILNS1_3genE5ELNS1_11target_archE942ELNS1_3gpuE9ELNS1_3repE0EEENS1_30default_config_static_selectorELNS0_4arch9wavefront6targetE1EEEvSP_
; %bb.0:
	.section	.rodata,"a",@progbits
	.p2align	6, 0x0
	.amdhsa_kernel _ZN7rocprim17ROCPRIM_400000_NS6detail17trampoline_kernelINS0_14default_configENS1_32segmented_reduce_config_selectorIfEEZNS1_21segmented_reduce_implIS3_PKfPfPKlfN6hipcub16HIPCUB_304000_NS6detail27convert_result_type_wrapperIS8_S9_N2at6native12_GLOBAL__N_19CustomSumEEEEE10hipError_tPvRmT0_T1_jT2_SQ_T4_T3_P12ihipStream_tbEUlT_E_NS1_11comp_targetILNS1_3genE5ELNS1_11target_archE942ELNS1_3gpuE9ELNS1_3repE0EEENS1_30default_config_static_selectorELNS0_4arch9wavefront6targetE1EEEvSP_
		.amdhsa_group_segment_fixed_size 0
		.amdhsa_private_segment_fixed_size 0
		.amdhsa_kernarg_size 48
		.amdhsa_user_sgpr_count 6
		.amdhsa_user_sgpr_private_segment_buffer 1
		.amdhsa_user_sgpr_dispatch_ptr 0
		.amdhsa_user_sgpr_queue_ptr 0
		.amdhsa_user_sgpr_kernarg_segment_ptr 1
		.amdhsa_user_sgpr_dispatch_id 0
		.amdhsa_user_sgpr_flat_scratch_init 0
		.amdhsa_user_sgpr_private_segment_size 0
		.amdhsa_uses_dynamic_stack 0
		.amdhsa_system_sgpr_private_segment_wavefront_offset 0
		.amdhsa_system_sgpr_workgroup_id_x 1
		.amdhsa_system_sgpr_workgroup_id_y 0
		.amdhsa_system_sgpr_workgroup_id_z 0
		.amdhsa_system_sgpr_workgroup_info 0
		.amdhsa_system_vgpr_workitem_id 0
		.amdhsa_next_free_vgpr 1
		.amdhsa_next_free_sgpr 0
		.amdhsa_reserve_vcc 0
		.amdhsa_reserve_flat_scratch 0
		.amdhsa_float_round_mode_32 0
		.amdhsa_float_round_mode_16_64 0
		.amdhsa_float_denorm_mode_32 3
		.amdhsa_float_denorm_mode_16_64 3
		.amdhsa_dx10_clamp 1
		.amdhsa_ieee_mode 1
		.amdhsa_fp16_overflow 0
		.amdhsa_exception_fp_ieee_invalid_op 0
		.amdhsa_exception_fp_denorm_src 0
		.amdhsa_exception_fp_ieee_div_zero 0
		.amdhsa_exception_fp_ieee_overflow 0
		.amdhsa_exception_fp_ieee_underflow 0
		.amdhsa_exception_fp_ieee_inexact 0
		.amdhsa_exception_int_div_zero 0
	.end_amdhsa_kernel
	.section	.text._ZN7rocprim17ROCPRIM_400000_NS6detail17trampoline_kernelINS0_14default_configENS1_32segmented_reduce_config_selectorIfEEZNS1_21segmented_reduce_implIS3_PKfPfPKlfN6hipcub16HIPCUB_304000_NS6detail27convert_result_type_wrapperIS8_S9_N2at6native12_GLOBAL__N_19CustomSumEEEEE10hipError_tPvRmT0_T1_jT2_SQ_T4_T3_P12ihipStream_tbEUlT_E_NS1_11comp_targetILNS1_3genE5ELNS1_11target_archE942ELNS1_3gpuE9ELNS1_3repE0EEENS1_30default_config_static_selectorELNS0_4arch9wavefront6targetE1EEEvSP_,"axG",@progbits,_ZN7rocprim17ROCPRIM_400000_NS6detail17trampoline_kernelINS0_14default_configENS1_32segmented_reduce_config_selectorIfEEZNS1_21segmented_reduce_implIS3_PKfPfPKlfN6hipcub16HIPCUB_304000_NS6detail27convert_result_type_wrapperIS8_S9_N2at6native12_GLOBAL__N_19CustomSumEEEEE10hipError_tPvRmT0_T1_jT2_SQ_T4_T3_P12ihipStream_tbEUlT_E_NS1_11comp_targetILNS1_3genE5ELNS1_11target_archE942ELNS1_3gpuE9ELNS1_3repE0EEENS1_30default_config_static_selectorELNS0_4arch9wavefront6targetE1EEEvSP_,comdat
.Lfunc_end188:
	.size	_ZN7rocprim17ROCPRIM_400000_NS6detail17trampoline_kernelINS0_14default_configENS1_32segmented_reduce_config_selectorIfEEZNS1_21segmented_reduce_implIS3_PKfPfPKlfN6hipcub16HIPCUB_304000_NS6detail27convert_result_type_wrapperIS8_S9_N2at6native12_GLOBAL__N_19CustomSumEEEEE10hipError_tPvRmT0_T1_jT2_SQ_T4_T3_P12ihipStream_tbEUlT_E_NS1_11comp_targetILNS1_3genE5ELNS1_11target_archE942ELNS1_3gpuE9ELNS1_3repE0EEENS1_30default_config_static_selectorELNS0_4arch9wavefront6targetE1EEEvSP_, .Lfunc_end188-_ZN7rocprim17ROCPRIM_400000_NS6detail17trampoline_kernelINS0_14default_configENS1_32segmented_reduce_config_selectorIfEEZNS1_21segmented_reduce_implIS3_PKfPfPKlfN6hipcub16HIPCUB_304000_NS6detail27convert_result_type_wrapperIS8_S9_N2at6native12_GLOBAL__N_19CustomSumEEEEE10hipError_tPvRmT0_T1_jT2_SQ_T4_T3_P12ihipStream_tbEUlT_E_NS1_11comp_targetILNS1_3genE5ELNS1_11target_archE942ELNS1_3gpuE9ELNS1_3repE0EEENS1_30default_config_static_selectorELNS0_4arch9wavefront6targetE1EEEvSP_
                                        ; -- End function
	.set _ZN7rocprim17ROCPRIM_400000_NS6detail17trampoline_kernelINS0_14default_configENS1_32segmented_reduce_config_selectorIfEEZNS1_21segmented_reduce_implIS3_PKfPfPKlfN6hipcub16HIPCUB_304000_NS6detail27convert_result_type_wrapperIS8_S9_N2at6native12_GLOBAL__N_19CustomSumEEEEE10hipError_tPvRmT0_T1_jT2_SQ_T4_T3_P12ihipStream_tbEUlT_E_NS1_11comp_targetILNS1_3genE5ELNS1_11target_archE942ELNS1_3gpuE9ELNS1_3repE0EEENS1_30default_config_static_selectorELNS0_4arch9wavefront6targetE1EEEvSP_.num_vgpr, 0
	.set _ZN7rocprim17ROCPRIM_400000_NS6detail17trampoline_kernelINS0_14default_configENS1_32segmented_reduce_config_selectorIfEEZNS1_21segmented_reduce_implIS3_PKfPfPKlfN6hipcub16HIPCUB_304000_NS6detail27convert_result_type_wrapperIS8_S9_N2at6native12_GLOBAL__N_19CustomSumEEEEE10hipError_tPvRmT0_T1_jT2_SQ_T4_T3_P12ihipStream_tbEUlT_E_NS1_11comp_targetILNS1_3genE5ELNS1_11target_archE942ELNS1_3gpuE9ELNS1_3repE0EEENS1_30default_config_static_selectorELNS0_4arch9wavefront6targetE1EEEvSP_.num_agpr, 0
	.set _ZN7rocprim17ROCPRIM_400000_NS6detail17trampoline_kernelINS0_14default_configENS1_32segmented_reduce_config_selectorIfEEZNS1_21segmented_reduce_implIS3_PKfPfPKlfN6hipcub16HIPCUB_304000_NS6detail27convert_result_type_wrapperIS8_S9_N2at6native12_GLOBAL__N_19CustomSumEEEEE10hipError_tPvRmT0_T1_jT2_SQ_T4_T3_P12ihipStream_tbEUlT_E_NS1_11comp_targetILNS1_3genE5ELNS1_11target_archE942ELNS1_3gpuE9ELNS1_3repE0EEENS1_30default_config_static_selectorELNS0_4arch9wavefront6targetE1EEEvSP_.numbered_sgpr, 0
	.set _ZN7rocprim17ROCPRIM_400000_NS6detail17trampoline_kernelINS0_14default_configENS1_32segmented_reduce_config_selectorIfEEZNS1_21segmented_reduce_implIS3_PKfPfPKlfN6hipcub16HIPCUB_304000_NS6detail27convert_result_type_wrapperIS8_S9_N2at6native12_GLOBAL__N_19CustomSumEEEEE10hipError_tPvRmT0_T1_jT2_SQ_T4_T3_P12ihipStream_tbEUlT_E_NS1_11comp_targetILNS1_3genE5ELNS1_11target_archE942ELNS1_3gpuE9ELNS1_3repE0EEENS1_30default_config_static_selectorELNS0_4arch9wavefront6targetE1EEEvSP_.num_named_barrier, 0
	.set _ZN7rocprim17ROCPRIM_400000_NS6detail17trampoline_kernelINS0_14default_configENS1_32segmented_reduce_config_selectorIfEEZNS1_21segmented_reduce_implIS3_PKfPfPKlfN6hipcub16HIPCUB_304000_NS6detail27convert_result_type_wrapperIS8_S9_N2at6native12_GLOBAL__N_19CustomSumEEEEE10hipError_tPvRmT0_T1_jT2_SQ_T4_T3_P12ihipStream_tbEUlT_E_NS1_11comp_targetILNS1_3genE5ELNS1_11target_archE942ELNS1_3gpuE9ELNS1_3repE0EEENS1_30default_config_static_selectorELNS0_4arch9wavefront6targetE1EEEvSP_.private_seg_size, 0
	.set _ZN7rocprim17ROCPRIM_400000_NS6detail17trampoline_kernelINS0_14default_configENS1_32segmented_reduce_config_selectorIfEEZNS1_21segmented_reduce_implIS3_PKfPfPKlfN6hipcub16HIPCUB_304000_NS6detail27convert_result_type_wrapperIS8_S9_N2at6native12_GLOBAL__N_19CustomSumEEEEE10hipError_tPvRmT0_T1_jT2_SQ_T4_T3_P12ihipStream_tbEUlT_E_NS1_11comp_targetILNS1_3genE5ELNS1_11target_archE942ELNS1_3gpuE9ELNS1_3repE0EEENS1_30default_config_static_selectorELNS0_4arch9wavefront6targetE1EEEvSP_.uses_vcc, 0
	.set _ZN7rocprim17ROCPRIM_400000_NS6detail17trampoline_kernelINS0_14default_configENS1_32segmented_reduce_config_selectorIfEEZNS1_21segmented_reduce_implIS3_PKfPfPKlfN6hipcub16HIPCUB_304000_NS6detail27convert_result_type_wrapperIS8_S9_N2at6native12_GLOBAL__N_19CustomSumEEEEE10hipError_tPvRmT0_T1_jT2_SQ_T4_T3_P12ihipStream_tbEUlT_E_NS1_11comp_targetILNS1_3genE5ELNS1_11target_archE942ELNS1_3gpuE9ELNS1_3repE0EEENS1_30default_config_static_selectorELNS0_4arch9wavefront6targetE1EEEvSP_.uses_flat_scratch, 0
	.set _ZN7rocprim17ROCPRIM_400000_NS6detail17trampoline_kernelINS0_14default_configENS1_32segmented_reduce_config_selectorIfEEZNS1_21segmented_reduce_implIS3_PKfPfPKlfN6hipcub16HIPCUB_304000_NS6detail27convert_result_type_wrapperIS8_S9_N2at6native12_GLOBAL__N_19CustomSumEEEEE10hipError_tPvRmT0_T1_jT2_SQ_T4_T3_P12ihipStream_tbEUlT_E_NS1_11comp_targetILNS1_3genE5ELNS1_11target_archE942ELNS1_3gpuE9ELNS1_3repE0EEENS1_30default_config_static_selectorELNS0_4arch9wavefront6targetE1EEEvSP_.has_dyn_sized_stack, 0
	.set _ZN7rocprim17ROCPRIM_400000_NS6detail17trampoline_kernelINS0_14default_configENS1_32segmented_reduce_config_selectorIfEEZNS1_21segmented_reduce_implIS3_PKfPfPKlfN6hipcub16HIPCUB_304000_NS6detail27convert_result_type_wrapperIS8_S9_N2at6native12_GLOBAL__N_19CustomSumEEEEE10hipError_tPvRmT0_T1_jT2_SQ_T4_T3_P12ihipStream_tbEUlT_E_NS1_11comp_targetILNS1_3genE5ELNS1_11target_archE942ELNS1_3gpuE9ELNS1_3repE0EEENS1_30default_config_static_selectorELNS0_4arch9wavefront6targetE1EEEvSP_.has_recursion, 0
	.set _ZN7rocprim17ROCPRIM_400000_NS6detail17trampoline_kernelINS0_14default_configENS1_32segmented_reduce_config_selectorIfEEZNS1_21segmented_reduce_implIS3_PKfPfPKlfN6hipcub16HIPCUB_304000_NS6detail27convert_result_type_wrapperIS8_S9_N2at6native12_GLOBAL__N_19CustomSumEEEEE10hipError_tPvRmT0_T1_jT2_SQ_T4_T3_P12ihipStream_tbEUlT_E_NS1_11comp_targetILNS1_3genE5ELNS1_11target_archE942ELNS1_3gpuE9ELNS1_3repE0EEENS1_30default_config_static_selectorELNS0_4arch9wavefront6targetE1EEEvSP_.has_indirect_call, 0
	.section	.AMDGPU.csdata,"",@progbits
; Kernel info:
; codeLenInByte = 0
; TotalNumSgprs: 4
; NumVgprs: 0
; ScratchSize: 0
; MemoryBound: 0
; FloatMode: 240
; IeeeMode: 1
; LDSByteSize: 0 bytes/workgroup (compile time only)
; SGPRBlocks: 0
; VGPRBlocks: 0
; NumSGPRsForWavesPerEU: 4
; NumVGPRsForWavesPerEU: 1
; Occupancy: 10
; WaveLimiterHint : 0
; COMPUTE_PGM_RSRC2:SCRATCH_EN: 0
; COMPUTE_PGM_RSRC2:USER_SGPR: 6
; COMPUTE_PGM_RSRC2:TRAP_HANDLER: 0
; COMPUTE_PGM_RSRC2:TGID_X_EN: 1
; COMPUTE_PGM_RSRC2:TGID_Y_EN: 0
; COMPUTE_PGM_RSRC2:TGID_Z_EN: 0
; COMPUTE_PGM_RSRC2:TIDIG_COMP_CNT: 0
	.section	.text._ZN7rocprim17ROCPRIM_400000_NS6detail17trampoline_kernelINS0_14default_configENS1_32segmented_reduce_config_selectorIfEEZNS1_21segmented_reduce_implIS3_PKfPfPKlfN6hipcub16HIPCUB_304000_NS6detail27convert_result_type_wrapperIS8_S9_N2at6native12_GLOBAL__N_19CustomSumEEEEE10hipError_tPvRmT0_T1_jT2_SQ_T4_T3_P12ihipStream_tbEUlT_E_NS1_11comp_targetILNS1_3genE10ELNS1_11target_archE1201ELNS1_3gpuE5ELNS1_3repE0EEENS1_30default_config_static_selectorELNS0_4arch9wavefront6targetE1EEEvSP_,"axG",@progbits,_ZN7rocprim17ROCPRIM_400000_NS6detail17trampoline_kernelINS0_14default_configENS1_32segmented_reduce_config_selectorIfEEZNS1_21segmented_reduce_implIS3_PKfPfPKlfN6hipcub16HIPCUB_304000_NS6detail27convert_result_type_wrapperIS8_S9_N2at6native12_GLOBAL__N_19CustomSumEEEEE10hipError_tPvRmT0_T1_jT2_SQ_T4_T3_P12ihipStream_tbEUlT_E_NS1_11comp_targetILNS1_3genE10ELNS1_11target_archE1201ELNS1_3gpuE5ELNS1_3repE0EEENS1_30default_config_static_selectorELNS0_4arch9wavefront6targetE1EEEvSP_,comdat
	.globl	_ZN7rocprim17ROCPRIM_400000_NS6detail17trampoline_kernelINS0_14default_configENS1_32segmented_reduce_config_selectorIfEEZNS1_21segmented_reduce_implIS3_PKfPfPKlfN6hipcub16HIPCUB_304000_NS6detail27convert_result_type_wrapperIS8_S9_N2at6native12_GLOBAL__N_19CustomSumEEEEE10hipError_tPvRmT0_T1_jT2_SQ_T4_T3_P12ihipStream_tbEUlT_E_NS1_11comp_targetILNS1_3genE10ELNS1_11target_archE1201ELNS1_3gpuE5ELNS1_3repE0EEENS1_30default_config_static_selectorELNS0_4arch9wavefront6targetE1EEEvSP_ ; -- Begin function _ZN7rocprim17ROCPRIM_400000_NS6detail17trampoline_kernelINS0_14default_configENS1_32segmented_reduce_config_selectorIfEEZNS1_21segmented_reduce_implIS3_PKfPfPKlfN6hipcub16HIPCUB_304000_NS6detail27convert_result_type_wrapperIS8_S9_N2at6native12_GLOBAL__N_19CustomSumEEEEE10hipError_tPvRmT0_T1_jT2_SQ_T4_T3_P12ihipStream_tbEUlT_E_NS1_11comp_targetILNS1_3genE10ELNS1_11target_archE1201ELNS1_3gpuE5ELNS1_3repE0EEENS1_30default_config_static_selectorELNS0_4arch9wavefront6targetE1EEEvSP_
	.p2align	8
	.type	_ZN7rocprim17ROCPRIM_400000_NS6detail17trampoline_kernelINS0_14default_configENS1_32segmented_reduce_config_selectorIfEEZNS1_21segmented_reduce_implIS3_PKfPfPKlfN6hipcub16HIPCUB_304000_NS6detail27convert_result_type_wrapperIS8_S9_N2at6native12_GLOBAL__N_19CustomSumEEEEE10hipError_tPvRmT0_T1_jT2_SQ_T4_T3_P12ihipStream_tbEUlT_E_NS1_11comp_targetILNS1_3genE10ELNS1_11target_archE1201ELNS1_3gpuE5ELNS1_3repE0EEENS1_30default_config_static_selectorELNS0_4arch9wavefront6targetE1EEEvSP_,@function
_ZN7rocprim17ROCPRIM_400000_NS6detail17trampoline_kernelINS0_14default_configENS1_32segmented_reduce_config_selectorIfEEZNS1_21segmented_reduce_implIS3_PKfPfPKlfN6hipcub16HIPCUB_304000_NS6detail27convert_result_type_wrapperIS8_S9_N2at6native12_GLOBAL__N_19CustomSumEEEEE10hipError_tPvRmT0_T1_jT2_SQ_T4_T3_P12ihipStream_tbEUlT_E_NS1_11comp_targetILNS1_3genE10ELNS1_11target_archE1201ELNS1_3gpuE5ELNS1_3repE0EEENS1_30default_config_static_selectorELNS0_4arch9wavefront6targetE1EEEvSP_: ; @_ZN7rocprim17ROCPRIM_400000_NS6detail17trampoline_kernelINS0_14default_configENS1_32segmented_reduce_config_selectorIfEEZNS1_21segmented_reduce_implIS3_PKfPfPKlfN6hipcub16HIPCUB_304000_NS6detail27convert_result_type_wrapperIS8_S9_N2at6native12_GLOBAL__N_19CustomSumEEEEE10hipError_tPvRmT0_T1_jT2_SQ_T4_T3_P12ihipStream_tbEUlT_E_NS1_11comp_targetILNS1_3genE10ELNS1_11target_archE1201ELNS1_3gpuE5ELNS1_3repE0EEENS1_30default_config_static_selectorELNS0_4arch9wavefront6targetE1EEEvSP_
; %bb.0:
	.section	.rodata,"a",@progbits
	.p2align	6, 0x0
	.amdhsa_kernel _ZN7rocprim17ROCPRIM_400000_NS6detail17trampoline_kernelINS0_14default_configENS1_32segmented_reduce_config_selectorIfEEZNS1_21segmented_reduce_implIS3_PKfPfPKlfN6hipcub16HIPCUB_304000_NS6detail27convert_result_type_wrapperIS8_S9_N2at6native12_GLOBAL__N_19CustomSumEEEEE10hipError_tPvRmT0_T1_jT2_SQ_T4_T3_P12ihipStream_tbEUlT_E_NS1_11comp_targetILNS1_3genE10ELNS1_11target_archE1201ELNS1_3gpuE5ELNS1_3repE0EEENS1_30default_config_static_selectorELNS0_4arch9wavefront6targetE1EEEvSP_
		.amdhsa_group_segment_fixed_size 0
		.amdhsa_private_segment_fixed_size 0
		.amdhsa_kernarg_size 48
		.amdhsa_user_sgpr_count 6
		.amdhsa_user_sgpr_private_segment_buffer 1
		.amdhsa_user_sgpr_dispatch_ptr 0
		.amdhsa_user_sgpr_queue_ptr 0
		.amdhsa_user_sgpr_kernarg_segment_ptr 1
		.amdhsa_user_sgpr_dispatch_id 0
		.amdhsa_user_sgpr_flat_scratch_init 0
		.amdhsa_user_sgpr_private_segment_size 0
		.amdhsa_uses_dynamic_stack 0
		.amdhsa_system_sgpr_private_segment_wavefront_offset 0
		.amdhsa_system_sgpr_workgroup_id_x 1
		.amdhsa_system_sgpr_workgroup_id_y 0
		.amdhsa_system_sgpr_workgroup_id_z 0
		.amdhsa_system_sgpr_workgroup_info 0
		.amdhsa_system_vgpr_workitem_id 0
		.amdhsa_next_free_vgpr 1
		.amdhsa_next_free_sgpr 0
		.amdhsa_reserve_vcc 0
		.amdhsa_reserve_flat_scratch 0
		.amdhsa_float_round_mode_32 0
		.amdhsa_float_round_mode_16_64 0
		.amdhsa_float_denorm_mode_32 3
		.amdhsa_float_denorm_mode_16_64 3
		.amdhsa_dx10_clamp 1
		.amdhsa_ieee_mode 1
		.amdhsa_fp16_overflow 0
		.amdhsa_exception_fp_ieee_invalid_op 0
		.amdhsa_exception_fp_denorm_src 0
		.amdhsa_exception_fp_ieee_div_zero 0
		.amdhsa_exception_fp_ieee_overflow 0
		.amdhsa_exception_fp_ieee_underflow 0
		.amdhsa_exception_fp_ieee_inexact 0
		.amdhsa_exception_int_div_zero 0
	.end_amdhsa_kernel
	.section	.text._ZN7rocprim17ROCPRIM_400000_NS6detail17trampoline_kernelINS0_14default_configENS1_32segmented_reduce_config_selectorIfEEZNS1_21segmented_reduce_implIS3_PKfPfPKlfN6hipcub16HIPCUB_304000_NS6detail27convert_result_type_wrapperIS8_S9_N2at6native12_GLOBAL__N_19CustomSumEEEEE10hipError_tPvRmT0_T1_jT2_SQ_T4_T3_P12ihipStream_tbEUlT_E_NS1_11comp_targetILNS1_3genE10ELNS1_11target_archE1201ELNS1_3gpuE5ELNS1_3repE0EEENS1_30default_config_static_selectorELNS0_4arch9wavefront6targetE1EEEvSP_,"axG",@progbits,_ZN7rocprim17ROCPRIM_400000_NS6detail17trampoline_kernelINS0_14default_configENS1_32segmented_reduce_config_selectorIfEEZNS1_21segmented_reduce_implIS3_PKfPfPKlfN6hipcub16HIPCUB_304000_NS6detail27convert_result_type_wrapperIS8_S9_N2at6native12_GLOBAL__N_19CustomSumEEEEE10hipError_tPvRmT0_T1_jT2_SQ_T4_T3_P12ihipStream_tbEUlT_E_NS1_11comp_targetILNS1_3genE10ELNS1_11target_archE1201ELNS1_3gpuE5ELNS1_3repE0EEENS1_30default_config_static_selectorELNS0_4arch9wavefront6targetE1EEEvSP_,comdat
.Lfunc_end189:
	.size	_ZN7rocprim17ROCPRIM_400000_NS6detail17trampoline_kernelINS0_14default_configENS1_32segmented_reduce_config_selectorIfEEZNS1_21segmented_reduce_implIS3_PKfPfPKlfN6hipcub16HIPCUB_304000_NS6detail27convert_result_type_wrapperIS8_S9_N2at6native12_GLOBAL__N_19CustomSumEEEEE10hipError_tPvRmT0_T1_jT2_SQ_T4_T3_P12ihipStream_tbEUlT_E_NS1_11comp_targetILNS1_3genE10ELNS1_11target_archE1201ELNS1_3gpuE5ELNS1_3repE0EEENS1_30default_config_static_selectorELNS0_4arch9wavefront6targetE1EEEvSP_, .Lfunc_end189-_ZN7rocprim17ROCPRIM_400000_NS6detail17trampoline_kernelINS0_14default_configENS1_32segmented_reduce_config_selectorIfEEZNS1_21segmented_reduce_implIS3_PKfPfPKlfN6hipcub16HIPCUB_304000_NS6detail27convert_result_type_wrapperIS8_S9_N2at6native12_GLOBAL__N_19CustomSumEEEEE10hipError_tPvRmT0_T1_jT2_SQ_T4_T3_P12ihipStream_tbEUlT_E_NS1_11comp_targetILNS1_3genE10ELNS1_11target_archE1201ELNS1_3gpuE5ELNS1_3repE0EEENS1_30default_config_static_selectorELNS0_4arch9wavefront6targetE1EEEvSP_
                                        ; -- End function
	.set _ZN7rocprim17ROCPRIM_400000_NS6detail17trampoline_kernelINS0_14default_configENS1_32segmented_reduce_config_selectorIfEEZNS1_21segmented_reduce_implIS3_PKfPfPKlfN6hipcub16HIPCUB_304000_NS6detail27convert_result_type_wrapperIS8_S9_N2at6native12_GLOBAL__N_19CustomSumEEEEE10hipError_tPvRmT0_T1_jT2_SQ_T4_T3_P12ihipStream_tbEUlT_E_NS1_11comp_targetILNS1_3genE10ELNS1_11target_archE1201ELNS1_3gpuE5ELNS1_3repE0EEENS1_30default_config_static_selectorELNS0_4arch9wavefront6targetE1EEEvSP_.num_vgpr, 0
	.set _ZN7rocprim17ROCPRIM_400000_NS6detail17trampoline_kernelINS0_14default_configENS1_32segmented_reduce_config_selectorIfEEZNS1_21segmented_reduce_implIS3_PKfPfPKlfN6hipcub16HIPCUB_304000_NS6detail27convert_result_type_wrapperIS8_S9_N2at6native12_GLOBAL__N_19CustomSumEEEEE10hipError_tPvRmT0_T1_jT2_SQ_T4_T3_P12ihipStream_tbEUlT_E_NS1_11comp_targetILNS1_3genE10ELNS1_11target_archE1201ELNS1_3gpuE5ELNS1_3repE0EEENS1_30default_config_static_selectorELNS0_4arch9wavefront6targetE1EEEvSP_.num_agpr, 0
	.set _ZN7rocprim17ROCPRIM_400000_NS6detail17trampoline_kernelINS0_14default_configENS1_32segmented_reduce_config_selectorIfEEZNS1_21segmented_reduce_implIS3_PKfPfPKlfN6hipcub16HIPCUB_304000_NS6detail27convert_result_type_wrapperIS8_S9_N2at6native12_GLOBAL__N_19CustomSumEEEEE10hipError_tPvRmT0_T1_jT2_SQ_T4_T3_P12ihipStream_tbEUlT_E_NS1_11comp_targetILNS1_3genE10ELNS1_11target_archE1201ELNS1_3gpuE5ELNS1_3repE0EEENS1_30default_config_static_selectorELNS0_4arch9wavefront6targetE1EEEvSP_.numbered_sgpr, 0
	.set _ZN7rocprim17ROCPRIM_400000_NS6detail17trampoline_kernelINS0_14default_configENS1_32segmented_reduce_config_selectorIfEEZNS1_21segmented_reduce_implIS3_PKfPfPKlfN6hipcub16HIPCUB_304000_NS6detail27convert_result_type_wrapperIS8_S9_N2at6native12_GLOBAL__N_19CustomSumEEEEE10hipError_tPvRmT0_T1_jT2_SQ_T4_T3_P12ihipStream_tbEUlT_E_NS1_11comp_targetILNS1_3genE10ELNS1_11target_archE1201ELNS1_3gpuE5ELNS1_3repE0EEENS1_30default_config_static_selectorELNS0_4arch9wavefront6targetE1EEEvSP_.num_named_barrier, 0
	.set _ZN7rocprim17ROCPRIM_400000_NS6detail17trampoline_kernelINS0_14default_configENS1_32segmented_reduce_config_selectorIfEEZNS1_21segmented_reduce_implIS3_PKfPfPKlfN6hipcub16HIPCUB_304000_NS6detail27convert_result_type_wrapperIS8_S9_N2at6native12_GLOBAL__N_19CustomSumEEEEE10hipError_tPvRmT0_T1_jT2_SQ_T4_T3_P12ihipStream_tbEUlT_E_NS1_11comp_targetILNS1_3genE10ELNS1_11target_archE1201ELNS1_3gpuE5ELNS1_3repE0EEENS1_30default_config_static_selectorELNS0_4arch9wavefront6targetE1EEEvSP_.private_seg_size, 0
	.set _ZN7rocprim17ROCPRIM_400000_NS6detail17trampoline_kernelINS0_14default_configENS1_32segmented_reduce_config_selectorIfEEZNS1_21segmented_reduce_implIS3_PKfPfPKlfN6hipcub16HIPCUB_304000_NS6detail27convert_result_type_wrapperIS8_S9_N2at6native12_GLOBAL__N_19CustomSumEEEEE10hipError_tPvRmT0_T1_jT2_SQ_T4_T3_P12ihipStream_tbEUlT_E_NS1_11comp_targetILNS1_3genE10ELNS1_11target_archE1201ELNS1_3gpuE5ELNS1_3repE0EEENS1_30default_config_static_selectorELNS0_4arch9wavefront6targetE1EEEvSP_.uses_vcc, 0
	.set _ZN7rocprim17ROCPRIM_400000_NS6detail17trampoline_kernelINS0_14default_configENS1_32segmented_reduce_config_selectorIfEEZNS1_21segmented_reduce_implIS3_PKfPfPKlfN6hipcub16HIPCUB_304000_NS6detail27convert_result_type_wrapperIS8_S9_N2at6native12_GLOBAL__N_19CustomSumEEEEE10hipError_tPvRmT0_T1_jT2_SQ_T4_T3_P12ihipStream_tbEUlT_E_NS1_11comp_targetILNS1_3genE10ELNS1_11target_archE1201ELNS1_3gpuE5ELNS1_3repE0EEENS1_30default_config_static_selectorELNS0_4arch9wavefront6targetE1EEEvSP_.uses_flat_scratch, 0
	.set _ZN7rocprim17ROCPRIM_400000_NS6detail17trampoline_kernelINS0_14default_configENS1_32segmented_reduce_config_selectorIfEEZNS1_21segmented_reduce_implIS3_PKfPfPKlfN6hipcub16HIPCUB_304000_NS6detail27convert_result_type_wrapperIS8_S9_N2at6native12_GLOBAL__N_19CustomSumEEEEE10hipError_tPvRmT0_T1_jT2_SQ_T4_T3_P12ihipStream_tbEUlT_E_NS1_11comp_targetILNS1_3genE10ELNS1_11target_archE1201ELNS1_3gpuE5ELNS1_3repE0EEENS1_30default_config_static_selectorELNS0_4arch9wavefront6targetE1EEEvSP_.has_dyn_sized_stack, 0
	.set _ZN7rocprim17ROCPRIM_400000_NS6detail17trampoline_kernelINS0_14default_configENS1_32segmented_reduce_config_selectorIfEEZNS1_21segmented_reduce_implIS3_PKfPfPKlfN6hipcub16HIPCUB_304000_NS6detail27convert_result_type_wrapperIS8_S9_N2at6native12_GLOBAL__N_19CustomSumEEEEE10hipError_tPvRmT0_T1_jT2_SQ_T4_T3_P12ihipStream_tbEUlT_E_NS1_11comp_targetILNS1_3genE10ELNS1_11target_archE1201ELNS1_3gpuE5ELNS1_3repE0EEENS1_30default_config_static_selectorELNS0_4arch9wavefront6targetE1EEEvSP_.has_recursion, 0
	.set _ZN7rocprim17ROCPRIM_400000_NS6detail17trampoline_kernelINS0_14default_configENS1_32segmented_reduce_config_selectorIfEEZNS1_21segmented_reduce_implIS3_PKfPfPKlfN6hipcub16HIPCUB_304000_NS6detail27convert_result_type_wrapperIS8_S9_N2at6native12_GLOBAL__N_19CustomSumEEEEE10hipError_tPvRmT0_T1_jT2_SQ_T4_T3_P12ihipStream_tbEUlT_E_NS1_11comp_targetILNS1_3genE10ELNS1_11target_archE1201ELNS1_3gpuE5ELNS1_3repE0EEENS1_30default_config_static_selectorELNS0_4arch9wavefront6targetE1EEEvSP_.has_indirect_call, 0
	.section	.AMDGPU.csdata,"",@progbits
; Kernel info:
; codeLenInByte = 0
; TotalNumSgprs: 4
; NumVgprs: 0
; ScratchSize: 0
; MemoryBound: 0
; FloatMode: 240
; IeeeMode: 1
; LDSByteSize: 0 bytes/workgroup (compile time only)
; SGPRBlocks: 0
; VGPRBlocks: 0
; NumSGPRsForWavesPerEU: 4
; NumVGPRsForWavesPerEU: 1
; Occupancy: 10
; WaveLimiterHint : 0
; COMPUTE_PGM_RSRC2:SCRATCH_EN: 0
; COMPUTE_PGM_RSRC2:USER_SGPR: 6
; COMPUTE_PGM_RSRC2:TRAP_HANDLER: 0
; COMPUTE_PGM_RSRC2:TGID_X_EN: 1
; COMPUTE_PGM_RSRC2:TGID_Y_EN: 0
; COMPUTE_PGM_RSRC2:TGID_Z_EN: 0
; COMPUTE_PGM_RSRC2:TIDIG_COMP_CNT: 0
	.section	.text._ZN7rocprim17ROCPRIM_400000_NS6detail17trampoline_kernelINS0_14default_configENS1_32segmented_reduce_config_selectorIfEEZNS1_21segmented_reduce_implIS3_PKfPfPKlfN6hipcub16HIPCUB_304000_NS6detail27convert_result_type_wrapperIS8_S9_N2at6native12_GLOBAL__N_19CustomSumEEEEE10hipError_tPvRmT0_T1_jT2_SQ_T4_T3_P12ihipStream_tbEUlT_E_NS1_11comp_targetILNS1_3genE4ELNS1_11target_archE910ELNS1_3gpuE8ELNS1_3repE0EEENS1_30default_config_static_selectorELNS0_4arch9wavefront6targetE1EEEvSP_,"axG",@progbits,_ZN7rocprim17ROCPRIM_400000_NS6detail17trampoline_kernelINS0_14default_configENS1_32segmented_reduce_config_selectorIfEEZNS1_21segmented_reduce_implIS3_PKfPfPKlfN6hipcub16HIPCUB_304000_NS6detail27convert_result_type_wrapperIS8_S9_N2at6native12_GLOBAL__N_19CustomSumEEEEE10hipError_tPvRmT0_T1_jT2_SQ_T4_T3_P12ihipStream_tbEUlT_E_NS1_11comp_targetILNS1_3genE4ELNS1_11target_archE910ELNS1_3gpuE8ELNS1_3repE0EEENS1_30default_config_static_selectorELNS0_4arch9wavefront6targetE1EEEvSP_,comdat
	.globl	_ZN7rocprim17ROCPRIM_400000_NS6detail17trampoline_kernelINS0_14default_configENS1_32segmented_reduce_config_selectorIfEEZNS1_21segmented_reduce_implIS3_PKfPfPKlfN6hipcub16HIPCUB_304000_NS6detail27convert_result_type_wrapperIS8_S9_N2at6native12_GLOBAL__N_19CustomSumEEEEE10hipError_tPvRmT0_T1_jT2_SQ_T4_T3_P12ihipStream_tbEUlT_E_NS1_11comp_targetILNS1_3genE4ELNS1_11target_archE910ELNS1_3gpuE8ELNS1_3repE0EEENS1_30default_config_static_selectorELNS0_4arch9wavefront6targetE1EEEvSP_ ; -- Begin function _ZN7rocprim17ROCPRIM_400000_NS6detail17trampoline_kernelINS0_14default_configENS1_32segmented_reduce_config_selectorIfEEZNS1_21segmented_reduce_implIS3_PKfPfPKlfN6hipcub16HIPCUB_304000_NS6detail27convert_result_type_wrapperIS8_S9_N2at6native12_GLOBAL__N_19CustomSumEEEEE10hipError_tPvRmT0_T1_jT2_SQ_T4_T3_P12ihipStream_tbEUlT_E_NS1_11comp_targetILNS1_3genE4ELNS1_11target_archE910ELNS1_3gpuE8ELNS1_3repE0EEENS1_30default_config_static_selectorELNS0_4arch9wavefront6targetE1EEEvSP_
	.p2align	8
	.type	_ZN7rocprim17ROCPRIM_400000_NS6detail17trampoline_kernelINS0_14default_configENS1_32segmented_reduce_config_selectorIfEEZNS1_21segmented_reduce_implIS3_PKfPfPKlfN6hipcub16HIPCUB_304000_NS6detail27convert_result_type_wrapperIS8_S9_N2at6native12_GLOBAL__N_19CustomSumEEEEE10hipError_tPvRmT0_T1_jT2_SQ_T4_T3_P12ihipStream_tbEUlT_E_NS1_11comp_targetILNS1_3genE4ELNS1_11target_archE910ELNS1_3gpuE8ELNS1_3repE0EEENS1_30default_config_static_selectorELNS0_4arch9wavefront6targetE1EEEvSP_,@function
_ZN7rocprim17ROCPRIM_400000_NS6detail17trampoline_kernelINS0_14default_configENS1_32segmented_reduce_config_selectorIfEEZNS1_21segmented_reduce_implIS3_PKfPfPKlfN6hipcub16HIPCUB_304000_NS6detail27convert_result_type_wrapperIS8_S9_N2at6native12_GLOBAL__N_19CustomSumEEEEE10hipError_tPvRmT0_T1_jT2_SQ_T4_T3_P12ihipStream_tbEUlT_E_NS1_11comp_targetILNS1_3genE4ELNS1_11target_archE910ELNS1_3gpuE8ELNS1_3repE0EEENS1_30default_config_static_selectorELNS0_4arch9wavefront6targetE1EEEvSP_: ; @_ZN7rocprim17ROCPRIM_400000_NS6detail17trampoline_kernelINS0_14default_configENS1_32segmented_reduce_config_selectorIfEEZNS1_21segmented_reduce_implIS3_PKfPfPKlfN6hipcub16HIPCUB_304000_NS6detail27convert_result_type_wrapperIS8_S9_N2at6native12_GLOBAL__N_19CustomSumEEEEE10hipError_tPvRmT0_T1_jT2_SQ_T4_T3_P12ihipStream_tbEUlT_E_NS1_11comp_targetILNS1_3genE4ELNS1_11target_archE910ELNS1_3gpuE8ELNS1_3repE0EEENS1_30default_config_static_selectorELNS0_4arch9wavefront6targetE1EEEvSP_
; %bb.0:
	.section	.rodata,"a",@progbits
	.p2align	6, 0x0
	.amdhsa_kernel _ZN7rocprim17ROCPRIM_400000_NS6detail17trampoline_kernelINS0_14default_configENS1_32segmented_reduce_config_selectorIfEEZNS1_21segmented_reduce_implIS3_PKfPfPKlfN6hipcub16HIPCUB_304000_NS6detail27convert_result_type_wrapperIS8_S9_N2at6native12_GLOBAL__N_19CustomSumEEEEE10hipError_tPvRmT0_T1_jT2_SQ_T4_T3_P12ihipStream_tbEUlT_E_NS1_11comp_targetILNS1_3genE4ELNS1_11target_archE910ELNS1_3gpuE8ELNS1_3repE0EEENS1_30default_config_static_selectorELNS0_4arch9wavefront6targetE1EEEvSP_
		.amdhsa_group_segment_fixed_size 0
		.amdhsa_private_segment_fixed_size 0
		.amdhsa_kernarg_size 48
		.amdhsa_user_sgpr_count 6
		.amdhsa_user_sgpr_private_segment_buffer 1
		.amdhsa_user_sgpr_dispatch_ptr 0
		.amdhsa_user_sgpr_queue_ptr 0
		.amdhsa_user_sgpr_kernarg_segment_ptr 1
		.amdhsa_user_sgpr_dispatch_id 0
		.amdhsa_user_sgpr_flat_scratch_init 0
		.amdhsa_user_sgpr_private_segment_size 0
		.amdhsa_uses_dynamic_stack 0
		.amdhsa_system_sgpr_private_segment_wavefront_offset 0
		.amdhsa_system_sgpr_workgroup_id_x 1
		.amdhsa_system_sgpr_workgroup_id_y 0
		.amdhsa_system_sgpr_workgroup_id_z 0
		.amdhsa_system_sgpr_workgroup_info 0
		.amdhsa_system_vgpr_workitem_id 0
		.amdhsa_next_free_vgpr 1
		.amdhsa_next_free_sgpr 0
		.amdhsa_reserve_vcc 0
		.amdhsa_reserve_flat_scratch 0
		.amdhsa_float_round_mode_32 0
		.amdhsa_float_round_mode_16_64 0
		.amdhsa_float_denorm_mode_32 3
		.amdhsa_float_denorm_mode_16_64 3
		.amdhsa_dx10_clamp 1
		.amdhsa_ieee_mode 1
		.amdhsa_fp16_overflow 0
		.amdhsa_exception_fp_ieee_invalid_op 0
		.amdhsa_exception_fp_denorm_src 0
		.amdhsa_exception_fp_ieee_div_zero 0
		.amdhsa_exception_fp_ieee_overflow 0
		.amdhsa_exception_fp_ieee_underflow 0
		.amdhsa_exception_fp_ieee_inexact 0
		.amdhsa_exception_int_div_zero 0
	.end_amdhsa_kernel
	.section	.text._ZN7rocprim17ROCPRIM_400000_NS6detail17trampoline_kernelINS0_14default_configENS1_32segmented_reduce_config_selectorIfEEZNS1_21segmented_reduce_implIS3_PKfPfPKlfN6hipcub16HIPCUB_304000_NS6detail27convert_result_type_wrapperIS8_S9_N2at6native12_GLOBAL__N_19CustomSumEEEEE10hipError_tPvRmT0_T1_jT2_SQ_T4_T3_P12ihipStream_tbEUlT_E_NS1_11comp_targetILNS1_3genE4ELNS1_11target_archE910ELNS1_3gpuE8ELNS1_3repE0EEENS1_30default_config_static_selectorELNS0_4arch9wavefront6targetE1EEEvSP_,"axG",@progbits,_ZN7rocprim17ROCPRIM_400000_NS6detail17trampoline_kernelINS0_14default_configENS1_32segmented_reduce_config_selectorIfEEZNS1_21segmented_reduce_implIS3_PKfPfPKlfN6hipcub16HIPCUB_304000_NS6detail27convert_result_type_wrapperIS8_S9_N2at6native12_GLOBAL__N_19CustomSumEEEEE10hipError_tPvRmT0_T1_jT2_SQ_T4_T3_P12ihipStream_tbEUlT_E_NS1_11comp_targetILNS1_3genE4ELNS1_11target_archE910ELNS1_3gpuE8ELNS1_3repE0EEENS1_30default_config_static_selectorELNS0_4arch9wavefront6targetE1EEEvSP_,comdat
.Lfunc_end190:
	.size	_ZN7rocprim17ROCPRIM_400000_NS6detail17trampoline_kernelINS0_14default_configENS1_32segmented_reduce_config_selectorIfEEZNS1_21segmented_reduce_implIS3_PKfPfPKlfN6hipcub16HIPCUB_304000_NS6detail27convert_result_type_wrapperIS8_S9_N2at6native12_GLOBAL__N_19CustomSumEEEEE10hipError_tPvRmT0_T1_jT2_SQ_T4_T3_P12ihipStream_tbEUlT_E_NS1_11comp_targetILNS1_3genE4ELNS1_11target_archE910ELNS1_3gpuE8ELNS1_3repE0EEENS1_30default_config_static_selectorELNS0_4arch9wavefront6targetE1EEEvSP_, .Lfunc_end190-_ZN7rocprim17ROCPRIM_400000_NS6detail17trampoline_kernelINS0_14default_configENS1_32segmented_reduce_config_selectorIfEEZNS1_21segmented_reduce_implIS3_PKfPfPKlfN6hipcub16HIPCUB_304000_NS6detail27convert_result_type_wrapperIS8_S9_N2at6native12_GLOBAL__N_19CustomSumEEEEE10hipError_tPvRmT0_T1_jT2_SQ_T4_T3_P12ihipStream_tbEUlT_E_NS1_11comp_targetILNS1_3genE4ELNS1_11target_archE910ELNS1_3gpuE8ELNS1_3repE0EEENS1_30default_config_static_selectorELNS0_4arch9wavefront6targetE1EEEvSP_
                                        ; -- End function
	.set _ZN7rocprim17ROCPRIM_400000_NS6detail17trampoline_kernelINS0_14default_configENS1_32segmented_reduce_config_selectorIfEEZNS1_21segmented_reduce_implIS3_PKfPfPKlfN6hipcub16HIPCUB_304000_NS6detail27convert_result_type_wrapperIS8_S9_N2at6native12_GLOBAL__N_19CustomSumEEEEE10hipError_tPvRmT0_T1_jT2_SQ_T4_T3_P12ihipStream_tbEUlT_E_NS1_11comp_targetILNS1_3genE4ELNS1_11target_archE910ELNS1_3gpuE8ELNS1_3repE0EEENS1_30default_config_static_selectorELNS0_4arch9wavefront6targetE1EEEvSP_.num_vgpr, 0
	.set _ZN7rocprim17ROCPRIM_400000_NS6detail17trampoline_kernelINS0_14default_configENS1_32segmented_reduce_config_selectorIfEEZNS1_21segmented_reduce_implIS3_PKfPfPKlfN6hipcub16HIPCUB_304000_NS6detail27convert_result_type_wrapperIS8_S9_N2at6native12_GLOBAL__N_19CustomSumEEEEE10hipError_tPvRmT0_T1_jT2_SQ_T4_T3_P12ihipStream_tbEUlT_E_NS1_11comp_targetILNS1_3genE4ELNS1_11target_archE910ELNS1_3gpuE8ELNS1_3repE0EEENS1_30default_config_static_selectorELNS0_4arch9wavefront6targetE1EEEvSP_.num_agpr, 0
	.set _ZN7rocprim17ROCPRIM_400000_NS6detail17trampoline_kernelINS0_14default_configENS1_32segmented_reduce_config_selectorIfEEZNS1_21segmented_reduce_implIS3_PKfPfPKlfN6hipcub16HIPCUB_304000_NS6detail27convert_result_type_wrapperIS8_S9_N2at6native12_GLOBAL__N_19CustomSumEEEEE10hipError_tPvRmT0_T1_jT2_SQ_T4_T3_P12ihipStream_tbEUlT_E_NS1_11comp_targetILNS1_3genE4ELNS1_11target_archE910ELNS1_3gpuE8ELNS1_3repE0EEENS1_30default_config_static_selectorELNS0_4arch9wavefront6targetE1EEEvSP_.numbered_sgpr, 0
	.set _ZN7rocprim17ROCPRIM_400000_NS6detail17trampoline_kernelINS0_14default_configENS1_32segmented_reduce_config_selectorIfEEZNS1_21segmented_reduce_implIS3_PKfPfPKlfN6hipcub16HIPCUB_304000_NS6detail27convert_result_type_wrapperIS8_S9_N2at6native12_GLOBAL__N_19CustomSumEEEEE10hipError_tPvRmT0_T1_jT2_SQ_T4_T3_P12ihipStream_tbEUlT_E_NS1_11comp_targetILNS1_3genE4ELNS1_11target_archE910ELNS1_3gpuE8ELNS1_3repE0EEENS1_30default_config_static_selectorELNS0_4arch9wavefront6targetE1EEEvSP_.num_named_barrier, 0
	.set _ZN7rocprim17ROCPRIM_400000_NS6detail17trampoline_kernelINS0_14default_configENS1_32segmented_reduce_config_selectorIfEEZNS1_21segmented_reduce_implIS3_PKfPfPKlfN6hipcub16HIPCUB_304000_NS6detail27convert_result_type_wrapperIS8_S9_N2at6native12_GLOBAL__N_19CustomSumEEEEE10hipError_tPvRmT0_T1_jT2_SQ_T4_T3_P12ihipStream_tbEUlT_E_NS1_11comp_targetILNS1_3genE4ELNS1_11target_archE910ELNS1_3gpuE8ELNS1_3repE0EEENS1_30default_config_static_selectorELNS0_4arch9wavefront6targetE1EEEvSP_.private_seg_size, 0
	.set _ZN7rocprim17ROCPRIM_400000_NS6detail17trampoline_kernelINS0_14default_configENS1_32segmented_reduce_config_selectorIfEEZNS1_21segmented_reduce_implIS3_PKfPfPKlfN6hipcub16HIPCUB_304000_NS6detail27convert_result_type_wrapperIS8_S9_N2at6native12_GLOBAL__N_19CustomSumEEEEE10hipError_tPvRmT0_T1_jT2_SQ_T4_T3_P12ihipStream_tbEUlT_E_NS1_11comp_targetILNS1_3genE4ELNS1_11target_archE910ELNS1_3gpuE8ELNS1_3repE0EEENS1_30default_config_static_selectorELNS0_4arch9wavefront6targetE1EEEvSP_.uses_vcc, 0
	.set _ZN7rocprim17ROCPRIM_400000_NS6detail17trampoline_kernelINS0_14default_configENS1_32segmented_reduce_config_selectorIfEEZNS1_21segmented_reduce_implIS3_PKfPfPKlfN6hipcub16HIPCUB_304000_NS6detail27convert_result_type_wrapperIS8_S9_N2at6native12_GLOBAL__N_19CustomSumEEEEE10hipError_tPvRmT0_T1_jT2_SQ_T4_T3_P12ihipStream_tbEUlT_E_NS1_11comp_targetILNS1_3genE4ELNS1_11target_archE910ELNS1_3gpuE8ELNS1_3repE0EEENS1_30default_config_static_selectorELNS0_4arch9wavefront6targetE1EEEvSP_.uses_flat_scratch, 0
	.set _ZN7rocprim17ROCPRIM_400000_NS6detail17trampoline_kernelINS0_14default_configENS1_32segmented_reduce_config_selectorIfEEZNS1_21segmented_reduce_implIS3_PKfPfPKlfN6hipcub16HIPCUB_304000_NS6detail27convert_result_type_wrapperIS8_S9_N2at6native12_GLOBAL__N_19CustomSumEEEEE10hipError_tPvRmT0_T1_jT2_SQ_T4_T3_P12ihipStream_tbEUlT_E_NS1_11comp_targetILNS1_3genE4ELNS1_11target_archE910ELNS1_3gpuE8ELNS1_3repE0EEENS1_30default_config_static_selectorELNS0_4arch9wavefront6targetE1EEEvSP_.has_dyn_sized_stack, 0
	.set _ZN7rocprim17ROCPRIM_400000_NS6detail17trampoline_kernelINS0_14default_configENS1_32segmented_reduce_config_selectorIfEEZNS1_21segmented_reduce_implIS3_PKfPfPKlfN6hipcub16HIPCUB_304000_NS6detail27convert_result_type_wrapperIS8_S9_N2at6native12_GLOBAL__N_19CustomSumEEEEE10hipError_tPvRmT0_T1_jT2_SQ_T4_T3_P12ihipStream_tbEUlT_E_NS1_11comp_targetILNS1_3genE4ELNS1_11target_archE910ELNS1_3gpuE8ELNS1_3repE0EEENS1_30default_config_static_selectorELNS0_4arch9wavefront6targetE1EEEvSP_.has_recursion, 0
	.set _ZN7rocprim17ROCPRIM_400000_NS6detail17trampoline_kernelINS0_14default_configENS1_32segmented_reduce_config_selectorIfEEZNS1_21segmented_reduce_implIS3_PKfPfPKlfN6hipcub16HIPCUB_304000_NS6detail27convert_result_type_wrapperIS8_S9_N2at6native12_GLOBAL__N_19CustomSumEEEEE10hipError_tPvRmT0_T1_jT2_SQ_T4_T3_P12ihipStream_tbEUlT_E_NS1_11comp_targetILNS1_3genE4ELNS1_11target_archE910ELNS1_3gpuE8ELNS1_3repE0EEENS1_30default_config_static_selectorELNS0_4arch9wavefront6targetE1EEEvSP_.has_indirect_call, 0
	.section	.AMDGPU.csdata,"",@progbits
; Kernel info:
; codeLenInByte = 0
; TotalNumSgprs: 4
; NumVgprs: 0
; ScratchSize: 0
; MemoryBound: 0
; FloatMode: 240
; IeeeMode: 1
; LDSByteSize: 0 bytes/workgroup (compile time only)
; SGPRBlocks: 0
; VGPRBlocks: 0
; NumSGPRsForWavesPerEU: 4
; NumVGPRsForWavesPerEU: 1
; Occupancy: 10
; WaveLimiterHint : 0
; COMPUTE_PGM_RSRC2:SCRATCH_EN: 0
; COMPUTE_PGM_RSRC2:USER_SGPR: 6
; COMPUTE_PGM_RSRC2:TRAP_HANDLER: 0
; COMPUTE_PGM_RSRC2:TGID_X_EN: 1
; COMPUTE_PGM_RSRC2:TGID_Y_EN: 0
; COMPUTE_PGM_RSRC2:TGID_Z_EN: 0
; COMPUTE_PGM_RSRC2:TIDIG_COMP_CNT: 0
	.section	.text._ZN7rocprim17ROCPRIM_400000_NS6detail17trampoline_kernelINS0_14default_configENS1_32segmented_reduce_config_selectorIfEEZNS1_21segmented_reduce_implIS3_PKfPfPKlfN6hipcub16HIPCUB_304000_NS6detail27convert_result_type_wrapperIS8_S9_N2at6native12_GLOBAL__N_19CustomSumEEEEE10hipError_tPvRmT0_T1_jT2_SQ_T4_T3_P12ihipStream_tbEUlT_E_NS1_11comp_targetILNS1_3genE3ELNS1_11target_archE908ELNS1_3gpuE7ELNS1_3repE0EEENS1_30default_config_static_selectorELNS0_4arch9wavefront6targetE1EEEvSP_,"axG",@progbits,_ZN7rocprim17ROCPRIM_400000_NS6detail17trampoline_kernelINS0_14default_configENS1_32segmented_reduce_config_selectorIfEEZNS1_21segmented_reduce_implIS3_PKfPfPKlfN6hipcub16HIPCUB_304000_NS6detail27convert_result_type_wrapperIS8_S9_N2at6native12_GLOBAL__N_19CustomSumEEEEE10hipError_tPvRmT0_T1_jT2_SQ_T4_T3_P12ihipStream_tbEUlT_E_NS1_11comp_targetILNS1_3genE3ELNS1_11target_archE908ELNS1_3gpuE7ELNS1_3repE0EEENS1_30default_config_static_selectorELNS0_4arch9wavefront6targetE1EEEvSP_,comdat
	.globl	_ZN7rocprim17ROCPRIM_400000_NS6detail17trampoline_kernelINS0_14default_configENS1_32segmented_reduce_config_selectorIfEEZNS1_21segmented_reduce_implIS3_PKfPfPKlfN6hipcub16HIPCUB_304000_NS6detail27convert_result_type_wrapperIS8_S9_N2at6native12_GLOBAL__N_19CustomSumEEEEE10hipError_tPvRmT0_T1_jT2_SQ_T4_T3_P12ihipStream_tbEUlT_E_NS1_11comp_targetILNS1_3genE3ELNS1_11target_archE908ELNS1_3gpuE7ELNS1_3repE0EEENS1_30default_config_static_selectorELNS0_4arch9wavefront6targetE1EEEvSP_ ; -- Begin function _ZN7rocprim17ROCPRIM_400000_NS6detail17trampoline_kernelINS0_14default_configENS1_32segmented_reduce_config_selectorIfEEZNS1_21segmented_reduce_implIS3_PKfPfPKlfN6hipcub16HIPCUB_304000_NS6detail27convert_result_type_wrapperIS8_S9_N2at6native12_GLOBAL__N_19CustomSumEEEEE10hipError_tPvRmT0_T1_jT2_SQ_T4_T3_P12ihipStream_tbEUlT_E_NS1_11comp_targetILNS1_3genE3ELNS1_11target_archE908ELNS1_3gpuE7ELNS1_3repE0EEENS1_30default_config_static_selectorELNS0_4arch9wavefront6targetE1EEEvSP_
	.p2align	8
	.type	_ZN7rocprim17ROCPRIM_400000_NS6detail17trampoline_kernelINS0_14default_configENS1_32segmented_reduce_config_selectorIfEEZNS1_21segmented_reduce_implIS3_PKfPfPKlfN6hipcub16HIPCUB_304000_NS6detail27convert_result_type_wrapperIS8_S9_N2at6native12_GLOBAL__N_19CustomSumEEEEE10hipError_tPvRmT0_T1_jT2_SQ_T4_T3_P12ihipStream_tbEUlT_E_NS1_11comp_targetILNS1_3genE3ELNS1_11target_archE908ELNS1_3gpuE7ELNS1_3repE0EEENS1_30default_config_static_selectorELNS0_4arch9wavefront6targetE1EEEvSP_,@function
_ZN7rocprim17ROCPRIM_400000_NS6detail17trampoline_kernelINS0_14default_configENS1_32segmented_reduce_config_selectorIfEEZNS1_21segmented_reduce_implIS3_PKfPfPKlfN6hipcub16HIPCUB_304000_NS6detail27convert_result_type_wrapperIS8_S9_N2at6native12_GLOBAL__N_19CustomSumEEEEE10hipError_tPvRmT0_T1_jT2_SQ_T4_T3_P12ihipStream_tbEUlT_E_NS1_11comp_targetILNS1_3genE3ELNS1_11target_archE908ELNS1_3gpuE7ELNS1_3repE0EEENS1_30default_config_static_selectorELNS0_4arch9wavefront6targetE1EEEvSP_: ; @_ZN7rocprim17ROCPRIM_400000_NS6detail17trampoline_kernelINS0_14default_configENS1_32segmented_reduce_config_selectorIfEEZNS1_21segmented_reduce_implIS3_PKfPfPKlfN6hipcub16HIPCUB_304000_NS6detail27convert_result_type_wrapperIS8_S9_N2at6native12_GLOBAL__N_19CustomSumEEEEE10hipError_tPvRmT0_T1_jT2_SQ_T4_T3_P12ihipStream_tbEUlT_E_NS1_11comp_targetILNS1_3genE3ELNS1_11target_archE908ELNS1_3gpuE7ELNS1_3repE0EEENS1_30default_config_static_selectorELNS0_4arch9wavefront6targetE1EEEvSP_
; %bb.0:
	.section	.rodata,"a",@progbits
	.p2align	6, 0x0
	.amdhsa_kernel _ZN7rocprim17ROCPRIM_400000_NS6detail17trampoline_kernelINS0_14default_configENS1_32segmented_reduce_config_selectorIfEEZNS1_21segmented_reduce_implIS3_PKfPfPKlfN6hipcub16HIPCUB_304000_NS6detail27convert_result_type_wrapperIS8_S9_N2at6native12_GLOBAL__N_19CustomSumEEEEE10hipError_tPvRmT0_T1_jT2_SQ_T4_T3_P12ihipStream_tbEUlT_E_NS1_11comp_targetILNS1_3genE3ELNS1_11target_archE908ELNS1_3gpuE7ELNS1_3repE0EEENS1_30default_config_static_selectorELNS0_4arch9wavefront6targetE1EEEvSP_
		.amdhsa_group_segment_fixed_size 0
		.amdhsa_private_segment_fixed_size 0
		.amdhsa_kernarg_size 48
		.amdhsa_user_sgpr_count 6
		.amdhsa_user_sgpr_private_segment_buffer 1
		.amdhsa_user_sgpr_dispatch_ptr 0
		.amdhsa_user_sgpr_queue_ptr 0
		.amdhsa_user_sgpr_kernarg_segment_ptr 1
		.amdhsa_user_sgpr_dispatch_id 0
		.amdhsa_user_sgpr_flat_scratch_init 0
		.amdhsa_user_sgpr_private_segment_size 0
		.amdhsa_uses_dynamic_stack 0
		.amdhsa_system_sgpr_private_segment_wavefront_offset 0
		.amdhsa_system_sgpr_workgroup_id_x 1
		.amdhsa_system_sgpr_workgroup_id_y 0
		.amdhsa_system_sgpr_workgroup_id_z 0
		.amdhsa_system_sgpr_workgroup_info 0
		.amdhsa_system_vgpr_workitem_id 0
		.amdhsa_next_free_vgpr 1
		.amdhsa_next_free_sgpr 0
		.amdhsa_reserve_vcc 0
		.amdhsa_reserve_flat_scratch 0
		.amdhsa_float_round_mode_32 0
		.amdhsa_float_round_mode_16_64 0
		.amdhsa_float_denorm_mode_32 3
		.amdhsa_float_denorm_mode_16_64 3
		.amdhsa_dx10_clamp 1
		.amdhsa_ieee_mode 1
		.amdhsa_fp16_overflow 0
		.amdhsa_exception_fp_ieee_invalid_op 0
		.amdhsa_exception_fp_denorm_src 0
		.amdhsa_exception_fp_ieee_div_zero 0
		.amdhsa_exception_fp_ieee_overflow 0
		.amdhsa_exception_fp_ieee_underflow 0
		.amdhsa_exception_fp_ieee_inexact 0
		.amdhsa_exception_int_div_zero 0
	.end_amdhsa_kernel
	.section	.text._ZN7rocprim17ROCPRIM_400000_NS6detail17trampoline_kernelINS0_14default_configENS1_32segmented_reduce_config_selectorIfEEZNS1_21segmented_reduce_implIS3_PKfPfPKlfN6hipcub16HIPCUB_304000_NS6detail27convert_result_type_wrapperIS8_S9_N2at6native12_GLOBAL__N_19CustomSumEEEEE10hipError_tPvRmT0_T1_jT2_SQ_T4_T3_P12ihipStream_tbEUlT_E_NS1_11comp_targetILNS1_3genE3ELNS1_11target_archE908ELNS1_3gpuE7ELNS1_3repE0EEENS1_30default_config_static_selectorELNS0_4arch9wavefront6targetE1EEEvSP_,"axG",@progbits,_ZN7rocprim17ROCPRIM_400000_NS6detail17trampoline_kernelINS0_14default_configENS1_32segmented_reduce_config_selectorIfEEZNS1_21segmented_reduce_implIS3_PKfPfPKlfN6hipcub16HIPCUB_304000_NS6detail27convert_result_type_wrapperIS8_S9_N2at6native12_GLOBAL__N_19CustomSumEEEEE10hipError_tPvRmT0_T1_jT2_SQ_T4_T3_P12ihipStream_tbEUlT_E_NS1_11comp_targetILNS1_3genE3ELNS1_11target_archE908ELNS1_3gpuE7ELNS1_3repE0EEENS1_30default_config_static_selectorELNS0_4arch9wavefront6targetE1EEEvSP_,comdat
.Lfunc_end191:
	.size	_ZN7rocprim17ROCPRIM_400000_NS6detail17trampoline_kernelINS0_14default_configENS1_32segmented_reduce_config_selectorIfEEZNS1_21segmented_reduce_implIS3_PKfPfPKlfN6hipcub16HIPCUB_304000_NS6detail27convert_result_type_wrapperIS8_S9_N2at6native12_GLOBAL__N_19CustomSumEEEEE10hipError_tPvRmT0_T1_jT2_SQ_T4_T3_P12ihipStream_tbEUlT_E_NS1_11comp_targetILNS1_3genE3ELNS1_11target_archE908ELNS1_3gpuE7ELNS1_3repE0EEENS1_30default_config_static_selectorELNS0_4arch9wavefront6targetE1EEEvSP_, .Lfunc_end191-_ZN7rocprim17ROCPRIM_400000_NS6detail17trampoline_kernelINS0_14default_configENS1_32segmented_reduce_config_selectorIfEEZNS1_21segmented_reduce_implIS3_PKfPfPKlfN6hipcub16HIPCUB_304000_NS6detail27convert_result_type_wrapperIS8_S9_N2at6native12_GLOBAL__N_19CustomSumEEEEE10hipError_tPvRmT0_T1_jT2_SQ_T4_T3_P12ihipStream_tbEUlT_E_NS1_11comp_targetILNS1_3genE3ELNS1_11target_archE908ELNS1_3gpuE7ELNS1_3repE0EEENS1_30default_config_static_selectorELNS0_4arch9wavefront6targetE1EEEvSP_
                                        ; -- End function
	.set _ZN7rocprim17ROCPRIM_400000_NS6detail17trampoline_kernelINS0_14default_configENS1_32segmented_reduce_config_selectorIfEEZNS1_21segmented_reduce_implIS3_PKfPfPKlfN6hipcub16HIPCUB_304000_NS6detail27convert_result_type_wrapperIS8_S9_N2at6native12_GLOBAL__N_19CustomSumEEEEE10hipError_tPvRmT0_T1_jT2_SQ_T4_T3_P12ihipStream_tbEUlT_E_NS1_11comp_targetILNS1_3genE3ELNS1_11target_archE908ELNS1_3gpuE7ELNS1_3repE0EEENS1_30default_config_static_selectorELNS0_4arch9wavefront6targetE1EEEvSP_.num_vgpr, 0
	.set _ZN7rocprim17ROCPRIM_400000_NS6detail17trampoline_kernelINS0_14default_configENS1_32segmented_reduce_config_selectorIfEEZNS1_21segmented_reduce_implIS3_PKfPfPKlfN6hipcub16HIPCUB_304000_NS6detail27convert_result_type_wrapperIS8_S9_N2at6native12_GLOBAL__N_19CustomSumEEEEE10hipError_tPvRmT0_T1_jT2_SQ_T4_T3_P12ihipStream_tbEUlT_E_NS1_11comp_targetILNS1_3genE3ELNS1_11target_archE908ELNS1_3gpuE7ELNS1_3repE0EEENS1_30default_config_static_selectorELNS0_4arch9wavefront6targetE1EEEvSP_.num_agpr, 0
	.set _ZN7rocprim17ROCPRIM_400000_NS6detail17trampoline_kernelINS0_14default_configENS1_32segmented_reduce_config_selectorIfEEZNS1_21segmented_reduce_implIS3_PKfPfPKlfN6hipcub16HIPCUB_304000_NS6detail27convert_result_type_wrapperIS8_S9_N2at6native12_GLOBAL__N_19CustomSumEEEEE10hipError_tPvRmT0_T1_jT2_SQ_T4_T3_P12ihipStream_tbEUlT_E_NS1_11comp_targetILNS1_3genE3ELNS1_11target_archE908ELNS1_3gpuE7ELNS1_3repE0EEENS1_30default_config_static_selectorELNS0_4arch9wavefront6targetE1EEEvSP_.numbered_sgpr, 0
	.set _ZN7rocprim17ROCPRIM_400000_NS6detail17trampoline_kernelINS0_14default_configENS1_32segmented_reduce_config_selectorIfEEZNS1_21segmented_reduce_implIS3_PKfPfPKlfN6hipcub16HIPCUB_304000_NS6detail27convert_result_type_wrapperIS8_S9_N2at6native12_GLOBAL__N_19CustomSumEEEEE10hipError_tPvRmT0_T1_jT2_SQ_T4_T3_P12ihipStream_tbEUlT_E_NS1_11comp_targetILNS1_3genE3ELNS1_11target_archE908ELNS1_3gpuE7ELNS1_3repE0EEENS1_30default_config_static_selectorELNS0_4arch9wavefront6targetE1EEEvSP_.num_named_barrier, 0
	.set _ZN7rocprim17ROCPRIM_400000_NS6detail17trampoline_kernelINS0_14default_configENS1_32segmented_reduce_config_selectorIfEEZNS1_21segmented_reduce_implIS3_PKfPfPKlfN6hipcub16HIPCUB_304000_NS6detail27convert_result_type_wrapperIS8_S9_N2at6native12_GLOBAL__N_19CustomSumEEEEE10hipError_tPvRmT0_T1_jT2_SQ_T4_T3_P12ihipStream_tbEUlT_E_NS1_11comp_targetILNS1_3genE3ELNS1_11target_archE908ELNS1_3gpuE7ELNS1_3repE0EEENS1_30default_config_static_selectorELNS0_4arch9wavefront6targetE1EEEvSP_.private_seg_size, 0
	.set _ZN7rocprim17ROCPRIM_400000_NS6detail17trampoline_kernelINS0_14default_configENS1_32segmented_reduce_config_selectorIfEEZNS1_21segmented_reduce_implIS3_PKfPfPKlfN6hipcub16HIPCUB_304000_NS6detail27convert_result_type_wrapperIS8_S9_N2at6native12_GLOBAL__N_19CustomSumEEEEE10hipError_tPvRmT0_T1_jT2_SQ_T4_T3_P12ihipStream_tbEUlT_E_NS1_11comp_targetILNS1_3genE3ELNS1_11target_archE908ELNS1_3gpuE7ELNS1_3repE0EEENS1_30default_config_static_selectorELNS0_4arch9wavefront6targetE1EEEvSP_.uses_vcc, 0
	.set _ZN7rocprim17ROCPRIM_400000_NS6detail17trampoline_kernelINS0_14default_configENS1_32segmented_reduce_config_selectorIfEEZNS1_21segmented_reduce_implIS3_PKfPfPKlfN6hipcub16HIPCUB_304000_NS6detail27convert_result_type_wrapperIS8_S9_N2at6native12_GLOBAL__N_19CustomSumEEEEE10hipError_tPvRmT0_T1_jT2_SQ_T4_T3_P12ihipStream_tbEUlT_E_NS1_11comp_targetILNS1_3genE3ELNS1_11target_archE908ELNS1_3gpuE7ELNS1_3repE0EEENS1_30default_config_static_selectorELNS0_4arch9wavefront6targetE1EEEvSP_.uses_flat_scratch, 0
	.set _ZN7rocprim17ROCPRIM_400000_NS6detail17trampoline_kernelINS0_14default_configENS1_32segmented_reduce_config_selectorIfEEZNS1_21segmented_reduce_implIS3_PKfPfPKlfN6hipcub16HIPCUB_304000_NS6detail27convert_result_type_wrapperIS8_S9_N2at6native12_GLOBAL__N_19CustomSumEEEEE10hipError_tPvRmT0_T1_jT2_SQ_T4_T3_P12ihipStream_tbEUlT_E_NS1_11comp_targetILNS1_3genE3ELNS1_11target_archE908ELNS1_3gpuE7ELNS1_3repE0EEENS1_30default_config_static_selectorELNS0_4arch9wavefront6targetE1EEEvSP_.has_dyn_sized_stack, 0
	.set _ZN7rocprim17ROCPRIM_400000_NS6detail17trampoline_kernelINS0_14default_configENS1_32segmented_reduce_config_selectorIfEEZNS1_21segmented_reduce_implIS3_PKfPfPKlfN6hipcub16HIPCUB_304000_NS6detail27convert_result_type_wrapperIS8_S9_N2at6native12_GLOBAL__N_19CustomSumEEEEE10hipError_tPvRmT0_T1_jT2_SQ_T4_T3_P12ihipStream_tbEUlT_E_NS1_11comp_targetILNS1_3genE3ELNS1_11target_archE908ELNS1_3gpuE7ELNS1_3repE0EEENS1_30default_config_static_selectorELNS0_4arch9wavefront6targetE1EEEvSP_.has_recursion, 0
	.set _ZN7rocprim17ROCPRIM_400000_NS6detail17trampoline_kernelINS0_14default_configENS1_32segmented_reduce_config_selectorIfEEZNS1_21segmented_reduce_implIS3_PKfPfPKlfN6hipcub16HIPCUB_304000_NS6detail27convert_result_type_wrapperIS8_S9_N2at6native12_GLOBAL__N_19CustomSumEEEEE10hipError_tPvRmT0_T1_jT2_SQ_T4_T3_P12ihipStream_tbEUlT_E_NS1_11comp_targetILNS1_3genE3ELNS1_11target_archE908ELNS1_3gpuE7ELNS1_3repE0EEENS1_30default_config_static_selectorELNS0_4arch9wavefront6targetE1EEEvSP_.has_indirect_call, 0
	.section	.AMDGPU.csdata,"",@progbits
; Kernel info:
; codeLenInByte = 0
; TotalNumSgprs: 4
; NumVgprs: 0
; ScratchSize: 0
; MemoryBound: 0
; FloatMode: 240
; IeeeMode: 1
; LDSByteSize: 0 bytes/workgroup (compile time only)
; SGPRBlocks: 0
; VGPRBlocks: 0
; NumSGPRsForWavesPerEU: 4
; NumVGPRsForWavesPerEU: 1
; Occupancy: 10
; WaveLimiterHint : 0
; COMPUTE_PGM_RSRC2:SCRATCH_EN: 0
; COMPUTE_PGM_RSRC2:USER_SGPR: 6
; COMPUTE_PGM_RSRC2:TRAP_HANDLER: 0
; COMPUTE_PGM_RSRC2:TGID_X_EN: 1
; COMPUTE_PGM_RSRC2:TGID_Y_EN: 0
; COMPUTE_PGM_RSRC2:TGID_Z_EN: 0
; COMPUTE_PGM_RSRC2:TIDIG_COMP_CNT: 0
	.section	.text._ZN7rocprim17ROCPRIM_400000_NS6detail17trampoline_kernelINS0_14default_configENS1_32segmented_reduce_config_selectorIfEEZNS1_21segmented_reduce_implIS3_PKfPfPKlfN6hipcub16HIPCUB_304000_NS6detail27convert_result_type_wrapperIS8_S9_N2at6native12_GLOBAL__N_19CustomSumEEEEE10hipError_tPvRmT0_T1_jT2_SQ_T4_T3_P12ihipStream_tbEUlT_E_NS1_11comp_targetILNS1_3genE2ELNS1_11target_archE906ELNS1_3gpuE6ELNS1_3repE0EEENS1_30default_config_static_selectorELNS0_4arch9wavefront6targetE1EEEvSP_,"axG",@progbits,_ZN7rocprim17ROCPRIM_400000_NS6detail17trampoline_kernelINS0_14default_configENS1_32segmented_reduce_config_selectorIfEEZNS1_21segmented_reduce_implIS3_PKfPfPKlfN6hipcub16HIPCUB_304000_NS6detail27convert_result_type_wrapperIS8_S9_N2at6native12_GLOBAL__N_19CustomSumEEEEE10hipError_tPvRmT0_T1_jT2_SQ_T4_T3_P12ihipStream_tbEUlT_E_NS1_11comp_targetILNS1_3genE2ELNS1_11target_archE906ELNS1_3gpuE6ELNS1_3repE0EEENS1_30default_config_static_selectorELNS0_4arch9wavefront6targetE1EEEvSP_,comdat
	.globl	_ZN7rocprim17ROCPRIM_400000_NS6detail17trampoline_kernelINS0_14default_configENS1_32segmented_reduce_config_selectorIfEEZNS1_21segmented_reduce_implIS3_PKfPfPKlfN6hipcub16HIPCUB_304000_NS6detail27convert_result_type_wrapperIS8_S9_N2at6native12_GLOBAL__N_19CustomSumEEEEE10hipError_tPvRmT0_T1_jT2_SQ_T4_T3_P12ihipStream_tbEUlT_E_NS1_11comp_targetILNS1_3genE2ELNS1_11target_archE906ELNS1_3gpuE6ELNS1_3repE0EEENS1_30default_config_static_selectorELNS0_4arch9wavefront6targetE1EEEvSP_ ; -- Begin function _ZN7rocprim17ROCPRIM_400000_NS6detail17trampoline_kernelINS0_14default_configENS1_32segmented_reduce_config_selectorIfEEZNS1_21segmented_reduce_implIS3_PKfPfPKlfN6hipcub16HIPCUB_304000_NS6detail27convert_result_type_wrapperIS8_S9_N2at6native12_GLOBAL__N_19CustomSumEEEEE10hipError_tPvRmT0_T1_jT2_SQ_T4_T3_P12ihipStream_tbEUlT_E_NS1_11comp_targetILNS1_3genE2ELNS1_11target_archE906ELNS1_3gpuE6ELNS1_3repE0EEENS1_30default_config_static_selectorELNS0_4arch9wavefront6targetE1EEEvSP_
	.p2align	8
	.type	_ZN7rocprim17ROCPRIM_400000_NS6detail17trampoline_kernelINS0_14default_configENS1_32segmented_reduce_config_selectorIfEEZNS1_21segmented_reduce_implIS3_PKfPfPKlfN6hipcub16HIPCUB_304000_NS6detail27convert_result_type_wrapperIS8_S9_N2at6native12_GLOBAL__N_19CustomSumEEEEE10hipError_tPvRmT0_T1_jT2_SQ_T4_T3_P12ihipStream_tbEUlT_E_NS1_11comp_targetILNS1_3genE2ELNS1_11target_archE906ELNS1_3gpuE6ELNS1_3repE0EEENS1_30default_config_static_selectorELNS0_4arch9wavefront6targetE1EEEvSP_,@function
_ZN7rocprim17ROCPRIM_400000_NS6detail17trampoline_kernelINS0_14default_configENS1_32segmented_reduce_config_selectorIfEEZNS1_21segmented_reduce_implIS3_PKfPfPKlfN6hipcub16HIPCUB_304000_NS6detail27convert_result_type_wrapperIS8_S9_N2at6native12_GLOBAL__N_19CustomSumEEEEE10hipError_tPvRmT0_T1_jT2_SQ_T4_T3_P12ihipStream_tbEUlT_E_NS1_11comp_targetILNS1_3genE2ELNS1_11target_archE906ELNS1_3gpuE6ELNS1_3repE0EEENS1_30default_config_static_selectorELNS0_4arch9wavefront6targetE1EEEvSP_: ; @_ZN7rocprim17ROCPRIM_400000_NS6detail17trampoline_kernelINS0_14default_configENS1_32segmented_reduce_config_selectorIfEEZNS1_21segmented_reduce_implIS3_PKfPfPKlfN6hipcub16HIPCUB_304000_NS6detail27convert_result_type_wrapperIS8_S9_N2at6native12_GLOBAL__N_19CustomSumEEEEE10hipError_tPvRmT0_T1_jT2_SQ_T4_T3_P12ihipStream_tbEUlT_E_NS1_11comp_targetILNS1_3genE2ELNS1_11target_archE906ELNS1_3gpuE6ELNS1_3repE0EEENS1_30default_config_static_selectorELNS0_4arch9wavefront6targetE1EEEvSP_
; %bb.0:
	s_load_dwordx8 s[36:43], s[4:5], 0x0
	s_load_dwordx2 s[0:1], s[4:5], 0x20
	s_load_dword s33, s[4:5], 0x2c
	s_mov_b32 s7, 0
	s_waitcnt lgkmcnt(0)
	s_lshl_b64 s[2:3], s[40:41], 3
	s_add_u32 s4, s42, s2
	s_addc_u32 s5, s43, s3
	s_add_u32 s8, s0, s2
	s_addc_u32 s9, s1, s3
	s_lshl_b64 s[0:1], s[6:7], 3
	s_add_u32 s2, s4, s0
	s_addc_u32 s3, s5, s1
	s_load_dwordx2 s[44:45], s[2:3], 0x0
	s_add_u32 s0, s8, s0
	s_addc_u32 s1, s9, s1
	s_load_dwordx2 s[42:43], s[0:1], 0x0
	v_cmp_eq_u32_e64 s[0:1], 0, v0
	s_waitcnt lgkmcnt(0)
	v_mov_b32_e32 v1, s44
	v_mov_b32_e32 v2, s45
	v_cmp_gt_i64_e32 vcc, s[42:43], v[1:2]
	s_cbranch_vccnz .LBB192_3
; %bb.1:
	s_and_b64 s[34:35], s[0:1], exec
	s_cbranch_execz .LBB192_4
; %bb.2:
	v_mov_b32_e32 v1, s33
	s_and_saveexec_b64 s[0:1], s[34:35]
	s_cbranch_execnz .LBB192_67
	s_branch .LBB192_68
.LBB192_3:
	s_mov_b64 s[34:35], 0
.LBB192_4:
	s_add_u32 s2, s44, 0x1000
	v_mov_b32_e32 v1, s42
	s_addc_u32 s3, s45, 0
	v_mov_b32_e32 v2, s43
	v_cmp_le_i64_e32 vcc, s[2:3], v[1:2]
	s_cbranch_vccz .LBB192_45
; %bb.5:
	s_lshl_b64 s[0:1], s[44:45], 2
	s_add_u32 s4, s36, s0
	s_addc_u32 s5, s37, s1
	v_lshlrev_b32_e32 v20, 2, v0
	v_mov_b32_e32 v1, s5
	v_add_co_u32_e32 v11, vcc, s4, v20
	v_addc_co_u32_e32 v12, vcc, 0, v1, vcc
	v_add_co_u32_e32 v1, vcc, 0x1000, v11
	v_addc_co_u32_e32 v2, vcc, 0, v12, vcc
	global_load_dword v6, v20, s[4:5]
	global_load_dword v5, v20, s[4:5] offset:1024
	global_load_dword v4, v20, s[4:5] offset:2048
	;; [unrolled: 1-line block ×3, first 2 shown]
	global_load_dword v10, v[1:2], off
	global_load_dword v9, v[1:2], off offset:1024
	global_load_dword v8, v[1:2], off offset:2048
	;; [unrolled: 1-line block ×3, first 2 shown]
	v_add_co_u32_e32 v1, vcc, 0x2000, v11
	v_addc_co_u32_e32 v2, vcc, 0, v12, vcc
	v_add_co_u32_e32 v21, vcc, 0x3000, v11
	v_addc_co_u32_e32 v22, vcc, 0, v12, vcc
	global_load_dword v15, v[1:2], off
	global_load_dword v14, v[1:2], off offset:1024
	global_load_dword v13, v[1:2], off offset:2048
	;; [unrolled: 1-line block ×3, first 2 shown]
	global_load_dword v16, v[21:22], off
	global_load_dword v18, v[21:22], off offset:1024
	global_load_dword v17, v[21:22], off offset:2048
	;; [unrolled: 1-line block ×3, first 2 shown]
	v_mov_b32_e32 v1, s42
	s_add_u32 s4, s44, 0x2000
	v_mov_b32_e32 v2, s43
	s_addc_u32 s5, s45, 0
	v_cmp_ge_i64_e32 vcc, s[4:5], v[1:2]
	s_and_b64 vcc, exec, vcc
	s_waitcnt vmcnt(14)
	v_add_f32_e32 v1, v6, v5
	s_waitcnt vmcnt(13)
	v_add_f32_e32 v1, v1, v4
	;; [unrolled: 2-line block ×15, first 2 shown]
	s_cbranch_vccnz .LBB192_8
; %bb.6:
	s_add_u32 s0, s36, s0
	s_addc_u32 s1, s37, s1
	v_mov_b32_e32 v1, s1
	v_add_co_u32_e32 v2, vcc, s0, v20
	v_addc_co_u32_e32 v3, vcc, 0, v1, vcc
	v_add_co_u32_e32 v1, vcc, 0x4000, v2
	v_addc_co_u32_e32 v2, vcc, 0, v3, vcc
.LBB192_7:                              ; =>This Inner Loop Header: Depth=1
	global_load_dword v6, v[1:2], off
	global_load_dword v5, v[1:2], off offset:1024
	global_load_dword v4, v[1:2], off offset:2048
	;; [unrolled: 1-line block ×3, first 2 shown]
	v_add_co_u32_e32 v16, vcc, 0x1000, v1
	v_addc_co_u32_e32 v17, vcc, 0, v2, vcc
	v_add_co_u32_e32 v21, vcc, 0x2000, v1
	v_addc_co_u32_e32 v22, vcc, 0, v2, vcc
	s_mov_b64 s[0:1], s[2:3]
	v_add_co_u32_e32 v23, vcc, 0x3000, v1
	s_add_u32 s2, s0, 0x1000
	global_load_dword v10, v[16:17], off
	global_load_dword v9, v[16:17], off offset:1024
	global_load_dword v8, v[16:17], off offset:2048
	;; [unrolled: 1-line block ×3, first 2 shown]
	global_load_dword v15, v[21:22], off
	global_load_dword v14, v[21:22], off offset:1024
	global_load_dword v13, v[21:22], off offset:2048
	global_load_dword v12, v[21:22], off offset:3072
	v_addc_co_u32_e32 v24, vcc, 0, v2, vcc
	s_addc_u32 s3, s1, 0
	global_load_dword v16, v[23:24], off
	v_mov_b32_e32 v18, s42
	s_add_u32 s0, s0, 0x2000
	v_mov_b32_e32 v19, s43
	s_addc_u32 s1, s1, 0
	v_cmp_lt_i64_e64 s[0:1], s[0:1], v[18:19]
	global_load_dword v18, v[23:24], off offset:1024
	global_load_dword v17, v[23:24], off offset:2048
	;; [unrolled: 1-line block ×3, first 2 shown]
	v_add_co_u32_e32 v1, vcc, 0x4000, v1
	v_addc_co_u32_e32 v2, vcc, 0, v2, vcc
	s_and_b64 vcc, exec, s[0:1]
	s_waitcnt vmcnt(15)
	v_add_f32_e32 v11, v11, v6
	s_waitcnt vmcnt(14)
	v_add_f32_e32 v11, v11, v5
	;; [unrolled: 2-line block ×16, first 2 shown]
	s_cbranch_vccnz .LBB192_7
.LBB192_8:
	s_sub_i32 s48, s42, s2
	s_lshl_b64 s[0:1], s[2:3], 2
	s_add_u32 s46, s36, s0
	s_addc_u32 s47, s37, s1
	v_cmp_gt_u32_e32 vcc, s48, v0
	s_and_saveexec_b64 s[0:1], vcc
	s_cbranch_execz .LBB192_10
; %bb.9:
	global_load_dword v6, v20, s[46:47]
.LBB192_10:
	s_or_b64 exec, exec, s[0:1]
	v_or_b32_e32 v1, 0x100, v0
	v_cmp_gt_u32_e64 s[0:1], s48, v1
	s_and_saveexec_b64 s[2:3], s[0:1]
	s_cbranch_execz .LBB192_12
; %bb.11:
	global_load_dword v5, v20, s[46:47] offset:1024
.LBB192_12:
	s_or_b64 exec, exec, s[2:3]
	v_or_b32_e32 v1, 0x200, v0
	v_cmp_gt_u32_e64 s[2:3], s48, v1
	s_and_saveexec_b64 s[4:5], s[2:3]
	s_cbranch_execz .LBB192_14
; %bb.13:
	global_load_dword v4, v20, s[46:47] offset:2048
.LBB192_14:
	;; [unrolled: 8-line block ×3, first 2 shown]
	s_or_b64 exec, exec, s[8:9]
	v_or_b32_e32 v1, 0x400, v0
	v_cmp_gt_u32_e64 s[8:9], s48, v1
	s_and_saveexec_b64 s[10:11], s[8:9]
	s_cbranch_execz .LBB192_18
; %bb.17:
	v_lshlrev_b32_e32 v1, 2, v1
	global_load_dword v10, v1, s[46:47]
.LBB192_18:
	s_or_b64 exec, exec, s[10:11]
	v_or_b32_e32 v1, 0x500, v0
	v_cmp_gt_u32_e64 s[10:11], s48, v1
	s_and_saveexec_b64 s[12:13], s[10:11]
	s_cbranch_execz .LBB192_20
; %bb.19:
	v_lshlrev_b32_e32 v1, 2, v1
	global_load_dword v9, v1, s[46:47]
.LBB192_20:
	;; [unrolled: 9-line block ×12, first 2 shown]
	s_or_b64 exec, exec, s[48:49]
	s_waitcnt vmcnt(0)
	v_add_f32_e32 v1, v11, v6
	v_cndmask_b32_e32 v1, v11, v1, vcc
	v_add_f32_e32 v2, v5, v1
	v_cndmask_b32_e64 v1, v1, v2, s[0:1]
	v_add_f32_e32 v2, v4, v1
	v_cndmask_b32_e64 v1, v1, v2, s[2:3]
	;; [unrolled: 2-line block ×15, first 2 shown]
	v_mbcnt_lo_u32_b32 v1, -1, 0
	v_mbcnt_hi_u32_b32 v1, -1, v1
	v_add_f32_dpp v2, v2, v2 quad_perm:[1,0,3,2] row_mask:0xf bank_mask:0xf bound_ctrl:1
	v_cmp_eq_u32_e32 vcc, 0, v1
	s_nop 0
	v_add_f32_dpp v2, v2, v2 quad_perm:[2,3,0,1] row_mask:0xf bank_mask:0xf bound_ctrl:1
	s_nop 1
	v_add_f32_dpp v2, v2, v2 row_ror:4 row_mask:0xf bank_mask:0xf bound_ctrl:1
	s_nop 1
	v_add_f32_dpp v2, v2, v2 row_ror:8 row_mask:0xf bank_mask:0xf bound_ctrl:1
	s_nop 1
	v_add_f32_dpp v2, v2, v2 row_bcast:15 row_mask:0xf bank_mask:0xf bound_ctrl:1
	s_nop 1
	v_add_f32_dpp v3, v2, v2 row_bcast:31 row_mask:0xf bank_mask:0xf bound_ctrl:1
	v_lshlrev_b32_e32 v2, 2, v1
	v_or_b32_e32 v4, 0xfc, v2
	ds_bpermute_b32 v3, v4, v3
	s_and_saveexec_b64 s[0:1], vcc
	s_cbranch_execz .LBB192_42
; %bb.41:
	v_lshrrev_b32_e32 v4, 4, v0
	v_and_b32_e32 v4, 12, v4
	s_waitcnt lgkmcnt(0)
	ds_write_b32 v4, v3
.LBB192_42:
	s_or_b64 exec, exec, s[0:1]
	v_cmp_gt_u32_e32 vcc, 64, v0
	s_waitcnt lgkmcnt(0)
	s_barrier
	s_and_saveexec_b64 s[0:1], vcc
	s_cbranch_execz .LBB192_44
; %bb.43:
	v_and_b32_e32 v3, 3, v1
	v_lshlrev_b32_e32 v4, 2, v3
	ds_read_b32 v4, v4
	v_cmp_ne_u32_e32 vcc, 3, v3
	v_addc_co_u32_e32 v1, vcc, 0, v1, vcc
	v_lshlrev_b32_e32 v1, 2, v1
	s_waitcnt lgkmcnt(0)
	ds_bpermute_b32 v1, v1, v4
	v_or_b32_e32 v2, 8, v2
	s_waitcnt lgkmcnt(0)
	v_add_f32_e32 v1, v4, v1
	ds_bpermute_b32 v2, v2, v1
	s_waitcnt lgkmcnt(0)
	v_add_f32_e32 v3, v1, v2
.LBB192_44:
	s_or_b64 exec, exec, s[0:1]
	s_branch .LBB192_64
.LBB192_45:
                                        ; implicit-def: $vgpr3
	s_cbranch_execz .LBB192_64
; %bb.46:
	s_sub_i32 s10, s42, s44
	v_cmp_gt_u32_e32 vcc, s10, v0
                                        ; implicit-def: $vgpr5
	s_and_saveexec_b64 s[2:3], vcc
	s_cbranch_execz .LBB192_52
; %bb.47:
	v_mov_b32_e32 v1, s45
	v_add_co_u32_e32 v6, vcc, s44, v0
	v_addc_co_u32_e32 v7, vcc, 0, v1, vcc
	v_lshlrev_b64 v[2:3], 2, v[6:7]
	v_mov_b32_e32 v1, s37
	v_add_co_u32_e64 v4, s[0:1], s36, v2
	v_addc_co_u32_e64 v5, vcc, v1, v3, s[0:1]
	global_load_dword v5, v[4:5], off
	v_add_co_u32_e32 v1, vcc, 0x100, v6
	v_addc_co_u32_e32 v2, vcc, 0, v7, vcc
	v_cmp_gt_i64_e32 vcc, s[42:43], v[1:2]
	s_and_saveexec_b64 s[4:5], vcc
	s_cbranch_execz .LBB192_51
; %bb.48:
	v_mov_b32_e32 v6, s37
	v_addc_co_u32_e64 v6, vcc, v6, v3, s[0:1]
	v_add_co_u32_e32 v3, vcc, 0x400, v4
	v_addc_co_u32_e32 v4, vcc, 0, v6, vcc
	s_mov_b64 s[8:9], 0
.LBB192_49:                             ; =>This Inner Loop Header: Depth=1
	global_load_dword v6, v[3:4], off
	v_add_co_u32_e32 v1, vcc, 0x100, v1
	v_addc_co_u32_e32 v2, vcc, 0, v2, vcc
	v_cmp_le_i64_e64 s[0:1], s[42:43], v[1:2]
	v_add_co_u32_e32 v3, vcc, 0x400, v3
	v_addc_co_u32_e32 v4, vcc, 0, v4, vcc
	s_or_b64 s[8:9], s[0:1], s[8:9]
	s_waitcnt vmcnt(0)
	v_add_f32_e32 v5, v5, v6
	s_andn2_b64 exec, exec, s[8:9]
	s_cbranch_execnz .LBB192_49
; %bb.50:
	s_or_b64 exec, exec, s[8:9]
.LBB192_51:
	s_or_b64 exec, exec, s[4:5]
.LBB192_52:
	s_or_b64 exec, exec, s[2:3]
	v_mbcnt_lo_u32_b32 v1, -1, 0
	v_mbcnt_hi_u32_b32 v2, -1, v1
	s_cmpk_lt_u32 s10, 0x100
	v_lshlrev_b32_e32 v1, 2, v2
	v_cmp_eq_u32_e32 vcc, 0, v2
	s_cbranch_scc0 .LBB192_58
; %bb.53:
	v_and_b32_e32 v3, 63, v2
	v_cmp_ne_u32_e64 s[0:1], 63, v3
	v_addc_co_u32_e64 v4, s[0:1], 0, v2, s[0:1]
	v_lshlrev_b32_e32 v4, 2, v4
	s_waitcnt vmcnt(0)
	ds_bpermute_b32 v4, v4, v5
	v_and_b32_e32 v6, 0xc0, v0
	v_sub_u32_e64 v6, s10, v6 clamp
	v_add_u32_e32 v7, 1, v3
	v_cmp_gt_u32_e64 s[2:3], 62, v3
	s_waitcnt lgkmcnt(0)
	v_add_f32_e32 v4, v5, v4
	v_cmp_lt_u32_e64 s[0:1], v7, v6
	v_cndmask_b32_e64 v7, 0, 2, s[2:3]
	v_cndmask_b32_e64 v4, v5, v4, s[0:1]
	v_add_lshl_u32 v7, v7, v2, 2
	ds_bpermute_b32 v7, v7, v4
	v_add_u32_e32 v8, 2, v3
	v_cmp_lt_u32_e64 s[2:3], v8, v6
	v_add_u32_e32 v8, 4, v3
	s_waitcnt lgkmcnt(0)
	v_add_f32_e32 v7, v4, v7
	v_cndmask_b32_e64 v4, v4, v7, s[2:3]
	v_cmp_gt_u32_e64 s[2:3], 60, v3
	v_cndmask_b32_e64 v7, 0, 4, s[2:3]
	v_add_lshl_u32 v7, v7, v2, 2
	ds_bpermute_b32 v7, v7, v4
	v_cmp_lt_u32_e64 s[2:3], v8, v6
	v_add_u32_e32 v8, 8, v3
	s_waitcnt lgkmcnt(0)
	v_add_f32_e32 v7, v4, v7
	v_cndmask_b32_e64 v4, v4, v7, s[2:3]
	v_cmp_gt_u32_e64 s[2:3], 56, v3
	v_cndmask_b32_e64 v7, 0, 8, s[2:3]
	v_add_lshl_u32 v7, v7, v2, 2
	ds_bpermute_b32 v7, v7, v4
	;; [unrolled: 9-line block ×3, first 2 shown]
	v_cmp_lt_u32_e64 s[2:3], v8, v6
	v_add_u32_e32 v3, 32, v3
	s_waitcnt lgkmcnt(0)
	v_add_f32_e32 v7, v4, v7
	v_cndmask_b32_e64 v4, v4, v7, s[2:3]
	v_or_b32_e32 v7, 0x80, v1
	ds_bpermute_b32 v7, v7, v4
	v_cmp_lt_u32_e64 s[2:3], v3, v6
	s_waitcnt lgkmcnt(0)
	v_add_f32_e32 v7, v4, v7
	v_cndmask_b32_e64 v3, v4, v7, s[2:3]
	v_cndmask_b32_e64 v3, v5, v3, s[0:1]
	s_and_saveexec_b64 s[0:1], vcc
; %bb.54:
	v_lshrrev_b32_e32 v4, 4, v0
	v_and_b32_e32 v4, 12, v4
	ds_write_b32 v4, v3
; %bb.55:
	s_or_b64 exec, exec, s[0:1]
	v_cmp_gt_u32_e32 vcc, 4, v0
	s_waitcnt lgkmcnt(0)
	s_barrier
	s_and_saveexec_b64 s[2:3], vcc
	s_cbranch_execz .LBB192_57
; %bb.56:
	ds_read_b32 v3, v1
	v_and_b32_e32 v4, 3, v2
	v_cmp_ne_u32_e32 vcc, 3, v4
	v_addc_co_u32_e32 v6, vcc, 0, v2, vcc
	v_lshlrev_b32_e32 v6, 2, v6
	s_waitcnt lgkmcnt(0)
	ds_bpermute_b32 v6, v6, v3
	s_add_i32 s10, s10, 63
	s_lshr_b32 s0, s10, 6
	v_add_u32_e32 v7, 1, v4
	v_cmp_gt_u32_e32 vcc, s0, v7
	s_waitcnt lgkmcnt(0)
	v_add_f32_e32 v6, v3, v6
	v_cndmask_b32_e32 v6, v3, v6, vcc
	v_or_b32_e32 v7, 8, v1
	ds_bpermute_b32 v7, v7, v6
	v_add_u32_e32 v4, 2, v4
	v_cmp_gt_u32_e64 s[0:1], s0, v4
	s_waitcnt lgkmcnt(0)
	v_add_f32_e32 v7, v6, v7
	v_cndmask_b32_e64 v4, v6, v7, s[0:1]
	v_cndmask_b32_e32 v3, v3, v4, vcc
.LBB192_57:
	s_or_b64 exec, exec, s[2:3]
	s_branch .LBB192_64
.LBB192_58:
                                        ; implicit-def: $vgpr3
	s_cbranch_execz .LBB192_64
; %bb.59:
	s_waitcnt vmcnt(0)
	v_add_f32_dpp v3, v5, v5 quad_perm:[1,0,3,2] row_mask:0xf bank_mask:0xf bound_ctrl:1
	v_or_b32_e32 v4, 0xfc, v1
	v_cmp_eq_u32_e32 vcc, 0, v2
	v_add_f32_dpp v3, v3, v3 quad_perm:[2,3,0,1] row_mask:0xf bank_mask:0xf bound_ctrl:1
	s_nop 1
	v_add_f32_dpp v3, v3, v3 row_ror:4 row_mask:0xf bank_mask:0xf bound_ctrl:1
	s_nop 1
	v_add_f32_dpp v3, v3, v3 row_ror:8 row_mask:0xf bank_mask:0xf bound_ctrl:1
	s_nop 1
	v_add_f32_dpp v3, v3, v3 row_bcast:15 row_mask:0xf bank_mask:0xf bound_ctrl:1
	s_nop 1
	v_add_f32_dpp v3, v3, v3 row_bcast:31 row_mask:0xf bank_mask:0xf bound_ctrl:1
	ds_bpermute_b32 v3, v4, v3
	s_and_saveexec_b64 s[0:1], vcc
	s_cbranch_execz .LBB192_61
; %bb.60:
	v_lshrrev_b32_e32 v4, 4, v0
	v_and_b32_e32 v4, 12, v4
	s_waitcnt lgkmcnt(0)
	ds_write_b32 v4, v3
.LBB192_61:
	s_or_b64 exec, exec, s[0:1]
	v_cmp_gt_u32_e32 vcc, 64, v0
	s_waitcnt lgkmcnt(0)
	s_barrier
	s_and_saveexec_b64 s[0:1], vcc
	s_cbranch_execz .LBB192_63
; %bb.62:
	v_and_b32_e32 v3, 3, v2
	v_lshlrev_b32_e32 v4, 2, v3
	ds_read_b32 v4, v4
	v_cmp_ne_u32_e32 vcc, 3, v3
	v_addc_co_u32_e32 v2, vcc, 0, v2, vcc
	v_lshlrev_b32_e32 v2, 2, v2
	s_waitcnt lgkmcnt(0)
	ds_bpermute_b32 v2, v2, v4
	v_or_b32_e32 v1, 8, v1
	s_waitcnt lgkmcnt(0)
	v_add_f32_e32 v2, v4, v2
	ds_bpermute_b32 v1, v1, v2
	s_waitcnt lgkmcnt(0)
	v_add_f32_e32 v3, v2, v1
.LBB192_63:
	s_or_b64 exec, exec, s[0:1]
.LBB192_64:
	v_cmp_eq_u32_e32 vcc, 0, v0
                                        ; implicit-def: $vgpr1
	s_and_saveexec_b64 s[0:1], vcc
; %bb.65:
	v_add_f32_e32 v1, s33, v3
	s_or_b64 s[34:35], s[34:35], exec
; %bb.66:
	s_or_b64 exec, exec, s[0:1]
	s_and_saveexec_b64 s[0:1], s[34:35]
	s_cbranch_execz .LBB192_68
.LBB192_67:
	s_lshl_b64 s[0:1], s[40:41], 2
	s_add_u32 s2, s38, s0
	s_addc_u32 s3, s39, s1
	s_lshl_b64 s[0:1], s[6:7], 2
	s_add_u32 s0, s2, s0
	s_addc_u32 s1, s3, s1
	v_mov_b32_e32 v0, 0
	global_store_dword v0, v1, s[0:1]
.LBB192_68:
	s_endpgm
	.section	.rodata,"a",@progbits
	.p2align	6, 0x0
	.amdhsa_kernel _ZN7rocprim17ROCPRIM_400000_NS6detail17trampoline_kernelINS0_14default_configENS1_32segmented_reduce_config_selectorIfEEZNS1_21segmented_reduce_implIS3_PKfPfPKlfN6hipcub16HIPCUB_304000_NS6detail27convert_result_type_wrapperIS8_S9_N2at6native12_GLOBAL__N_19CustomSumEEEEE10hipError_tPvRmT0_T1_jT2_SQ_T4_T3_P12ihipStream_tbEUlT_E_NS1_11comp_targetILNS1_3genE2ELNS1_11target_archE906ELNS1_3gpuE6ELNS1_3repE0EEENS1_30default_config_static_selectorELNS0_4arch9wavefront6targetE1EEEvSP_
		.amdhsa_group_segment_fixed_size 16
		.amdhsa_private_segment_fixed_size 0
		.amdhsa_kernarg_size 48
		.amdhsa_user_sgpr_count 6
		.amdhsa_user_sgpr_private_segment_buffer 1
		.amdhsa_user_sgpr_dispatch_ptr 0
		.amdhsa_user_sgpr_queue_ptr 0
		.amdhsa_user_sgpr_kernarg_segment_ptr 1
		.amdhsa_user_sgpr_dispatch_id 0
		.amdhsa_user_sgpr_flat_scratch_init 0
		.amdhsa_user_sgpr_private_segment_size 0
		.amdhsa_uses_dynamic_stack 0
		.amdhsa_system_sgpr_private_segment_wavefront_offset 0
		.amdhsa_system_sgpr_workgroup_id_x 1
		.amdhsa_system_sgpr_workgroup_id_y 0
		.amdhsa_system_sgpr_workgroup_id_z 0
		.amdhsa_system_sgpr_workgroup_info 0
		.amdhsa_system_vgpr_workitem_id 0
		.amdhsa_next_free_vgpr 25
		.amdhsa_next_free_sgpr 50
		.amdhsa_reserve_vcc 1
		.amdhsa_reserve_flat_scratch 0
		.amdhsa_float_round_mode_32 0
		.amdhsa_float_round_mode_16_64 0
		.amdhsa_float_denorm_mode_32 3
		.amdhsa_float_denorm_mode_16_64 3
		.amdhsa_dx10_clamp 1
		.amdhsa_ieee_mode 1
		.amdhsa_fp16_overflow 0
		.amdhsa_exception_fp_ieee_invalid_op 0
		.amdhsa_exception_fp_denorm_src 0
		.amdhsa_exception_fp_ieee_div_zero 0
		.amdhsa_exception_fp_ieee_overflow 0
		.amdhsa_exception_fp_ieee_underflow 0
		.amdhsa_exception_fp_ieee_inexact 0
		.amdhsa_exception_int_div_zero 0
	.end_amdhsa_kernel
	.section	.text._ZN7rocprim17ROCPRIM_400000_NS6detail17trampoline_kernelINS0_14default_configENS1_32segmented_reduce_config_selectorIfEEZNS1_21segmented_reduce_implIS3_PKfPfPKlfN6hipcub16HIPCUB_304000_NS6detail27convert_result_type_wrapperIS8_S9_N2at6native12_GLOBAL__N_19CustomSumEEEEE10hipError_tPvRmT0_T1_jT2_SQ_T4_T3_P12ihipStream_tbEUlT_E_NS1_11comp_targetILNS1_3genE2ELNS1_11target_archE906ELNS1_3gpuE6ELNS1_3repE0EEENS1_30default_config_static_selectorELNS0_4arch9wavefront6targetE1EEEvSP_,"axG",@progbits,_ZN7rocprim17ROCPRIM_400000_NS6detail17trampoline_kernelINS0_14default_configENS1_32segmented_reduce_config_selectorIfEEZNS1_21segmented_reduce_implIS3_PKfPfPKlfN6hipcub16HIPCUB_304000_NS6detail27convert_result_type_wrapperIS8_S9_N2at6native12_GLOBAL__N_19CustomSumEEEEE10hipError_tPvRmT0_T1_jT2_SQ_T4_T3_P12ihipStream_tbEUlT_E_NS1_11comp_targetILNS1_3genE2ELNS1_11target_archE906ELNS1_3gpuE6ELNS1_3repE0EEENS1_30default_config_static_selectorELNS0_4arch9wavefront6targetE1EEEvSP_,comdat
.Lfunc_end192:
	.size	_ZN7rocprim17ROCPRIM_400000_NS6detail17trampoline_kernelINS0_14default_configENS1_32segmented_reduce_config_selectorIfEEZNS1_21segmented_reduce_implIS3_PKfPfPKlfN6hipcub16HIPCUB_304000_NS6detail27convert_result_type_wrapperIS8_S9_N2at6native12_GLOBAL__N_19CustomSumEEEEE10hipError_tPvRmT0_T1_jT2_SQ_T4_T3_P12ihipStream_tbEUlT_E_NS1_11comp_targetILNS1_3genE2ELNS1_11target_archE906ELNS1_3gpuE6ELNS1_3repE0EEENS1_30default_config_static_selectorELNS0_4arch9wavefront6targetE1EEEvSP_, .Lfunc_end192-_ZN7rocprim17ROCPRIM_400000_NS6detail17trampoline_kernelINS0_14default_configENS1_32segmented_reduce_config_selectorIfEEZNS1_21segmented_reduce_implIS3_PKfPfPKlfN6hipcub16HIPCUB_304000_NS6detail27convert_result_type_wrapperIS8_S9_N2at6native12_GLOBAL__N_19CustomSumEEEEE10hipError_tPvRmT0_T1_jT2_SQ_T4_T3_P12ihipStream_tbEUlT_E_NS1_11comp_targetILNS1_3genE2ELNS1_11target_archE906ELNS1_3gpuE6ELNS1_3repE0EEENS1_30default_config_static_selectorELNS0_4arch9wavefront6targetE1EEEvSP_
                                        ; -- End function
	.set _ZN7rocprim17ROCPRIM_400000_NS6detail17trampoline_kernelINS0_14default_configENS1_32segmented_reduce_config_selectorIfEEZNS1_21segmented_reduce_implIS3_PKfPfPKlfN6hipcub16HIPCUB_304000_NS6detail27convert_result_type_wrapperIS8_S9_N2at6native12_GLOBAL__N_19CustomSumEEEEE10hipError_tPvRmT0_T1_jT2_SQ_T4_T3_P12ihipStream_tbEUlT_E_NS1_11comp_targetILNS1_3genE2ELNS1_11target_archE906ELNS1_3gpuE6ELNS1_3repE0EEENS1_30default_config_static_selectorELNS0_4arch9wavefront6targetE1EEEvSP_.num_vgpr, 25
	.set _ZN7rocprim17ROCPRIM_400000_NS6detail17trampoline_kernelINS0_14default_configENS1_32segmented_reduce_config_selectorIfEEZNS1_21segmented_reduce_implIS3_PKfPfPKlfN6hipcub16HIPCUB_304000_NS6detail27convert_result_type_wrapperIS8_S9_N2at6native12_GLOBAL__N_19CustomSumEEEEE10hipError_tPvRmT0_T1_jT2_SQ_T4_T3_P12ihipStream_tbEUlT_E_NS1_11comp_targetILNS1_3genE2ELNS1_11target_archE906ELNS1_3gpuE6ELNS1_3repE0EEENS1_30default_config_static_selectorELNS0_4arch9wavefront6targetE1EEEvSP_.num_agpr, 0
	.set _ZN7rocprim17ROCPRIM_400000_NS6detail17trampoline_kernelINS0_14default_configENS1_32segmented_reduce_config_selectorIfEEZNS1_21segmented_reduce_implIS3_PKfPfPKlfN6hipcub16HIPCUB_304000_NS6detail27convert_result_type_wrapperIS8_S9_N2at6native12_GLOBAL__N_19CustomSumEEEEE10hipError_tPvRmT0_T1_jT2_SQ_T4_T3_P12ihipStream_tbEUlT_E_NS1_11comp_targetILNS1_3genE2ELNS1_11target_archE906ELNS1_3gpuE6ELNS1_3repE0EEENS1_30default_config_static_selectorELNS0_4arch9wavefront6targetE1EEEvSP_.numbered_sgpr, 50
	.set _ZN7rocprim17ROCPRIM_400000_NS6detail17trampoline_kernelINS0_14default_configENS1_32segmented_reduce_config_selectorIfEEZNS1_21segmented_reduce_implIS3_PKfPfPKlfN6hipcub16HIPCUB_304000_NS6detail27convert_result_type_wrapperIS8_S9_N2at6native12_GLOBAL__N_19CustomSumEEEEE10hipError_tPvRmT0_T1_jT2_SQ_T4_T3_P12ihipStream_tbEUlT_E_NS1_11comp_targetILNS1_3genE2ELNS1_11target_archE906ELNS1_3gpuE6ELNS1_3repE0EEENS1_30default_config_static_selectorELNS0_4arch9wavefront6targetE1EEEvSP_.num_named_barrier, 0
	.set _ZN7rocprim17ROCPRIM_400000_NS6detail17trampoline_kernelINS0_14default_configENS1_32segmented_reduce_config_selectorIfEEZNS1_21segmented_reduce_implIS3_PKfPfPKlfN6hipcub16HIPCUB_304000_NS6detail27convert_result_type_wrapperIS8_S9_N2at6native12_GLOBAL__N_19CustomSumEEEEE10hipError_tPvRmT0_T1_jT2_SQ_T4_T3_P12ihipStream_tbEUlT_E_NS1_11comp_targetILNS1_3genE2ELNS1_11target_archE906ELNS1_3gpuE6ELNS1_3repE0EEENS1_30default_config_static_selectorELNS0_4arch9wavefront6targetE1EEEvSP_.private_seg_size, 0
	.set _ZN7rocprim17ROCPRIM_400000_NS6detail17trampoline_kernelINS0_14default_configENS1_32segmented_reduce_config_selectorIfEEZNS1_21segmented_reduce_implIS3_PKfPfPKlfN6hipcub16HIPCUB_304000_NS6detail27convert_result_type_wrapperIS8_S9_N2at6native12_GLOBAL__N_19CustomSumEEEEE10hipError_tPvRmT0_T1_jT2_SQ_T4_T3_P12ihipStream_tbEUlT_E_NS1_11comp_targetILNS1_3genE2ELNS1_11target_archE906ELNS1_3gpuE6ELNS1_3repE0EEENS1_30default_config_static_selectorELNS0_4arch9wavefront6targetE1EEEvSP_.uses_vcc, 1
	.set _ZN7rocprim17ROCPRIM_400000_NS6detail17trampoline_kernelINS0_14default_configENS1_32segmented_reduce_config_selectorIfEEZNS1_21segmented_reduce_implIS3_PKfPfPKlfN6hipcub16HIPCUB_304000_NS6detail27convert_result_type_wrapperIS8_S9_N2at6native12_GLOBAL__N_19CustomSumEEEEE10hipError_tPvRmT0_T1_jT2_SQ_T4_T3_P12ihipStream_tbEUlT_E_NS1_11comp_targetILNS1_3genE2ELNS1_11target_archE906ELNS1_3gpuE6ELNS1_3repE0EEENS1_30default_config_static_selectorELNS0_4arch9wavefront6targetE1EEEvSP_.uses_flat_scratch, 0
	.set _ZN7rocprim17ROCPRIM_400000_NS6detail17trampoline_kernelINS0_14default_configENS1_32segmented_reduce_config_selectorIfEEZNS1_21segmented_reduce_implIS3_PKfPfPKlfN6hipcub16HIPCUB_304000_NS6detail27convert_result_type_wrapperIS8_S9_N2at6native12_GLOBAL__N_19CustomSumEEEEE10hipError_tPvRmT0_T1_jT2_SQ_T4_T3_P12ihipStream_tbEUlT_E_NS1_11comp_targetILNS1_3genE2ELNS1_11target_archE906ELNS1_3gpuE6ELNS1_3repE0EEENS1_30default_config_static_selectorELNS0_4arch9wavefront6targetE1EEEvSP_.has_dyn_sized_stack, 0
	.set _ZN7rocprim17ROCPRIM_400000_NS6detail17trampoline_kernelINS0_14default_configENS1_32segmented_reduce_config_selectorIfEEZNS1_21segmented_reduce_implIS3_PKfPfPKlfN6hipcub16HIPCUB_304000_NS6detail27convert_result_type_wrapperIS8_S9_N2at6native12_GLOBAL__N_19CustomSumEEEEE10hipError_tPvRmT0_T1_jT2_SQ_T4_T3_P12ihipStream_tbEUlT_E_NS1_11comp_targetILNS1_3genE2ELNS1_11target_archE906ELNS1_3gpuE6ELNS1_3repE0EEENS1_30default_config_static_selectorELNS0_4arch9wavefront6targetE1EEEvSP_.has_recursion, 0
	.set _ZN7rocprim17ROCPRIM_400000_NS6detail17trampoline_kernelINS0_14default_configENS1_32segmented_reduce_config_selectorIfEEZNS1_21segmented_reduce_implIS3_PKfPfPKlfN6hipcub16HIPCUB_304000_NS6detail27convert_result_type_wrapperIS8_S9_N2at6native12_GLOBAL__N_19CustomSumEEEEE10hipError_tPvRmT0_T1_jT2_SQ_T4_T3_P12ihipStream_tbEUlT_E_NS1_11comp_targetILNS1_3genE2ELNS1_11target_archE906ELNS1_3gpuE6ELNS1_3repE0EEENS1_30default_config_static_selectorELNS0_4arch9wavefront6targetE1EEEvSP_.has_indirect_call, 0
	.section	.AMDGPU.csdata,"",@progbits
; Kernel info:
; codeLenInByte = 3000
; TotalNumSgprs: 54
; NumVgprs: 25
; ScratchSize: 0
; MemoryBound: 0
; FloatMode: 240
; IeeeMode: 1
; LDSByteSize: 16 bytes/workgroup (compile time only)
; SGPRBlocks: 6
; VGPRBlocks: 6
; NumSGPRsForWavesPerEU: 54
; NumVGPRsForWavesPerEU: 25
; Occupancy: 9
; WaveLimiterHint : 1
; COMPUTE_PGM_RSRC2:SCRATCH_EN: 0
; COMPUTE_PGM_RSRC2:USER_SGPR: 6
; COMPUTE_PGM_RSRC2:TRAP_HANDLER: 0
; COMPUTE_PGM_RSRC2:TGID_X_EN: 1
; COMPUTE_PGM_RSRC2:TGID_Y_EN: 0
; COMPUTE_PGM_RSRC2:TGID_Z_EN: 0
; COMPUTE_PGM_RSRC2:TIDIG_COMP_CNT: 0
	.section	.text._ZN7rocprim17ROCPRIM_400000_NS6detail17trampoline_kernelINS0_14default_configENS1_32segmented_reduce_config_selectorIfEEZNS1_21segmented_reduce_implIS3_PKfPfPKlfN6hipcub16HIPCUB_304000_NS6detail27convert_result_type_wrapperIS8_S9_N2at6native12_GLOBAL__N_19CustomSumEEEEE10hipError_tPvRmT0_T1_jT2_SQ_T4_T3_P12ihipStream_tbEUlT_E_NS1_11comp_targetILNS1_3genE9ELNS1_11target_archE1100ELNS1_3gpuE3ELNS1_3repE0EEENS1_30default_config_static_selectorELNS0_4arch9wavefront6targetE1EEEvSP_,"axG",@progbits,_ZN7rocprim17ROCPRIM_400000_NS6detail17trampoline_kernelINS0_14default_configENS1_32segmented_reduce_config_selectorIfEEZNS1_21segmented_reduce_implIS3_PKfPfPKlfN6hipcub16HIPCUB_304000_NS6detail27convert_result_type_wrapperIS8_S9_N2at6native12_GLOBAL__N_19CustomSumEEEEE10hipError_tPvRmT0_T1_jT2_SQ_T4_T3_P12ihipStream_tbEUlT_E_NS1_11comp_targetILNS1_3genE9ELNS1_11target_archE1100ELNS1_3gpuE3ELNS1_3repE0EEENS1_30default_config_static_selectorELNS0_4arch9wavefront6targetE1EEEvSP_,comdat
	.globl	_ZN7rocprim17ROCPRIM_400000_NS6detail17trampoline_kernelINS0_14default_configENS1_32segmented_reduce_config_selectorIfEEZNS1_21segmented_reduce_implIS3_PKfPfPKlfN6hipcub16HIPCUB_304000_NS6detail27convert_result_type_wrapperIS8_S9_N2at6native12_GLOBAL__N_19CustomSumEEEEE10hipError_tPvRmT0_T1_jT2_SQ_T4_T3_P12ihipStream_tbEUlT_E_NS1_11comp_targetILNS1_3genE9ELNS1_11target_archE1100ELNS1_3gpuE3ELNS1_3repE0EEENS1_30default_config_static_selectorELNS0_4arch9wavefront6targetE1EEEvSP_ ; -- Begin function _ZN7rocprim17ROCPRIM_400000_NS6detail17trampoline_kernelINS0_14default_configENS1_32segmented_reduce_config_selectorIfEEZNS1_21segmented_reduce_implIS3_PKfPfPKlfN6hipcub16HIPCUB_304000_NS6detail27convert_result_type_wrapperIS8_S9_N2at6native12_GLOBAL__N_19CustomSumEEEEE10hipError_tPvRmT0_T1_jT2_SQ_T4_T3_P12ihipStream_tbEUlT_E_NS1_11comp_targetILNS1_3genE9ELNS1_11target_archE1100ELNS1_3gpuE3ELNS1_3repE0EEENS1_30default_config_static_selectorELNS0_4arch9wavefront6targetE1EEEvSP_
	.p2align	8
	.type	_ZN7rocprim17ROCPRIM_400000_NS6detail17trampoline_kernelINS0_14default_configENS1_32segmented_reduce_config_selectorIfEEZNS1_21segmented_reduce_implIS3_PKfPfPKlfN6hipcub16HIPCUB_304000_NS6detail27convert_result_type_wrapperIS8_S9_N2at6native12_GLOBAL__N_19CustomSumEEEEE10hipError_tPvRmT0_T1_jT2_SQ_T4_T3_P12ihipStream_tbEUlT_E_NS1_11comp_targetILNS1_3genE9ELNS1_11target_archE1100ELNS1_3gpuE3ELNS1_3repE0EEENS1_30default_config_static_selectorELNS0_4arch9wavefront6targetE1EEEvSP_,@function
_ZN7rocprim17ROCPRIM_400000_NS6detail17trampoline_kernelINS0_14default_configENS1_32segmented_reduce_config_selectorIfEEZNS1_21segmented_reduce_implIS3_PKfPfPKlfN6hipcub16HIPCUB_304000_NS6detail27convert_result_type_wrapperIS8_S9_N2at6native12_GLOBAL__N_19CustomSumEEEEE10hipError_tPvRmT0_T1_jT2_SQ_T4_T3_P12ihipStream_tbEUlT_E_NS1_11comp_targetILNS1_3genE9ELNS1_11target_archE1100ELNS1_3gpuE3ELNS1_3repE0EEENS1_30default_config_static_selectorELNS0_4arch9wavefront6targetE1EEEvSP_: ; @_ZN7rocprim17ROCPRIM_400000_NS6detail17trampoline_kernelINS0_14default_configENS1_32segmented_reduce_config_selectorIfEEZNS1_21segmented_reduce_implIS3_PKfPfPKlfN6hipcub16HIPCUB_304000_NS6detail27convert_result_type_wrapperIS8_S9_N2at6native12_GLOBAL__N_19CustomSumEEEEE10hipError_tPvRmT0_T1_jT2_SQ_T4_T3_P12ihipStream_tbEUlT_E_NS1_11comp_targetILNS1_3genE9ELNS1_11target_archE1100ELNS1_3gpuE3ELNS1_3repE0EEENS1_30default_config_static_selectorELNS0_4arch9wavefront6targetE1EEEvSP_
; %bb.0:
	.section	.rodata,"a",@progbits
	.p2align	6, 0x0
	.amdhsa_kernel _ZN7rocprim17ROCPRIM_400000_NS6detail17trampoline_kernelINS0_14default_configENS1_32segmented_reduce_config_selectorIfEEZNS1_21segmented_reduce_implIS3_PKfPfPKlfN6hipcub16HIPCUB_304000_NS6detail27convert_result_type_wrapperIS8_S9_N2at6native12_GLOBAL__N_19CustomSumEEEEE10hipError_tPvRmT0_T1_jT2_SQ_T4_T3_P12ihipStream_tbEUlT_E_NS1_11comp_targetILNS1_3genE9ELNS1_11target_archE1100ELNS1_3gpuE3ELNS1_3repE0EEENS1_30default_config_static_selectorELNS0_4arch9wavefront6targetE1EEEvSP_
		.amdhsa_group_segment_fixed_size 0
		.amdhsa_private_segment_fixed_size 0
		.amdhsa_kernarg_size 48
		.amdhsa_user_sgpr_count 6
		.amdhsa_user_sgpr_private_segment_buffer 1
		.amdhsa_user_sgpr_dispatch_ptr 0
		.amdhsa_user_sgpr_queue_ptr 0
		.amdhsa_user_sgpr_kernarg_segment_ptr 1
		.amdhsa_user_sgpr_dispatch_id 0
		.amdhsa_user_sgpr_flat_scratch_init 0
		.amdhsa_user_sgpr_private_segment_size 0
		.amdhsa_uses_dynamic_stack 0
		.amdhsa_system_sgpr_private_segment_wavefront_offset 0
		.amdhsa_system_sgpr_workgroup_id_x 1
		.amdhsa_system_sgpr_workgroup_id_y 0
		.amdhsa_system_sgpr_workgroup_id_z 0
		.amdhsa_system_sgpr_workgroup_info 0
		.amdhsa_system_vgpr_workitem_id 0
		.amdhsa_next_free_vgpr 1
		.amdhsa_next_free_sgpr 0
		.amdhsa_reserve_vcc 0
		.amdhsa_reserve_flat_scratch 0
		.amdhsa_float_round_mode_32 0
		.amdhsa_float_round_mode_16_64 0
		.amdhsa_float_denorm_mode_32 3
		.amdhsa_float_denorm_mode_16_64 3
		.amdhsa_dx10_clamp 1
		.amdhsa_ieee_mode 1
		.amdhsa_fp16_overflow 0
		.amdhsa_exception_fp_ieee_invalid_op 0
		.amdhsa_exception_fp_denorm_src 0
		.amdhsa_exception_fp_ieee_div_zero 0
		.amdhsa_exception_fp_ieee_overflow 0
		.amdhsa_exception_fp_ieee_underflow 0
		.amdhsa_exception_fp_ieee_inexact 0
		.amdhsa_exception_int_div_zero 0
	.end_amdhsa_kernel
	.section	.text._ZN7rocprim17ROCPRIM_400000_NS6detail17trampoline_kernelINS0_14default_configENS1_32segmented_reduce_config_selectorIfEEZNS1_21segmented_reduce_implIS3_PKfPfPKlfN6hipcub16HIPCUB_304000_NS6detail27convert_result_type_wrapperIS8_S9_N2at6native12_GLOBAL__N_19CustomSumEEEEE10hipError_tPvRmT0_T1_jT2_SQ_T4_T3_P12ihipStream_tbEUlT_E_NS1_11comp_targetILNS1_3genE9ELNS1_11target_archE1100ELNS1_3gpuE3ELNS1_3repE0EEENS1_30default_config_static_selectorELNS0_4arch9wavefront6targetE1EEEvSP_,"axG",@progbits,_ZN7rocprim17ROCPRIM_400000_NS6detail17trampoline_kernelINS0_14default_configENS1_32segmented_reduce_config_selectorIfEEZNS1_21segmented_reduce_implIS3_PKfPfPKlfN6hipcub16HIPCUB_304000_NS6detail27convert_result_type_wrapperIS8_S9_N2at6native12_GLOBAL__N_19CustomSumEEEEE10hipError_tPvRmT0_T1_jT2_SQ_T4_T3_P12ihipStream_tbEUlT_E_NS1_11comp_targetILNS1_3genE9ELNS1_11target_archE1100ELNS1_3gpuE3ELNS1_3repE0EEENS1_30default_config_static_selectorELNS0_4arch9wavefront6targetE1EEEvSP_,comdat
.Lfunc_end193:
	.size	_ZN7rocprim17ROCPRIM_400000_NS6detail17trampoline_kernelINS0_14default_configENS1_32segmented_reduce_config_selectorIfEEZNS1_21segmented_reduce_implIS3_PKfPfPKlfN6hipcub16HIPCUB_304000_NS6detail27convert_result_type_wrapperIS8_S9_N2at6native12_GLOBAL__N_19CustomSumEEEEE10hipError_tPvRmT0_T1_jT2_SQ_T4_T3_P12ihipStream_tbEUlT_E_NS1_11comp_targetILNS1_3genE9ELNS1_11target_archE1100ELNS1_3gpuE3ELNS1_3repE0EEENS1_30default_config_static_selectorELNS0_4arch9wavefront6targetE1EEEvSP_, .Lfunc_end193-_ZN7rocprim17ROCPRIM_400000_NS6detail17trampoline_kernelINS0_14default_configENS1_32segmented_reduce_config_selectorIfEEZNS1_21segmented_reduce_implIS3_PKfPfPKlfN6hipcub16HIPCUB_304000_NS6detail27convert_result_type_wrapperIS8_S9_N2at6native12_GLOBAL__N_19CustomSumEEEEE10hipError_tPvRmT0_T1_jT2_SQ_T4_T3_P12ihipStream_tbEUlT_E_NS1_11comp_targetILNS1_3genE9ELNS1_11target_archE1100ELNS1_3gpuE3ELNS1_3repE0EEENS1_30default_config_static_selectorELNS0_4arch9wavefront6targetE1EEEvSP_
                                        ; -- End function
	.set _ZN7rocprim17ROCPRIM_400000_NS6detail17trampoline_kernelINS0_14default_configENS1_32segmented_reduce_config_selectorIfEEZNS1_21segmented_reduce_implIS3_PKfPfPKlfN6hipcub16HIPCUB_304000_NS6detail27convert_result_type_wrapperIS8_S9_N2at6native12_GLOBAL__N_19CustomSumEEEEE10hipError_tPvRmT0_T1_jT2_SQ_T4_T3_P12ihipStream_tbEUlT_E_NS1_11comp_targetILNS1_3genE9ELNS1_11target_archE1100ELNS1_3gpuE3ELNS1_3repE0EEENS1_30default_config_static_selectorELNS0_4arch9wavefront6targetE1EEEvSP_.num_vgpr, 0
	.set _ZN7rocprim17ROCPRIM_400000_NS6detail17trampoline_kernelINS0_14default_configENS1_32segmented_reduce_config_selectorIfEEZNS1_21segmented_reduce_implIS3_PKfPfPKlfN6hipcub16HIPCUB_304000_NS6detail27convert_result_type_wrapperIS8_S9_N2at6native12_GLOBAL__N_19CustomSumEEEEE10hipError_tPvRmT0_T1_jT2_SQ_T4_T3_P12ihipStream_tbEUlT_E_NS1_11comp_targetILNS1_3genE9ELNS1_11target_archE1100ELNS1_3gpuE3ELNS1_3repE0EEENS1_30default_config_static_selectorELNS0_4arch9wavefront6targetE1EEEvSP_.num_agpr, 0
	.set _ZN7rocprim17ROCPRIM_400000_NS6detail17trampoline_kernelINS0_14default_configENS1_32segmented_reduce_config_selectorIfEEZNS1_21segmented_reduce_implIS3_PKfPfPKlfN6hipcub16HIPCUB_304000_NS6detail27convert_result_type_wrapperIS8_S9_N2at6native12_GLOBAL__N_19CustomSumEEEEE10hipError_tPvRmT0_T1_jT2_SQ_T4_T3_P12ihipStream_tbEUlT_E_NS1_11comp_targetILNS1_3genE9ELNS1_11target_archE1100ELNS1_3gpuE3ELNS1_3repE0EEENS1_30default_config_static_selectorELNS0_4arch9wavefront6targetE1EEEvSP_.numbered_sgpr, 0
	.set _ZN7rocprim17ROCPRIM_400000_NS6detail17trampoline_kernelINS0_14default_configENS1_32segmented_reduce_config_selectorIfEEZNS1_21segmented_reduce_implIS3_PKfPfPKlfN6hipcub16HIPCUB_304000_NS6detail27convert_result_type_wrapperIS8_S9_N2at6native12_GLOBAL__N_19CustomSumEEEEE10hipError_tPvRmT0_T1_jT2_SQ_T4_T3_P12ihipStream_tbEUlT_E_NS1_11comp_targetILNS1_3genE9ELNS1_11target_archE1100ELNS1_3gpuE3ELNS1_3repE0EEENS1_30default_config_static_selectorELNS0_4arch9wavefront6targetE1EEEvSP_.num_named_barrier, 0
	.set _ZN7rocprim17ROCPRIM_400000_NS6detail17trampoline_kernelINS0_14default_configENS1_32segmented_reduce_config_selectorIfEEZNS1_21segmented_reduce_implIS3_PKfPfPKlfN6hipcub16HIPCUB_304000_NS6detail27convert_result_type_wrapperIS8_S9_N2at6native12_GLOBAL__N_19CustomSumEEEEE10hipError_tPvRmT0_T1_jT2_SQ_T4_T3_P12ihipStream_tbEUlT_E_NS1_11comp_targetILNS1_3genE9ELNS1_11target_archE1100ELNS1_3gpuE3ELNS1_3repE0EEENS1_30default_config_static_selectorELNS0_4arch9wavefront6targetE1EEEvSP_.private_seg_size, 0
	.set _ZN7rocprim17ROCPRIM_400000_NS6detail17trampoline_kernelINS0_14default_configENS1_32segmented_reduce_config_selectorIfEEZNS1_21segmented_reduce_implIS3_PKfPfPKlfN6hipcub16HIPCUB_304000_NS6detail27convert_result_type_wrapperIS8_S9_N2at6native12_GLOBAL__N_19CustomSumEEEEE10hipError_tPvRmT0_T1_jT2_SQ_T4_T3_P12ihipStream_tbEUlT_E_NS1_11comp_targetILNS1_3genE9ELNS1_11target_archE1100ELNS1_3gpuE3ELNS1_3repE0EEENS1_30default_config_static_selectorELNS0_4arch9wavefront6targetE1EEEvSP_.uses_vcc, 0
	.set _ZN7rocprim17ROCPRIM_400000_NS6detail17trampoline_kernelINS0_14default_configENS1_32segmented_reduce_config_selectorIfEEZNS1_21segmented_reduce_implIS3_PKfPfPKlfN6hipcub16HIPCUB_304000_NS6detail27convert_result_type_wrapperIS8_S9_N2at6native12_GLOBAL__N_19CustomSumEEEEE10hipError_tPvRmT0_T1_jT2_SQ_T4_T3_P12ihipStream_tbEUlT_E_NS1_11comp_targetILNS1_3genE9ELNS1_11target_archE1100ELNS1_3gpuE3ELNS1_3repE0EEENS1_30default_config_static_selectorELNS0_4arch9wavefront6targetE1EEEvSP_.uses_flat_scratch, 0
	.set _ZN7rocprim17ROCPRIM_400000_NS6detail17trampoline_kernelINS0_14default_configENS1_32segmented_reduce_config_selectorIfEEZNS1_21segmented_reduce_implIS3_PKfPfPKlfN6hipcub16HIPCUB_304000_NS6detail27convert_result_type_wrapperIS8_S9_N2at6native12_GLOBAL__N_19CustomSumEEEEE10hipError_tPvRmT0_T1_jT2_SQ_T4_T3_P12ihipStream_tbEUlT_E_NS1_11comp_targetILNS1_3genE9ELNS1_11target_archE1100ELNS1_3gpuE3ELNS1_3repE0EEENS1_30default_config_static_selectorELNS0_4arch9wavefront6targetE1EEEvSP_.has_dyn_sized_stack, 0
	.set _ZN7rocprim17ROCPRIM_400000_NS6detail17trampoline_kernelINS0_14default_configENS1_32segmented_reduce_config_selectorIfEEZNS1_21segmented_reduce_implIS3_PKfPfPKlfN6hipcub16HIPCUB_304000_NS6detail27convert_result_type_wrapperIS8_S9_N2at6native12_GLOBAL__N_19CustomSumEEEEE10hipError_tPvRmT0_T1_jT2_SQ_T4_T3_P12ihipStream_tbEUlT_E_NS1_11comp_targetILNS1_3genE9ELNS1_11target_archE1100ELNS1_3gpuE3ELNS1_3repE0EEENS1_30default_config_static_selectorELNS0_4arch9wavefront6targetE1EEEvSP_.has_recursion, 0
	.set _ZN7rocprim17ROCPRIM_400000_NS6detail17trampoline_kernelINS0_14default_configENS1_32segmented_reduce_config_selectorIfEEZNS1_21segmented_reduce_implIS3_PKfPfPKlfN6hipcub16HIPCUB_304000_NS6detail27convert_result_type_wrapperIS8_S9_N2at6native12_GLOBAL__N_19CustomSumEEEEE10hipError_tPvRmT0_T1_jT2_SQ_T4_T3_P12ihipStream_tbEUlT_E_NS1_11comp_targetILNS1_3genE9ELNS1_11target_archE1100ELNS1_3gpuE3ELNS1_3repE0EEENS1_30default_config_static_selectorELNS0_4arch9wavefront6targetE1EEEvSP_.has_indirect_call, 0
	.section	.AMDGPU.csdata,"",@progbits
; Kernel info:
; codeLenInByte = 0
; TotalNumSgprs: 4
; NumVgprs: 0
; ScratchSize: 0
; MemoryBound: 0
; FloatMode: 240
; IeeeMode: 1
; LDSByteSize: 0 bytes/workgroup (compile time only)
; SGPRBlocks: 0
; VGPRBlocks: 0
; NumSGPRsForWavesPerEU: 4
; NumVGPRsForWavesPerEU: 1
; Occupancy: 10
; WaveLimiterHint : 0
; COMPUTE_PGM_RSRC2:SCRATCH_EN: 0
; COMPUTE_PGM_RSRC2:USER_SGPR: 6
; COMPUTE_PGM_RSRC2:TRAP_HANDLER: 0
; COMPUTE_PGM_RSRC2:TGID_X_EN: 1
; COMPUTE_PGM_RSRC2:TGID_Y_EN: 0
; COMPUTE_PGM_RSRC2:TGID_Z_EN: 0
; COMPUTE_PGM_RSRC2:TIDIG_COMP_CNT: 0
	.section	.text._ZN7rocprim17ROCPRIM_400000_NS6detail17trampoline_kernelINS0_14default_configENS1_32segmented_reduce_config_selectorIfEEZNS1_21segmented_reduce_implIS3_PKfPfPKlfN6hipcub16HIPCUB_304000_NS6detail27convert_result_type_wrapperIS8_S9_N2at6native12_GLOBAL__N_19CustomSumEEEEE10hipError_tPvRmT0_T1_jT2_SQ_T4_T3_P12ihipStream_tbEUlT_E_NS1_11comp_targetILNS1_3genE8ELNS1_11target_archE1030ELNS1_3gpuE2ELNS1_3repE0EEENS1_30default_config_static_selectorELNS0_4arch9wavefront6targetE1EEEvSP_,"axG",@progbits,_ZN7rocprim17ROCPRIM_400000_NS6detail17trampoline_kernelINS0_14default_configENS1_32segmented_reduce_config_selectorIfEEZNS1_21segmented_reduce_implIS3_PKfPfPKlfN6hipcub16HIPCUB_304000_NS6detail27convert_result_type_wrapperIS8_S9_N2at6native12_GLOBAL__N_19CustomSumEEEEE10hipError_tPvRmT0_T1_jT2_SQ_T4_T3_P12ihipStream_tbEUlT_E_NS1_11comp_targetILNS1_3genE8ELNS1_11target_archE1030ELNS1_3gpuE2ELNS1_3repE0EEENS1_30default_config_static_selectorELNS0_4arch9wavefront6targetE1EEEvSP_,comdat
	.globl	_ZN7rocprim17ROCPRIM_400000_NS6detail17trampoline_kernelINS0_14default_configENS1_32segmented_reduce_config_selectorIfEEZNS1_21segmented_reduce_implIS3_PKfPfPKlfN6hipcub16HIPCUB_304000_NS6detail27convert_result_type_wrapperIS8_S9_N2at6native12_GLOBAL__N_19CustomSumEEEEE10hipError_tPvRmT0_T1_jT2_SQ_T4_T3_P12ihipStream_tbEUlT_E_NS1_11comp_targetILNS1_3genE8ELNS1_11target_archE1030ELNS1_3gpuE2ELNS1_3repE0EEENS1_30default_config_static_selectorELNS0_4arch9wavefront6targetE1EEEvSP_ ; -- Begin function _ZN7rocprim17ROCPRIM_400000_NS6detail17trampoline_kernelINS0_14default_configENS1_32segmented_reduce_config_selectorIfEEZNS1_21segmented_reduce_implIS3_PKfPfPKlfN6hipcub16HIPCUB_304000_NS6detail27convert_result_type_wrapperIS8_S9_N2at6native12_GLOBAL__N_19CustomSumEEEEE10hipError_tPvRmT0_T1_jT2_SQ_T4_T3_P12ihipStream_tbEUlT_E_NS1_11comp_targetILNS1_3genE8ELNS1_11target_archE1030ELNS1_3gpuE2ELNS1_3repE0EEENS1_30default_config_static_selectorELNS0_4arch9wavefront6targetE1EEEvSP_
	.p2align	8
	.type	_ZN7rocprim17ROCPRIM_400000_NS6detail17trampoline_kernelINS0_14default_configENS1_32segmented_reduce_config_selectorIfEEZNS1_21segmented_reduce_implIS3_PKfPfPKlfN6hipcub16HIPCUB_304000_NS6detail27convert_result_type_wrapperIS8_S9_N2at6native12_GLOBAL__N_19CustomSumEEEEE10hipError_tPvRmT0_T1_jT2_SQ_T4_T3_P12ihipStream_tbEUlT_E_NS1_11comp_targetILNS1_3genE8ELNS1_11target_archE1030ELNS1_3gpuE2ELNS1_3repE0EEENS1_30default_config_static_selectorELNS0_4arch9wavefront6targetE1EEEvSP_,@function
_ZN7rocprim17ROCPRIM_400000_NS6detail17trampoline_kernelINS0_14default_configENS1_32segmented_reduce_config_selectorIfEEZNS1_21segmented_reduce_implIS3_PKfPfPKlfN6hipcub16HIPCUB_304000_NS6detail27convert_result_type_wrapperIS8_S9_N2at6native12_GLOBAL__N_19CustomSumEEEEE10hipError_tPvRmT0_T1_jT2_SQ_T4_T3_P12ihipStream_tbEUlT_E_NS1_11comp_targetILNS1_3genE8ELNS1_11target_archE1030ELNS1_3gpuE2ELNS1_3repE0EEENS1_30default_config_static_selectorELNS0_4arch9wavefront6targetE1EEEvSP_: ; @_ZN7rocprim17ROCPRIM_400000_NS6detail17trampoline_kernelINS0_14default_configENS1_32segmented_reduce_config_selectorIfEEZNS1_21segmented_reduce_implIS3_PKfPfPKlfN6hipcub16HIPCUB_304000_NS6detail27convert_result_type_wrapperIS8_S9_N2at6native12_GLOBAL__N_19CustomSumEEEEE10hipError_tPvRmT0_T1_jT2_SQ_T4_T3_P12ihipStream_tbEUlT_E_NS1_11comp_targetILNS1_3genE8ELNS1_11target_archE1030ELNS1_3gpuE2ELNS1_3repE0EEENS1_30default_config_static_selectorELNS0_4arch9wavefront6targetE1EEEvSP_
; %bb.0:
	.section	.rodata,"a",@progbits
	.p2align	6, 0x0
	.amdhsa_kernel _ZN7rocprim17ROCPRIM_400000_NS6detail17trampoline_kernelINS0_14default_configENS1_32segmented_reduce_config_selectorIfEEZNS1_21segmented_reduce_implIS3_PKfPfPKlfN6hipcub16HIPCUB_304000_NS6detail27convert_result_type_wrapperIS8_S9_N2at6native12_GLOBAL__N_19CustomSumEEEEE10hipError_tPvRmT0_T1_jT2_SQ_T4_T3_P12ihipStream_tbEUlT_E_NS1_11comp_targetILNS1_3genE8ELNS1_11target_archE1030ELNS1_3gpuE2ELNS1_3repE0EEENS1_30default_config_static_selectorELNS0_4arch9wavefront6targetE1EEEvSP_
		.amdhsa_group_segment_fixed_size 0
		.amdhsa_private_segment_fixed_size 0
		.amdhsa_kernarg_size 48
		.amdhsa_user_sgpr_count 6
		.amdhsa_user_sgpr_private_segment_buffer 1
		.amdhsa_user_sgpr_dispatch_ptr 0
		.amdhsa_user_sgpr_queue_ptr 0
		.amdhsa_user_sgpr_kernarg_segment_ptr 1
		.amdhsa_user_sgpr_dispatch_id 0
		.amdhsa_user_sgpr_flat_scratch_init 0
		.amdhsa_user_sgpr_private_segment_size 0
		.amdhsa_uses_dynamic_stack 0
		.amdhsa_system_sgpr_private_segment_wavefront_offset 0
		.amdhsa_system_sgpr_workgroup_id_x 1
		.amdhsa_system_sgpr_workgroup_id_y 0
		.amdhsa_system_sgpr_workgroup_id_z 0
		.amdhsa_system_sgpr_workgroup_info 0
		.amdhsa_system_vgpr_workitem_id 0
		.amdhsa_next_free_vgpr 1
		.amdhsa_next_free_sgpr 0
		.amdhsa_reserve_vcc 0
		.amdhsa_reserve_flat_scratch 0
		.amdhsa_float_round_mode_32 0
		.amdhsa_float_round_mode_16_64 0
		.amdhsa_float_denorm_mode_32 3
		.amdhsa_float_denorm_mode_16_64 3
		.amdhsa_dx10_clamp 1
		.amdhsa_ieee_mode 1
		.amdhsa_fp16_overflow 0
		.amdhsa_exception_fp_ieee_invalid_op 0
		.amdhsa_exception_fp_denorm_src 0
		.amdhsa_exception_fp_ieee_div_zero 0
		.amdhsa_exception_fp_ieee_overflow 0
		.amdhsa_exception_fp_ieee_underflow 0
		.amdhsa_exception_fp_ieee_inexact 0
		.amdhsa_exception_int_div_zero 0
	.end_amdhsa_kernel
	.section	.text._ZN7rocprim17ROCPRIM_400000_NS6detail17trampoline_kernelINS0_14default_configENS1_32segmented_reduce_config_selectorIfEEZNS1_21segmented_reduce_implIS3_PKfPfPKlfN6hipcub16HIPCUB_304000_NS6detail27convert_result_type_wrapperIS8_S9_N2at6native12_GLOBAL__N_19CustomSumEEEEE10hipError_tPvRmT0_T1_jT2_SQ_T4_T3_P12ihipStream_tbEUlT_E_NS1_11comp_targetILNS1_3genE8ELNS1_11target_archE1030ELNS1_3gpuE2ELNS1_3repE0EEENS1_30default_config_static_selectorELNS0_4arch9wavefront6targetE1EEEvSP_,"axG",@progbits,_ZN7rocprim17ROCPRIM_400000_NS6detail17trampoline_kernelINS0_14default_configENS1_32segmented_reduce_config_selectorIfEEZNS1_21segmented_reduce_implIS3_PKfPfPKlfN6hipcub16HIPCUB_304000_NS6detail27convert_result_type_wrapperIS8_S9_N2at6native12_GLOBAL__N_19CustomSumEEEEE10hipError_tPvRmT0_T1_jT2_SQ_T4_T3_P12ihipStream_tbEUlT_E_NS1_11comp_targetILNS1_3genE8ELNS1_11target_archE1030ELNS1_3gpuE2ELNS1_3repE0EEENS1_30default_config_static_selectorELNS0_4arch9wavefront6targetE1EEEvSP_,comdat
.Lfunc_end194:
	.size	_ZN7rocprim17ROCPRIM_400000_NS6detail17trampoline_kernelINS0_14default_configENS1_32segmented_reduce_config_selectorIfEEZNS1_21segmented_reduce_implIS3_PKfPfPKlfN6hipcub16HIPCUB_304000_NS6detail27convert_result_type_wrapperIS8_S9_N2at6native12_GLOBAL__N_19CustomSumEEEEE10hipError_tPvRmT0_T1_jT2_SQ_T4_T3_P12ihipStream_tbEUlT_E_NS1_11comp_targetILNS1_3genE8ELNS1_11target_archE1030ELNS1_3gpuE2ELNS1_3repE0EEENS1_30default_config_static_selectorELNS0_4arch9wavefront6targetE1EEEvSP_, .Lfunc_end194-_ZN7rocprim17ROCPRIM_400000_NS6detail17trampoline_kernelINS0_14default_configENS1_32segmented_reduce_config_selectorIfEEZNS1_21segmented_reduce_implIS3_PKfPfPKlfN6hipcub16HIPCUB_304000_NS6detail27convert_result_type_wrapperIS8_S9_N2at6native12_GLOBAL__N_19CustomSumEEEEE10hipError_tPvRmT0_T1_jT2_SQ_T4_T3_P12ihipStream_tbEUlT_E_NS1_11comp_targetILNS1_3genE8ELNS1_11target_archE1030ELNS1_3gpuE2ELNS1_3repE0EEENS1_30default_config_static_selectorELNS0_4arch9wavefront6targetE1EEEvSP_
                                        ; -- End function
	.set _ZN7rocprim17ROCPRIM_400000_NS6detail17trampoline_kernelINS0_14default_configENS1_32segmented_reduce_config_selectorIfEEZNS1_21segmented_reduce_implIS3_PKfPfPKlfN6hipcub16HIPCUB_304000_NS6detail27convert_result_type_wrapperIS8_S9_N2at6native12_GLOBAL__N_19CustomSumEEEEE10hipError_tPvRmT0_T1_jT2_SQ_T4_T3_P12ihipStream_tbEUlT_E_NS1_11comp_targetILNS1_3genE8ELNS1_11target_archE1030ELNS1_3gpuE2ELNS1_3repE0EEENS1_30default_config_static_selectorELNS0_4arch9wavefront6targetE1EEEvSP_.num_vgpr, 0
	.set _ZN7rocprim17ROCPRIM_400000_NS6detail17trampoline_kernelINS0_14default_configENS1_32segmented_reduce_config_selectorIfEEZNS1_21segmented_reduce_implIS3_PKfPfPKlfN6hipcub16HIPCUB_304000_NS6detail27convert_result_type_wrapperIS8_S9_N2at6native12_GLOBAL__N_19CustomSumEEEEE10hipError_tPvRmT0_T1_jT2_SQ_T4_T3_P12ihipStream_tbEUlT_E_NS1_11comp_targetILNS1_3genE8ELNS1_11target_archE1030ELNS1_3gpuE2ELNS1_3repE0EEENS1_30default_config_static_selectorELNS0_4arch9wavefront6targetE1EEEvSP_.num_agpr, 0
	.set _ZN7rocprim17ROCPRIM_400000_NS6detail17trampoline_kernelINS0_14default_configENS1_32segmented_reduce_config_selectorIfEEZNS1_21segmented_reduce_implIS3_PKfPfPKlfN6hipcub16HIPCUB_304000_NS6detail27convert_result_type_wrapperIS8_S9_N2at6native12_GLOBAL__N_19CustomSumEEEEE10hipError_tPvRmT0_T1_jT2_SQ_T4_T3_P12ihipStream_tbEUlT_E_NS1_11comp_targetILNS1_3genE8ELNS1_11target_archE1030ELNS1_3gpuE2ELNS1_3repE0EEENS1_30default_config_static_selectorELNS0_4arch9wavefront6targetE1EEEvSP_.numbered_sgpr, 0
	.set _ZN7rocprim17ROCPRIM_400000_NS6detail17trampoline_kernelINS0_14default_configENS1_32segmented_reduce_config_selectorIfEEZNS1_21segmented_reduce_implIS3_PKfPfPKlfN6hipcub16HIPCUB_304000_NS6detail27convert_result_type_wrapperIS8_S9_N2at6native12_GLOBAL__N_19CustomSumEEEEE10hipError_tPvRmT0_T1_jT2_SQ_T4_T3_P12ihipStream_tbEUlT_E_NS1_11comp_targetILNS1_3genE8ELNS1_11target_archE1030ELNS1_3gpuE2ELNS1_3repE0EEENS1_30default_config_static_selectorELNS0_4arch9wavefront6targetE1EEEvSP_.num_named_barrier, 0
	.set _ZN7rocprim17ROCPRIM_400000_NS6detail17trampoline_kernelINS0_14default_configENS1_32segmented_reduce_config_selectorIfEEZNS1_21segmented_reduce_implIS3_PKfPfPKlfN6hipcub16HIPCUB_304000_NS6detail27convert_result_type_wrapperIS8_S9_N2at6native12_GLOBAL__N_19CustomSumEEEEE10hipError_tPvRmT0_T1_jT2_SQ_T4_T3_P12ihipStream_tbEUlT_E_NS1_11comp_targetILNS1_3genE8ELNS1_11target_archE1030ELNS1_3gpuE2ELNS1_3repE0EEENS1_30default_config_static_selectorELNS0_4arch9wavefront6targetE1EEEvSP_.private_seg_size, 0
	.set _ZN7rocprim17ROCPRIM_400000_NS6detail17trampoline_kernelINS0_14default_configENS1_32segmented_reduce_config_selectorIfEEZNS1_21segmented_reduce_implIS3_PKfPfPKlfN6hipcub16HIPCUB_304000_NS6detail27convert_result_type_wrapperIS8_S9_N2at6native12_GLOBAL__N_19CustomSumEEEEE10hipError_tPvRmT0_T1_jT2_SQ_T4_T3_P12ihipStream_tbEUlT_E_NS1_11comp_targetILNS1_3genE8ELNS1_11target_archE1030ELNS1_3gpuE2ELNS1_3repE0EEENS1_30default_config_static_selectorELNS0_4arch9wavefront6targetE1EEEvSP_.uses_vcc, 0
	.set _ZN7rocprim17ROCPRIM_400000_NS6detail17trampoline_kernelINS0_14default_configENS1_32segmented_reduce_config_selectorIfEEZNS1_21segmented_reduce_implIS3_PKfPfPKlfN6hipcub16HIPCUB_304000_NS6detail27convert_result_type_wrapperIS8_S9_N2at6native12_GLOBAL__N_19CustomSumEEEEE10hipError_tPvRmT0_T1_jT2_SQ_T4_T3_P12ihipStream_tbEUlT_E_NS1_11comp_targetILNS1_3genE8ELNS1_11target_archE1030ELNS1_3gpuE2ELNS1_3repE0EEENS1_30default_config_static_selectorELNS0_4arch9wavefront6targetE1EEEvSP_.uses_flat_scratch, 0
	.set _ZN7rocprim17ROCPRIM_400000_NS6detail17trampoline_kernelINS0_14default_configENS1_32segmented_reduce_config_selectorIfEEZNS1_21segmented_reduce_implIS3_PKfPfPKlfN6hipcub16HIPCUB_304000_NS6detail27convert_result_type_wrapperIS8_S9_N2at6native12_GLOBAL__N_19CustomSumEEEEE10hipError_tPvRmT0_T1_jT2_SQ_T4_T3_P12ihipStream_tbEUlT_E_NS1_11comp_targetILNS1_3genE8ELNS1_11target_archE1030ELNS1_3gpuE2ELNS1_3repE0EEENS1_30default_config_static_selectorELNS0_4arch9wavefront6targetE1EEEvSP_.has_dyn_sized_stack, 0
	.set _ZN7rocprim17ROCPRIM_400000_NS6detail17trampoline_kernelINS0_14default_configENS1_32segmented_reduce_config_selectorIfEEZNS1_21segmented_reduce_implIS3_PKfPfPKlfN6hipcub16HIPCUB_304000_NS6detail27convert_result_type_wrapperIS8_S9_N2at6native12_GLOBAL__N_19CustomSumEEEEE10hipError_tPvRmT0_T1_jT2_SQ_T4_T3_P12ihipStream_tbEUlT_E_NS1_11comp_targetILNS1_3genE8ELNS1_11target_archE1030ELNS1_3gpuE2ELNS1_3repE0EEENS1_30default_config_static_selectorELNS0_4arch9wavefront6targetE1EEEvSP_.has_recursion, 0
	.set _ZN7rocprim17ROCPRIM_400000_NS6detail17trampoline_kernelINS0_14default_configENS1_32segmented_reduce_config_selectorIfEEZNS1_21segmented_reduce_implIS3_PKfPfPKlfN6hipcub16HIPCUB_304000_NS6detail27convert_result_type_wrapperIS8_S9_N2at6native12_GLOBAL__N_19CustomSumEEEEE10hipError_tPvRmT0_T1_jT2_SQ_T4_T3_P12ihipStream_tbEUlT_E_NS1_11comp_targetILNS1_3genE8ELNS1_11target_archE1030ELNS1_3gpuE2ELNS1_3repE0EEENS1_30default_config_static_selectorELNS0_4arch9wavefront6targetE1EEEvSP_.has_indirect_call, 0
	.section	.AMDGPU.csdata,"",@progbits
; Kernel info:
; codeLenInByte = 0
; TotalNumSgprs: 4
; NumVgprs: 0
; ScratchSize: 0
; MemoryBound: 0
; FloatMode: 240
; IeeeMode: 1
; LDSByteSize: 0 bytes/workgroup (compile time only)
; SGPRBlocks: 0
; VGPRBlocks: 0
; NumSGPRsForWavesPerEU: 4
; NumVGPRsForWavesPerEU: 1
; Occupancy: 10
; WaveLimiterHint : 0
; COMPUTE_PGM_RSRC2:SCRATCH_EN: 0
; COMPUTE_PGM_RSRC2:USER_SGPR: 6
; COMPUTE_PGM_RSRC2:TRAP_HANDLER: 0
; COMPUTE_PGM_RSRC2:TGID_X_EN: 1
; COMPUTE_PGM_RSRC2:TGID_Y_EN: 0
; COMPUTE_PGM_RSRC2:TGID_Z_EN: 0
; COMPUTE_PGM_RSRC2:TIDIG_COMP_CNT: 0
	.section	.text._ZN2at6native12_GLOBAL__N_119post_sum_div_kernelIflEEvPT_PKT0_lbS3_,"axG",@progbits,_ZN2at6native12_GLOBAL__N_119post_sum_div_kernelIflEEvPT_PKT0_lbS3_,comdat
	.globl	_ZN2at6native12_GLOBAL__N_119post_sum_div_kernelIflEEvPT_PKT0_lbS3_ ; -- Begin function _ZN2at6native12_GLOBAL__N_119post_sum_div_kernelIflEEvPT_PKT0_lbS3_
	.p2align	8
	.type	_ZN2at6native12_GLOBAL__N_119post_sum_div_kernelIflEEvPT_PKT0_lbS3_,@function
_ZN2at6native12_GLOBAL__N_119post_sum_div_kernelIflEEvPT_PKT0_lbS3_: ; @_ZN2at6native12_GLOBAL__N_119post_sum_div_kernelIflEEvPT_PKT0_lbS3_
; %bb.0:
	s_load_dword s7, s[4:5], 0x2c
	s_load_dwordx2 s[2:3], s[4:5], 0x10
	s_add_u32 s0, s4, 32
	s_addc_u32 s1, s5, 0
	v_mov_b32_e32 v1, 0
	s_waitcnt lgkmcnt(0)
	s_and_b32 s7, s7, 0xffff
	v_mov_b32_e32 v2, s6
	v_mad_u64_u32 v[2:3], s[8:9], s7, v2, v[0:1]
	v_cmp_gt_i64_e32 vcc, s[2:3], v[2:3]
	s_and_saveexec_b64 s[8:9], vcc
	s_cbranch_execz .LBB195_12
; %bb.1:
	s_load_dwordx2 s[12:13], s[4:5], 0x18
	s_load_dword s6, s[0:1], 0x0
	s_load_dwordx4 s[8:11], s[4:5], 0x0
	v_mov_b32_e32 v0, 0x7fc00000
	s_mov_b64 s[4:5], 0
	s_waitcnt lgkmcnt(0)
	s_bitcmp1_b32 s12, 0
	s_mul_i32 s22, s6, s7
	v_mov_b32_e32 v4, s13
	s_cselect_b64 vcc, -1, 0
	v_cndmask_b32_e32 v8, v0, v4, vcc
	v_mov_b32_e32 v0, v1
	v_mov_b32_e32 v1, v2
	s_mov_b32 s23, s22
	v_mov_b32_e32 v9, s11
                                        ; implicit-def: $sgpr6_sgpr7
                                        ; implicit-def: $sgpr14_sgpr15
                                        ; implicit-def: $sgpr12_sgpr13
.LBB195_2:                              ; =>This Inner Loop Header: Depth=1
	v_ashrrev_i64 v[4:5], 29, v[0:1]
	s_or_b64 s[12:13], s[12:13], exec
	v_add_co_u32_e32 v4, vcc, s10, v4
	v_addc_co_u32_e32 v5, vcc, v9, v5, vcc
	global_load_dwordx2 v[6:7], v[4:5], off
	s_or_b64 s[14:15], s[14:15], exec
	s_waitcnt vmcnt(0)
	v_cmp_lt_i64_e32 vcc, -1, v[6:7]
	s_and_saveexec_b64 s[16:17], vcc
	s_cbranch_execz .LBB195_10
; %bb.3:                                ;   in Loop: Header=BB195_2 Depth=1
	v_ashrrev_i32_e32 v5, 31, v1
	v_mov_b32_e32 v4, v1
	v_lshlrev_b64 v[4:5], 2, v[4:5]
	v_cmp_ne_u64_e32 vcc, 0, v[6:7]
	v_mov_b32_e32 v10, s9
	v_add_co_u32_e64 v4, s[0:1], s8, v4
	v_addc_co_u32_e64 v5, s[0:1], v10, v5, s[0:1]
	s_mov_b64 s[18:19], -1
	v_mov_b32_e32 v11, v8
	s_and_saveexec_b64 s[0:1], vcc
	s_cbranch_execz .LBB195_7
; %bb.4:                                ;   in Loop: Header=BB195_2 Depth=1
	global_load_dword v10, v[4:5], off
	s_mov_b64 s[18:19], 0
                                        ; implicit-def: $vgpr11
	s_waitcnt vmcnt(0)
	v_cmp_o_f32_e32 vcc, v10, v10
	s_and_saveexec_b64 s[20:21], vcc
	s_cbranch_execz .LBB195_6
; %bb.5:                                ;   in Loop: Header=BB195_2 Depth=1
	v_ffbh_u32_e32 v11, v7
	v_min_u32_e32 v11, 32, v11
	v_lshlrev_b64 v[6:7], v11, v[6:7]
	s_mov_b64 s[18:19], exec
	v_min_u32_e32 v6, 1, v6
	v_or_b32_e32 v6, v7, v6
	v_cvt_f32_u32_e32 v6, v6
	v_sub_u32_e32 v7, 32, v11
	v_ldexp_f32 v6, v6, v7
	v_div_scale_f32 v7, s[24:25], v6, v6, v10
	v_div_scale_f32 v11, vcc, v10, v6, v10
	v_rcp_f32_e32 v12, v7
	v_fma_f32 v13, -v7, v12, 1.0
	v_fmac_f32_e32 v12, v13, v12
	v_mul_f32_e32 v13, v11, v12
	v_fma_f32 v14, -v7, v13, v11
	v_fmac_f32_e32 v13, v14, v12
	v_fma_f32 v7, -v7, v13, v11
	v_div_fmas_f32 v7, v7, v12, v13
	v_div_fixup_f32 v11, v7, v6, v10
.LBB195_6:                              ;   in Loop: Header=BB195_2 Depth=1
	s_or_b64 exec, exec, s[20:21]
	s_orn2_b64 s[18:19], s[18:19], exec
.LBB195_7:                              ;   in Loop: Header=BB195_2 Depth=1
	s_or_b64 exec, exec, s[0:1]
	s_and_saveexec_b64 s[0:1], s[18:19]
	s_cbranch_execz .LBB195_9
; %bb.8:                                ;   in Loop: Header=BB195_2 Depth=1
	global_store_dword v[4:5], v11, off
.LBB195_9:                              ;   in Loop: Header=BB195_2 Depth=1
	s_or_b64 exec, exec, s[0:1]
	v_add_co_u32_e32 v2, vcc, s22, v2
	v_addc_co_u32_e32 v3, vcc, 0, v3, vcc
	v_mov_b32_e32 v4, s23
	v_add_co_u32_e32 v0, vcc, 0, v0
	v_addc_co_u32_e32 v1, vcc, v1, v4, vcc
	v_cmp_le_i64_e32 vcc, s[2:3], v[2:3]
	s_andn2_b64 s[0:1], s[14:15], exec
	s_and_b64 s[14:15], vcc, exec
	s_andn2_b64 s[12:13], s[12:13], exec
	s_or_b64 s[14:15], s[0:1], s[14:15]
.LBB195_10:                             ;   in Loop: Header=BB195_2 Depth=1
	s_or_b64 exec, exec, s[16:17]
	s_and_b64 s[0:1], exec, s[14:15]
	s_or_b64 s[4:5], s[0:1], s[4:5]
	s_andn2_b64 s[0:1], s[6:7], exec
	s_and_b64 s[6:7], s[12:13], exec
	s_or_b64 s[6:7], s[0:1], s[6:7]
	s_andn2_b64 exec, exec, s[4:5]
	s_cbranch_execnz .LBB195_2
; %bb.11:
	s_or_b64 exec, exec, s[4:5]
	s_and_saveexec_b64 s[0:1], s[6:7]
	s_xor_b64 s[0:1], exec, s[0:1]
	s_cbranch_execnz .LBB195_13
.LBB195_12:
	s_endpgm
.LBB195_13:
	s_trap 2
	; divergent unreachable
	s_endpgm
	.section	.rodata,"a",@progbits
	.p2align	6, 0x0
	.amdhsa_kernel _ZN2at6native12_GLOBAL__N_119post_sum_div_kernelIflEEvPT_PKT0_lbS3_
		.amdhsa_group_segment_fixed_size 0
		.amdhsa_private_segment_fixed_size 0
		.amdhsa_kernarg_size 288
		.amdhsa_user_sgpr_count 6
		.amdhsa_user_sgpr_private_segment_buffer 1
		.amdhsa_user_sgpr_dispatch_ptr 0
		.amdhsa_user_sgpr_queue_ptr 0
		.amdhsa_user_sgpr_kernarg_segment_ptr 1
		.amdhsa_user_sgpr_dispatch_id 0
		.amdhsa_user_sgpr_flat_scratch_init 0
		.amdhsa_user_sgpr_private_segment_size 0
		.amdhsa_uses_dynamic_stack 0
		.amdhsa_system_sgpr_private_segment_wavefront_offset 0
		.amdhsa_system_sgpr_workgroup_id_x 1
		.amdhsa_system_sgpr_workgroup_id_y 0
		.amdhsa_system_sgpr_workgroup_id_z 0
		.amdhsa_system_sgpr_workgroup_info 0
		.amdhsa_system_vgpr_workitem_id 0
		.amdhsa_next_free_vgpr 15
		.amdhsa_next_free_sgpr 26
		.amdhsa_reserve_vcc 1
		.amdhsa_reserve_flat_scratch 0
		.amdhsa_float_round_mode_32 0
		.amdhsa_float_round_mode_16_64 0
		.amdhsa_float_denorm_mode_32 3
		.amdhsa_float_denorm_mode_16_64 3
		.amdhsa_dx10_clamp 1
		.amdhsa_ieee_mode 1
		.amdhsa_fp16_overflow 0
		.amdhsa_exception_fp_ieee_invalid_op 0
		.amdhsa_exception_fp_denorm_src 0
		.amdhsa_exception_fp_ieee_div_zero 0
		.amdhsa_exception_fp_ieee_overflow 0
		.amdhsa_exception_fp_ieee_underflow 0
		.amdhsa_exception_fp_ieee_inexact 0
		.amdhsa_exception_int_div_zero 0
	.end_amdhsa_kernel
	.section	.text._ZN2at6native12_GLOBAL__N_119post_sum_div_kernelIflEEvPT_PKT0_lbS3_,"axG",@progbits,_ZN2at6native12_GLOBAL__N_119post_sum_div_kernelIflEEvPT_PKT0_lbS3_,comdat
.Lfunc_end195:
	.size	_ZN2at6native12_GLOBAL__N_119post_sum_div_kernelIflEEvPT_PKT0_lbS3_, .Lfunc_end195-_ZN2at6native12_GLOBAL__N_119post_sum_div_kernelIflEEvPT_PKT0_lbS3_
                                        ; -- End function
	.set _ZN2at6native12_GLOBAL__N_119post_sum_div_kernelIflEEvPT_PKT0_lbS3_.num_vgpr, 15
	.set _ZN2at6native12_GLOBAL__N_119post_sum_div_kernelIflEEvPT_PKT0_lbS3_.num_agpr, 0
	.set _ZN2at6native12_GLOBAL__N_119post_sum_div_kernelIflEEvPT_PKT0_lbS3_.numbered_sgpr, 26
	.set _ZN2at6native12_GLOBAL__N_119post_sum_div_kernelIflEEvPT_PKT0_lbS3_.num_named_barrier, 0
	.set _ZN2at6native12_GLOBAL__N_119post_sum_div_kernelIflEEvPT_PKT0_lbS3_.private_seg_size, 0
	.set _ZN2at6native12_GLOBAL__N_119post_sum_div_kernelIflEEvPT_PKT0_lbS3_.uses_vcc, 1
	.set _ZN2at6native12_GLOBAL__N_119post_sum_div_kernelIflEEvPT_PKT0_lbS3_.uses_flat_scratch, 0
	.set _ZN2at6native12_GLOBAL__N_119post_sum_div_kernelIflEEvPT_PKT0_lbS3_.has_dyn_sized_stack, 0
	.set _ZN2at6native12_GLOBAL__N_119post_sum_div_kernelIflEEvPT_PKT0_lbS3_.has_recursion, 0
	.set _ZN2at6native12_GLOBAL__N_119post_sum_div_kernelIflEEvPT_PKT0_lbS3_.has_indirect_call, 0
	.section	.AMDGPU.csdata,"",@progbits
; Kernel info:
; codeLenInByte = 520
; TotalNumSgprs: 30
; NumVgprs: 15
; ScratchSize: 0
; MemoryBound: 0
; FloatMode: 240
; IeeeMode: 1
; LDSByteSize: 0 bytes/workgroup (compile time only)
; SGPRBlocks: 3
; VGPRBlocks: 3
; NumSGPRsForWavesPerEU: 30
; NumVGPRsForWavesPerEU: 15
; Occupancy: 10
; WaveLimiterHint : 0
; COMPUTE_PGM_RSRC2:SCRATCH_EN: 0
; COMPUTE_PGM_RSRC2:USER_SGPR: 6
; COMPUTE_PGM_RSRC2:TRAP_HANDLER: 0
; COMPUTE_PGM_RSRC2:TGID_X_EN: 1
; COMPUTE_PGM_RSRC2:TGID_Y_EN: 0
; COMPUTE_PGM_RSRC2:TGID_Z_EN: 0
; COMPUTE_PGM_RSRC2:TIDIG_COMP_CNT: 0
	.section	.text._ZN7rocprim17ROCPRIM_400000_NS6detail17trampoline_kernelINS0_14default_configENS1_32segmented_reduce_config_selectorIfEEZNS1_21segmented_reduce_implIS3_PKfPfPKlfN6hipcub16HIPCUB_304000_NS6detail27convert_result_type_wrapperIS8_S9_N2at6native12_GLOBAL__N_19CustomMinEEEEE10hipError_tPvRmT0_T1_jT2_SQ_T4_T3_P12ihipStream_tbEUlT_E_NS1_11comp_targetILNS1_3genE0ELNS1_11target_archE4294967295ELNS1_3gpuE0ELNS1_3repE0EEENS1_30default_config_static_selectorELNS0_4arch9wavefront6targetE1EEEvSP_,"axG",@progbits,_ZN7rocprim17ROCPRIM_400000_NS6detail17trampoline_kernelINS0_14default_configENS1_32segmented_reduce_config_selectorIfEEZNS1_21segmented_reduce_implIS3_PKfPfPKlfN6hipcub16HIPCUB_304000_NS6detail27convert_result_type_wrapperIS8_S9_N2at6native12_GLOBAL__N_19CustomMinEEEEE10hipError_tPvRmT0_T1_jT2_SQ_T4_T3_P12ihipStream_tbEUlT_E_NS1_11comp_targetILNS1_3genE0ELNS1_11target_archE4294967295ELNS1_3gpuE0ELNS1_3repE0EEENS1_30default_config_static_selectorELNS0_4arch9wavefront6targetE1EEEvSP_,comdat
	.globl	_ZN7rocprim17ROCPRIM_400000_NS6detail17trampoline_kernelINS0_14default_configENS1_32segmented_reduce_config_selectorIfEEZNS1_21segmented_reduce_implIS3_PKfPfPKlfN6hipcub16HIPCUB_304000_NS6detail27convert_result_type_wrapperIS8_S9_N2at6native12_GLOBAL__N_19CustomMinEEEEE10hipError_tPvRmT0_T1_jT2_SQ_T4_T3_P12ihipStream_tbEUlT_E_NS1_11comp_targetILNS1_3genE0ELNS1_11target_archE4294967295ELNS1_3gpuE0ELNS1_3repE0EEENS1_30default_config_static_selectorELNS0_4arch9wavefront6targetE1EEEvSP_ ; -- Begin function _ZN7rocprim17ROCPRIM_400000_NS6detail17trampoline_kernelINS0_14default_configENS1_32segmented_reduce_config_selectorIfEEZNS1_21segmented_reduce_implIS3_PKfPfPKlfN6hipcub16HIPCUB_304000_NS6detail27convert_result_type_wrapperIS8_S9_N2at6native12_GLOBAL__N_19CustomMinEEEEE10hipError_tPvRmT0_T1_jT2_SQ_T4_T3_P12ihipStream_tbEUlT_E_NS1_11comp_targetILNS1_3genE0ELNS1_11target_archE4294967295ELNS1_3gpuE0ELNS1_3repE0EEENS1_30default_config_static_selectorELNS0_4arch9wavefront6targetE1EEEvSP_
	.p2align	8
	.type	_ZN7rocprim17ROCPRIM_400000_NS6detail17trampoline_kernelINS0_14default_configENS1_32segmented_reduce_config_selectorIfEEZNS1_21segmented_reduce_implIS3_PKfPfPKlfN6hipcub16HIPCUB_304000_NS6detail27convert_result_type_wrapperIS8_S9_N2at6native12_GLOBAL__N_19CustomMinEEEEE10hipError_tPvRmT0_T1_jT2_SQ_T4_T3_P12ihipStream_tbEUlT_E_NS1_11comp_targetILNS1_3genE0ELNS1_11target_archE4294967295ELNS1_3gpuE0ELNS1_3repE0EEENS1_30default_config_static_selectorELNS0_4arch9wavefront6targetE1EEEvSP_,@function
_ZN7rocprim17ROCPRIM_400000_NS6detail17trampoline_kernelINS0_14default_configENS1_32segmented_reduce_config_selectorIfEEZNS1_21segmented_reduce_implIS3_PKfPfPKlfN6hipcub16HIPCUB_304000_NS6detail27convert_result_type_wrapperIS8_S9_N2at6native12_GLOBAL__N_19CustomMinEEEEE10hipError_tPvRmT0_T1_jT2_SQ_T4_T3_P12ihipStream_tbEUlT_E_NS1_11comp_targetILNS1_3genE0ELNS1_11target_archE4294967295ELNS1_3gpuE0ELNS1_3repE0EEENS1_30default_config_static_selectorELNS0_4arch9wavefront6targetE1EEEvSP_: ; @_ZN7rocprim17ROCPRIM_400000_NS6detail17trampoline_kernelINS0_14default_configENS1_32segmented_reduce_config_selectorIfEEZNS1_21segmented_reduce_implIS3_PKfPfPKlfN6hipcub16HIPCUB_304000_NS6detail27convert_result_type_wrapperIS8_S9_N2at6native12_GLOBAL__N_19CustomMinEEEEE10hipError_tPvRmT0_T1_jT2_SQ_T4_T3_P12ihipStream_tbEUlT_E_NS1_11comp_targetILNS1_3genE0ELNS1_11target_archE4294967295ELNS1_3gpuE0ELNS1_3repE0EEENS1_30default_config_static_selectorELNS0_4arch9wavefront6targetE1EEEvSP_
; %bb.0:
	.section	.rodata,"a",@progbits
	.p2align	6, 0x0
	.amdhsa_kernel _ZN7rocprim17ROCPRIM_400000_NS6detail17trampoline_kernelINS0_14default_configENS1_32segmented_reduce_config_selectorIfEEZNS1_21segmented_reduce_implIS3_PKfPfPKlfN6hipcub16HIPCUB_304000_NS6detail27convert_result_type_wrapperIS8_S9_N2at6native12_GLOBAL__N_19CustomMinEEEEE10hipError_tPvRmT0_T1_jT2_SQ_T4_T3_P12ihipStream_tbEUlT_E_NS1_11comp_targetILNS1_3genE0ELNS1_11target_archE4294967295ELNS1_3gpuE0ELNS1_3repE0EEENS1_30default_config_static_selectorELNS0_4arch9wavefront6targetE1EEEvSP_
		.amdhsa_group_segment_fixed_size 0
		.amdhsa_private_segment_fixed_size 0
		.amdhsa_kernarg_size 48
		.amdhsa_user_sgpr_count 6
		.amdhsa_user_sgpr_private_segment_buffer 1
		.amdhsa_user_sgpr_dispatch_ptr 0
		.amdhsa_user_sgpr_queue_ptr 0
		.amdhsa_user_sgpr_kernarg_segment_ptr 1
		.amdhsa_user_sgpr_dispatch_id 0
		.amdhsa_user_sgpr_flat_scratch_init 0
		.amdhsa_user_sgpr_private_segment_size 0
		.amdhsa_uses_dynamic_stack 0
		.amdhsa_system_sgpr_private_segment_wavefront_offset 0
		.amdhsa_system_sgpr_workgroup_id_x 1
		.amdhsa_system_sgpr_workgroup_id_y 0
		.amdhsa_system_sgpr_workgroup_id_z 0
		.amdhsa_system_sgpr_workgroup_info 0
		.amdhsa_system_vgpr_workitem_id 0
		.amdhsa_next_free_vgpr 1
		.amdhsa_next_free_sgpr 0
		.amdhsa_reserve_vcc 0
		.amdhsa_reserve_flat_scratch 0
		.amdhsa_float_round_mode_32 0
		.amdhsa_float_round_mode_16_64 0
		.amdhsa_float_denorm_mode_32 3
		.amdhsa_float_denorm_mode_16_64 3
		.amdhsa_dx10_clamp 1
		.amdhsa_ieee_mode 1
		.amdhsa_fp16_overflow 0
		.amdhsa_exception_fp_ieee_invalid_op 0
		.amdhsa_exception_fp_denorm_src 0
		.amdhsa_exception_fp_ieee_div_zero 0
		.amdhsa_exception_fp_ieee_overflow 0
		.amdhsa_exception_fp_ieee_underflow 0
		.amdhsa_exception_fp_ieee_inexact 0
		.amdhsa_exception_int_div_zero 0
	.end_amdhsa_kernel
	.section	.text._ZN7rocprim17ROCPRIM_400000_NS6detail17trampoline_kernelINS0_14default_configENS1_32segmented_reduce_config_selectorIfEEZNS1_21segmented_reduce_implIS3_PKfPfPKlfN6hipcub16HIPCUB_304000_NS6detail27convert_result_type_wrapperIS8_S9_N2at6native12_GLOBAL__N_19CustomMinEEEEE10hipError_tPvRmT0_T1_jT2_SQ_T4_T3_P12ihipStream_tbEUlT_E_NS1_11comp_targetILNS1_3genE0ELNS1_11target_archE4294967295ELNS1_3gpuE0ELNS1_3repE0EEENS1_30default_config_static_selectorELNS0_4arch9wavefront6targetE1EEEvSP_,"axG",@progbits,_ZN7rocprim17ROCPRIM_400000_NS6detail17trampoline_kernelINS0_14default_configENS1_32segmented_reduce_config_selectorIfEEZNS1_21segmented_reduce_implIS3_PKfPfPKlfN6hipcub16HIPCUB_304000_NS6detail27convert_result_type_wrapperIS8_S9_N2at6native12_GLOBAL__N_19CustomMinEEEEE10hipError_tPvRmT0_T1_jT2_SQ_T4_T3_P12ihipStream_tbEUlT_E_NS1_11comp_targetILNS1_3genE0ELNS1_11target_archE4294967295ELNS1_3gpuE0ELNS1_3repE0EEENS1_30default_config_static_selectorELNS0_4arch9wavefront6targetE1EEEvSP_,comdat
.Lfunc_end196:
	.size	_ZN7rocprim17ROCPRIM_400000_NS6detail17trampoline_kernelINS0_14default_configENS1_32segmented_reduce_config_selectorIfEEZNS1_21segmented_reduce_implIS3_PKfPfPKlfN6hipcub16HIPCUB_304000_NS6detail27convert_result_type_wrapperIS8_S9_N2at6native12_GLOBAL__N_19CustomMinEEEEE10hipError_tPvRmT0_T1_jT2_SQ_T4_T3_P12ihipStream_tbEUlT_E_NS1_11comp_targetILNS1_3genE0ELNS1_11target_archE4294967295ELNS1_3gpuE0ELNS1_3repE0EEENS1_30default_config_static_selectorELNS0_4arch9wavefront6targetE1EEEvSP_, .Lfunc_end196-_ZN7rocprim17ROCPRIM_400000_NS6detail17trampoline_kernelINS0_14default_configENS1_32segmented_reduce_config_selectorIfEEZNS1_21segmented_reduce_implIS3_PKfPfPKlfN6hipcub16HIPCUB_304000_NS6detail27convert_result_type_wrapperIS8_S9_N2at6native12_GLOBAL__N_19CustomMinEEEEE10hipError_tPvRmT0_T1_jT2_SQ_T4_T3_P12ihipStream_tbEUlT_E_NS1_11comp_targetILNS1_3genE0ELNS1_11target_archE4294967295ELNS1_3gpuE0ELNS1_3repE0EEENS1_30default_config_static_selectorELNS0_4arch9wavefront6targetE1EEEvSP_
                                        ; -- End function
	.set _ZN7rocprim17ROCPRIM_400000_NS6detail17trampoline_kernelINS0_14default_configENS1_32segmented_reduce_config_selectorIfEEZNS1_21segmented_reduce_implIS3_PKfPfPKlfN6hipcub16HIPCUB_304000_NS6detail27convert_result_type_wrapperIS8_S9_N2at6native12_GLOBAL__N_19CustomMinEEEEE10hipError_tPvRmT0_T1_jT2_SQ_T4_T3_P12ihipStream_tbEUlT_E_NS1_11comp_targetILNS1_3genE0ELNS1_11target_archE4294967295ELNS1_3gpuE0ELNS1_3repE0EEENS1_30default_config_static_selectorELNS0_4arch9wavefront6targetE1EEEvSP_.num_vgpr, 0
	.set _ZN7rocprim17ROCPRIM_400000_NS6detail17trampoline_kernelINS0_14default_configENS1_32segmented_reduce_config_selectorIfEEZNS1_21segmented_reduce_implIS3_PKfPfPKlfN6hipcub16HIPCUB_304000_NS6detail27convert_result_type_wrapperIS8_S9_N2at6native12_GLOBAL__N_19CustomMinEEEEE10hipError_tPvRmT0_T1_jT2_SQ_T4_T3_P12ihipStream_tbEUlT_E_NS1_11comp_targetILNS1_3genE0ELNS1_11target_archE4294967295ELNS1_3gpuE0ELNS1_3repE0EEENS1_30default_config_static_selectorELNS0_4arch9wavefront6targetE1EEEvSP_.num_agpr, 0
	.set _ZN7rocprim17ROCPRIM_400000_NS6detail17trampoline_kernelINS0_14default_configENS1_32segmented_reduce_config_selectorIfEEZNS1_21segmented_reduce_implIS3_PKfPfPKlfN6hipcub16HIPCUB_304000_NS6detail27convert_result_type_wrapperIS8_S9_N2at6native12_GLOBAL__N_19CustomMinEEEEE10hipError_tPvRmT0_T1_jT2_SQ_T4_T3_P12ihipStream_tbEUlT_E_NS1_11comp_targetILNS1_3genE0ELNS1_11target_archE4294967295ELNS1_3gpuE0ELNS1_3repE0EEENS1_30default_config_static_selectorELNS0_4arch9wavefront6targetE1EEEvSP_.numbered_sgpr, 0
	.set _ZN7rocprim17ROCPRIM_400000_NS6detail17trampoline_kernelINS0_14default_configENS1_32segmented_reduce_config_selectorIfEEZNS1_21segmented_reduce_implIS3_PKfPfPKlfN6hipcub16HIPCUB_304000_NS6detail27convert_result_type_wrapperIS8_S9_N2at6native12_GLOBAL__N_19CustomMinEEEEE10hipError_tPvRmT0_T1_jT2_SQ_T4_T3_P12ihipStream_tbEUlT_E_NS1_11comp_targetILNS1_3genE0ELNS1_11target_archE4294967295ELNS1_3gpuE0ELNS1_3repE0EEENS1_30default_config_static_selectorELNS0_4arch9wavefront6targetE1EEEvSP_.num_named_barrier, 0
	.set _ZN7rocprim17ROCPRIM_400000_NS6detail17trampoline_kernelINS0_14default_configENS1_32segmented_reduce_config_selectorIfEEZNS1_21segmented_reduce_implIS3_PKfPfPKlfN6hipcub16HIPCUB_304000_NS6detail27convert_result_type_wrapperIS8_S9_N2at6native12_GLOBAL__N_19CustomMinEEEEE10hipError_tPvRmT0_T1_jT2_SQ_T4_T3_P12ihipStream_tbEUlT_E_NS1_11comp_targetILNS1_3genE0ELNS1_11target_archE4294967295ELNS1_3gpuE0ELNS1_3repE0EEENS1_30default_config_static_selectorELNS0_4arch9wavefront6targetE1EEEvSP_.private_seg_size, 0
	.set _ZN7rocprim17ROCPRIM_400000_NS6detail17trampoline_kernelINS0_14default_configENS1_32segmented_reduce_config_selectorIfEEZNS1_21segmented_reduce_implIS3_PKfPfPKlfN6hipcub16HIPCUB_304000_NS6detail27convert_result_type_wrapperIS8_S9_N2at6native12_GLOBAL__N_19CustomMinEEEEE10hipError_tPvRmT0_T1_jT2_SQ_T4_T3_P12ihipStream_tbEUlT_E_NS1_11comp_targetILNS1_3genE0ELNS1_11target_archE4294967295ELNS1_3gpuE0ELNS1_3repE0EEENS1_30default_config_static_selectorELNS0_4arch9wavefront6targetE1EEEvSP_.uses_vcc, 0
	.set _ZN7rocprim17ROCPRIM_400000_NS6detail17trampoline_kernelINS0_14default_configENS1_32segmented_reduce_config_selectorIfEEZNS1_21segmented_reduce_implIS3_PKfPfPKlfN6hipcub16HIPCUB_304000_NS6detail27convert_result_type_wrapperIS8_S9_N2at6native12_GLOBAL__N_19CustomMinEEEEE10hipError_tPvRmT0_T1_jT2_SQ_T4_T3_P12ihipStream_tbEUlT_E_NS1_11comp_targetILNS1_3genE0ELNS1_11target_archE4294967295ELNS1_3gpuE0ELNS1_3repE0EEENS1_30default_config_static_selectorELNS0_4arch9wavefront6targetE1EEEvSP_.uses_flat_scratch, 0
	.set _ZN7rocprim17ROCPRIM_400000_NS6detail17trampoline_kernelINS0_14default_configENS1_32segmented_reduce_config_selectorIfEEZNS1_21segmented_reduce_implIS3_PKfPfPKlfN6hipcub16HIPCUB_304000_NS6detail27convert_result_type_wrapperIS8_S9_N2at6native12_GLOBAL__N_19CustomMinEEEEE10hipError_tPvRmT0_T1_jT2_SQ_T4_T3_P12ihipStream_tbEUlT_E_NS1_11comp_targetILNS1_3genE0ELNS1_11target_archE4294967295ELNS1_3gpuE0ELNS1_3repE0EEENS1_30default_config_static_selectorELNS0_4arch9wavefront6targetE1EEEvSP_.has_dyn_sized_stack, 0
	.set _ZN7rocprim17ROCPRIM_400000_NS6detail17trampoline_kernelINS0_14default_configENS1_32segmented_reduce_config_selectorIfEEZNS1_21segmented_reduce_implIS3_PKfPfPKlfN6hipcub16HIPCUB_304000_NS6detail27convert_result_type_wrapperIS8_S9_N2at6native12_GLOBAL__N_19CustomMinEEEEE10hipError_tPvRmT0_T1_jT2_SQ_T4_T3_P12ihipStream_tbEUlT_E_NS1_11comp_targetILNS1_3genE0ELNS1_11target_archE4294967295ELNS1_3gpuE0ELNS1_3repE0EEENS1_30default_config_static_selectorELNS0_4arch9wavefront6targetE1EEEvSP_.has_recursion, 0
	.set _ZN7rocprim17ROCPRIM_400000_NS6detail17trampoline_kernelINS0_14default_configENS1_32segmented_reduce_config_selectorIfEEZNS1_21segmented_reduce_implIS3_PKfPfPKlfN6hipcub16HIPCUB_304000_NS6detail27convert_result_type_wrapperIS8_S9_N2at6native12_GLOBAL__N_19CustomMinEEEEE10hipError_tPvRmT0_T1_jT2_SQ_T4_T3_P12ihipStream_tbEUlT_E_NS1_11comp_targetILNS1_3genE0ELNS1_11target_archE4294967295ELNS1_3gpuE0ELNS1_3repE0EEENS1_30default_config_static_selectorELNS0_4arch9wavefront6targetE1EEEvSP_.has_indirect_call, 0
	.section	.AMDGPU.csdata,"",@progbits
; Kernel info:
; codeLenInByte = 0
; TotalNumSgprs: 4
; NumVgprs: 0
; ScratchSize: 0
; MemoryBound: 0
; FloatMode: 240
; IeeeMode: 1
; LDSByteSize: 0 bytes/workgroup (compile time only)
; SGPRBlocks: 0
; VGPRBlocks: 0
; NumSGPRsForWavesPerEU: 4
; NumVGPRsForWavesPerEU: 1
; Occupancy: 10
; WaveLimiterHint : 0
; COMPUTE_PGM_RSRC2:SCRATCH_EN: 0
; COMPUTE_PGM_RSRC2:USER_SGPR: 6
; COMPUTE_PGM_RSRC2:TRAP_HANDLER: 0
; COMPUTE_PGM_RSRC2:TGID_X_EN: 1
; COMPUTE_PGM_RSRC2:TGID_Y_EN: 0
; COMPUTE_PGM_RSRC2:TGID_Z_EN: 0
; COMPUTE_PGM_RSRC2:TIDIG_COMP_CNT: 0
	.section	.text._ZN7rocprim17ROCPRIM_400000_NS6detail17trampoline_kernelINS0_14default_configENS1_32segmented_reduce_config_selectorIfEEZNS1_21segmented_reduce_implIS3_PKfPfPKlfN6hipcub16HIPCUB_304000_NS6detail27convert_result_type_wrapperIS8_S9_N2at6native12_GLOBAL__N_19CustomMinEEEEE10hipError_tPvRmT0_T1_jT2_SQ_T4_T3_P12ihipStream_tbEUlT_E_NS1_11comp_targetILNS1_3genE5ELNS1_11target_archE942ELNS1_3gpuE9ELNS1_3repE0EEENS1_30default_config_static_selectorELNS0_4arch9wavefront6targetE1EEEvSP_,"axG",@progbits,_ZN7rocprim17ROCPRIM_400000_NS6detail17trampoline_kernelINS0_14default_configENS1_32segmented_reduce_config_selectorIfEEZNS1_21segmented_reduce_implIS3_PKfPfPKlfN6hipcub16HIPCUB_304000_NS6detail27convert_result_type_wrapperIS8_S9_N2at6native12_GLOBAL__N_19CustomMinEEEEE10hipError_tPvRmT0_T1_jT2_SQ_T4_T3_P12ihipStream_tbEUlT_E_NS1_11comp_targetILNS1_3genE5ELNS1_11target_archE942ELNS1_3gpuE9ELNS1_3repE0EEENS1_30default_config_static_selectorELNS0_4arch9wavefront6targetE1EEEvSP_,comdat
	.globl	_ZN7rocprim17ROCPRIM_400000_NS6detail17trampoline_kernelINS0_14default_configENS1_32segmented_reduce_config_selectorIfEEZNS1_21segmented_reduce_implIS3_PKfPfPKlfN6hipcub16HIPCUB_304000_NS6detail27convert_result_type_wrapperIS8_S9_N2at6native12_GLOBAL__N_19CustomMinEEEEE10hipError_tPvRmT0_T1_jT2_SQ_T4_T3_P12ihipStream_tbEUlT_E_NS1_11comp_targetILNS1_3genE5ELNS1_11target_archE942ELNS1_3gpuE9ELNS1_3repE0EEENS1_30default_config_static_selectorELNS0_4arch9wavefront6targetE1EEEvSP_ ; -- Begin function _ZN7rocprim17ROCPRIM_400000_NS6detail17trampoline_kernelINS0_14default_configENS1_32segmented_reduce_config_selectorIfEEZNS1_21segmented_reduce_implIS3_PKfPfPKlfN6hipcub16HIPCUB_304000_NS6detail27convert_result_type_wrapperIS8_S9_N2at6native12_GLOBAL__N_19CustomMinEEEEE10hipError_tPvRmT0_T1_jT2_SQ_T4_T3_P12ihipStream_tbEUlT_E_NS1_11comp_targetILNS1_3genE5ELNS1_11target_archE942ELNS1_3gpuE9ELNS1_3repE0EEENS1_30default_config_static_selectorELNS0_4arch9wavefront6targetE1EEEvSP_
	.p2align	8
	.type	_ZN7rocprim17ROCPRIM_400000_NS6detail17trampoline_kernelINS0_14default_configENS1_32segmented_reduce_config_selectorIfEEZNS1_21segmented_reduce_implIS3_PKfPfPKlfN6hipcub16HIPCUB_304000_NS6detail27convert_result_type_wrapperIS8_S9_N2at6native12_GLOBAL__N_19CustomMinEEEEE10hipError_tPvRmT0_T1_jT2_SQ_T4_T3_P12ihipStream_tbEUlT_E_NS1_11comp_targetILNS1_3genE5ELNS1_11target_archE942ELNS1_3gpuE9ELNS1_3repE0EEENS1_30default_config_static_selectorELNS0_4arch9wavefront6targetE1EEEvSP_,@function
_ZN7rocprim17ROCPRIM_400000_NS6detail17trampoline_kernelINS0_14default_configENS1_32segmented_reduce_config_selectorIfEEZNS1_21segmented_reduce_implIS3_PKfPfPKlfN6hipcub16HIPCUB_304000_NS6detail27convert_result_type_wrapperIS8_S9_N2at6native12_GLOBAL__N_19CustomMinEEEEE10hipError_tPvRmT0_T1_jT2_SQ_T4_T3_P12ihipStream_tbEUlT_E_NS1_11comp_targetILNS1_3genE5ELNS1_11target_archE942ELNS1_3gpuE9ELNS1_3repE0EEENS1_30default_config_static_selectorELNS0_4arch9wavefront6targetE1EEEvSP_: ; @_ZN7rocprim17ROCPRIM_400000_NS6detail17trampoline_kernelINS0_14default_configENS1_32segmented_reduce_config_selectorIfEEZNS1_21segmented_reduce_implIS3_PKfPfPKlfN6hipcub16HIPCUB_304000_NS6detail27convert_result_type_wrapperIS8_S9_N2at6native12_GLOBAL__N_19CustomMinEEEEE10hipError_tPvRmT0_T1_jT2_SQ_T4_T3_P12ihipStream_tbEUlT_E_NS1_11comp_targetILNS1_3genE5ELNS1_11target_archE942ELNS1_3gpuE9ELNS1_3repE0EEENS1_30default_config_static_selectorELNS0_4arch9wavefront6targetE1EEEvSP_
; %bb.0:
	.section	.rodata,"a",@progbits
	.p2align	6, 0x0
	.amdhsa_kernel _ZN7rocprim17ROCPRIM_400000_NS6detail17trampoline_kernelINS0_14default_configENS1_32segmented_reduce_config_selectorIfEEZNS1_21segmented_reduce_implIS3_PKfPfPKlfN6hipcub16HIPCUB_304000_NS6detail27convert_result_type_wrapperIS8_S9_N2at6native12_GLOBAL__N_19CustomMinEEEEE10hipError_tPvRmT0_T1_jT2_SQ_T4_T3_P12ihipStream_tbEUlT_E_NS1_11comp_targetILNS1_3genE5ELNS1_11target_archE942ELNS1_3gpuE9ELNS1_3repE0EEENS1_30default_config_static_selectorELNS0_4arch9wavefront6targetE1EEEvSP_
		.amdhsa_group_segment_fixed_size 0
		.amdhsa_private_segment_fixed_size 0
		.amdhsa_kernarg_size 48
		.amdhsa_user_sgpr_count 6
		.amdhsa_user_sgpr_private_segment_buffer 1
		.amdhsa_user_sgpr_dispatch_ptr 0
		.amdhsa_user_sgpr_queue_ptr 0
		.amdhsa_user_sgpr_kernarg_segment_ptr 1
		.amdhsa_user_sgpr_dispatch_id 0
		.amdhsa_user_sgpr_flat_scratch_init 0
		.amdhsa_user_sgpr_private_segment_size 0
		.amdhsa_uses_dynamic_stack 0
		.amdhsa_system_sgpr_private_segment_wavefront_offset 0
		.amdhsa_system_sgpr_workgroup_id_x 1
		.amdhsa_system_sgpr_workgroup_id_y 0
		.amdhsa_system_sgpr_workgroup_id_z 0
		.amdhsa_system_sgpr_workgroup_info 0
		.amdhsa_system_vgpr_workitem_id 0
		.amdhsa_next_free_vgpr 1
		.amdhsa_next_free_sgpr 0
		.amdhsa_reserve_vcc 0
		.amdhsa_reserve_flat_scratch 0
		.amdhsa_float_round_mode_32 0
		.amdhsa_float_round_mode_16_64 0
		.amdhsa_float_denorm_mode_32 3
		.amdhsa_float_denorm_mode_16_64 3
		.amdhsa_dx10_clamp 1
		.amdhsa_ieee_mode 1
		.amdhsa_fp16_overflow 0
		.amdhsa_exception_fp_ieee_invalid_op 0
		.amdhsa_exception_fp_denorm_src 0
		.amdhsa_exception_fp_ieee_div_zero 0
		.amdhsa_exception_fp_ieee_overflow 0
		.amdhsa_exception_fp_ieee_underflow 0
		.amdhsa_exception_fp_ieee_inexact 0
		.amdhsa_exception_int_div_zero 0
	.end_amdhsa_kernel
	.section	.text._ZN7rocprim17ROCPRIM_400000_NS6detail17trampoline_kernelINS0_14default_configENS1_32segmented_reduce_config_selectorIfEEZNS1_21segmented_reduce_implIS3_PKfPfPKlfN6hipcub16HIPCUB_304000_NS6detail27convert_result_type_wrapperIS8_S9_N2at6native12_GLOBAL__N_19CustomMinEEEEE10hipError_tPvRmT0_T1_jT2_SQ_T4_T3_P12ihipStream_tbEUlT_E_NS1_11comp_targetILNS1_3genE5ELNS1_11target_archE942ELNS1_3gpuE9ELNS1_3repE0EEENS1_30default_config_static_selectorELNS0_4arch9wavefront6targetE1EEEvSP_,"axG",@progbits,_ZN7rocprim17ROCPRIM_400000_NS6detail17trampoline_kernelINS0_14default_configENS1_32segmented_reduce_config_selectorIfEEZNS1_21segmented_reduce_implIS3_PKfPfPKlfN6hipcub16HIPCUB_304000_NS6detail27convert_result_type_wrapperIS8_S9_N2at6native12_GLOBAL__N_19CustomMinEEEEE10hipError_tPvRmT0_T1_jT2_SQ_T4_T3_P12ihipStream_tbEUlT_E_NS1_11comp_targetILNS1_3genE5ELNS1_11target_archE942ELNS1_3gpuE9ELNS1_3repE0EEENS1_30default_config_static_selectorELNS0_4arch9wavefront6targetE1EEEvSP_,comdat
.Lfunc_end197:
	.size	_ZN7rocprim17ROCPRIM_400000_NS6detail17trampoline_kernelINS0_14default_configENS1_32segmented_reduce_config_selectorIfEEZNS1_21segmented_reduce_implIS3_PKfPfPKlfN6hipcub16HIPCUB_304000_NS6detail27convert_result_type_wrapperIS8_S9_N2at6native12_GLOBAL__N_19CustomMinEEEEE10hipError_tPvRmT0_T1_jT2_SQ_T4_T3_P12ihipStream_tbEUlT_E_NS1_11comp_targetILNS1_3genE5ELNS1_11target_archE942ELNS1_3gpuE9ELNS1_3repE0EEENS1_30default_config_static_selectorELNS0_4arch9wavefront6targetE1EEEvSP_, .Lfunc_end197-_ZN7rocprim17ROCPRIM_400000_NS6detail17trampoline_kernelINS0_14default_configENS1_32segmented_reduce_config_selectorIfEEZNS1_21segmented_reduce_implIS3_PKfPfPKlfN6hipcub16HIPCUB_304000_NS6detail27convert_result_type_wrapperIS8_S9_N2at6native12_GLOBAL__N_19CustomMinEEEEE10hipError_tPvRmT0_T1_jT2_SQ_T4_T3_P12ihipStream_tbEUlT_E_NS1_11comp_targetILNS1_3genE5ELNS1_11target_archE942ELNS1_3gpuE9ELNS1_3repE0EEENS1_30default_config_static_selectorELNS0_4arch9wavefront6targetE1EEEvSP_
                                        ; -- End function
	.set _ZN7rocprim17ROCPRIM_400000_NS6detail17trampoline_kernelINS0_14default_configENS1_32segmented_reduce_config_selectorIfEEZNS1_21segmented_reduce_implIS3_PKfPfPKlfN6hipcub16HIPCUB_304000_NS6detail27convert_result_type_wrapperIS8_S9_N2at6native12_GLOBAL__N_19CustomMinEEEEE10hipError_tPvRmT0_T1_jT2_SQ_T4_T3_P12ihipStream_tbEUlT_E_NS1_11comp_targetILNS1_3genE5ELNS1_11target_archE942ELNS1_3gpuE9ELNS1_3repE0EEENS1_30default_config_static_selectorELNS0_4arch9wavefront6targetE1EEEvSP_.num_vgpr, 0
	.set _ZN7rocprim17ROCPRIM_400000_NS6detail17trampoline_kernelINS0_14default_configENS1_32segmented_reduce_config_selectorIfEEZNS1_21segmented_reduce_implIS3_PKfPfPKlfN6hipcub16HIPCUB_304000_NS6detail27convert_result_type_wrapperIS8_S9_N2at6native12_GLOBAL__N_19CustomMinEEEEE10hipError_tPvRmT0_T1_jT2_SQ_T4_T3_P12ihipStream_tbEUlT_E_NS1_11comp_targetILNS1_3genE5ELNS1_11target_archE942ELNS1_3gpuE9ELNS1_3repE0EEENS1_30default_config_static_selectorELNS0_4arch9wavefront6targetE1EEEvSP_.num_agpr, 0
	.set _ZN7rocprim17ROCPRIM_400000_NS6detail17trampoline_kernelINS0_14default_configENS1_32segmented_reduce_config_selectorIfEEZNS1_21segmented_reduce_implIS3_PKfPfPKlfN6hipcub16HIPCUB_304000_NS6detail27convert_result_type_wrapperIS8_S9_N2at6native12_GLOBAL__N_19CustomMinEEEEE10hipError_tPvRmT0_T1_jT2_SQ_T4_T3_P12ihipStream_tbEUlT_E_NS1_11comp_targetILNS1_3genE5ELNS1_11target_archE942ELNS1_3gpuE9ELNS1_3repE0EEENS1_30default_config_static_selectorELNS0_4arch9wavefront6targetE1EEEvSP_.numbered_sgpr, 0
	.set _ZN7rocprim17ROCPRIM_400000_NS6detail17trampoline_kernelINS0_14default_configENS1_32segmented_reduce_config_selectorIfEEZNS1_21segmented_reduce_implIS3_PKfPfPKlfN6hipcub16HIPCUB_304000_NS6detail27convert_result_type_wrapperIS8_S9_N2at6native12_GLOBAL__N_19CustomMinEEEEE10hipError_tPvRmT0_T1_jT2_SQ_T4_T3_P12ihipStream_tbEUlT_E_NS1_11comp_targetILNS1_3genE5ELNS1_11target_archE942ELNS1_3gpuE9ELNS1_3repE0EEENS1_30default_config_static_selectorELNS0_4arch9wavefront6targetE1EEEvSP_.num_named_barrier, 0
	.set _ZN7rocprim17ROCPRIM_400000_NS6detail17trampoline_kernelINS0_14default_configENS1_32segmented_reduce_config_selectorIfEEZNS1_21segmented_reduce_implIS3_PKfPfPKlfN6hipcub16HIPCUB_304000_NS6detail27convert_result_type_wrapperIS8_S9_N2at6native12_GLOBAL__N_19CustomMinEEEEE10hipError_tPvRmT0_T1_jT2_SQ_T4_T3_P12ihipStream_tbEUlT_E_NS1_11comp_targetILNS1_3genE5ELNS1_11target_archE942ELNS1_3gpuE9ELNS1_3repE0EEENS1_30default_config_static_selectorELNS0_4arch9wavefront6targetE1EEEvSP_.private_seg_size, 0
	.set _ZN7rocprim17ROCPRIM_400000_NS6detail17trampoline_kernelINS0_14default_configENS1_32segmented_reduce_config_selectorIfEEZNS1_21segmented_reduce_implIS3_PKfPfPKlfN6hipcub16HIPCUB_304000_NS6detail27convert_result_type_wrapperIS8_S9_N2at6native12_GLOBAL__N_19CustomMinEEEEE10hipError_tPvRmT0_T1_jT2_SQ_T4_T3_P12ihipStream_tbEUlT_E_NS1_11comp_targetILNS1_3genE5ELNS1_11target_archE942ELNS1_3gpuE9ELNS1_3repE0EEENS1_30default_config_static_selectorELNS0_4arch9wavefront6targetE1EEEvSP_.uses_vcc, 0
	.set _ZN7rocprim17ROCPRIM_400000_NS6detail17trampoline_kernelINS0_14default_configENS1_32segmented_reduce_config_selectorIfEEZNS1_21segmented_reduce_implIS3_PKfPfPKlfN6hipcub16HIPCUB_304000_NS6detail27convert_result_type_wrapperIS8_S9_N2at6native12_GLOBAL__N_19CustomMinEEEEE10hipError_tPvRmT0_T1_jT2_SQ_T4_T3_P12ihipStream_tbEUlT_E_NS1_11comp_targetILNS1_3genE5ELNS1_11target_archE942ELNS1_3gpuE9ELNS1_3repE0EEENS1_30default_config_static_selectorELNS0_4arch9wavefront6targetE1EEEvSP_.uses_flat_scratch, 0
	.set _ZN7rocprim17ROCPRIM_400000_NS6detail17trampoline_kernelINS0_14default_configENS1_32segmented_reduce_config_selectorIfEEZNS1_21segmented_reduce_implIS3_PKfPfPKlfN6hipcub16HIPCUB_304000_NS6detail27convert_result_type_wrapperIS8_S9_N2at6native12_GLOBAL__N_19CustomMinEEEEE10hipError_tPvRmT0_T1_jT2_SQ_T4_T3_P12ihipStream_tbEUlT_E_NS1_11comp_targetILNS1_3genE5ELNS1_11target_archE942ELNS1_3gpuE9ELNS1_3repE0EEENS1_30default_config_static_selectorELNS0_4arch9wavefront6targetE1EEEvSP_.has_dyn_sized_stack, 0
	.set _ZN7rocprim17ROCPRIM_400000_NS6detail17trampoline_kernelINS0_14default_configENS1_32segmented_reduce_config_selectorIfEEZNS1_21segmented_reduce_implIS3_PKfPfPKlfN6hipcub16HIPCUB_304000_NS6detail27convert_result_type_wrapperIS8_S9_N2at6native12_GLOBAL__N_19CustomMinEEEEE10hipError_tPvRmT0_T1_jT2_SQ_T4_T3_P12ihipStream_tbEUlT_E_NS1_11comp_targetILNS1_3genE5ELNS1_11target_archE942ELNS1_3gpuE9ELNS1_3repE0EEENS1_30default_config_static_selectorELNS0_4arch9wavefront6targetE1EEEvSP_.has_recursion, 0
	.set _ZN7rocprim17ROCPRIM_400000_NS6detail17trampoline_kernelINS0_14default_configENS1_32segmented_reduce_config_selectorIfEEZNS1_21segmented_reduce_implIS3_PKfPfPKlfN6hipcub16HIPCUB_304000_NS6detail27convert_result_type_wrapperIS8_S9_N2at6native12_GLOBAL__N_19CustomMinEEEEE10hipError_tPvRmT0_T1_jT2_SQ_T4_T3_P12ihipStream_tbEUlT_E_NS1_11comp_targetILNS1_3genE5ELNS1_11target_archE942ELNS1_3gpuE9ELNS1_3repE0EEENS1_30default_config_static_selectorELNS0_4arch9wavefront6targetE1EEEvSP_.has_indirect_call, 0
	.section	.AMDGPU.csdata,"",@progbits
; Kernel info:
; codeLenInByte = 0
; TotalNumSgprs: 4
; NumVgprs: 0
; ScratchSize: 0
; MemoryBound: 0
; FloatMode: 240
; IeeeMode: 1
; LDSByteSize: 0 bytes/workgroup (compile time only)
; SGPRBlocks: 0
; VGPRBlocks: 0
; NumSGPRsForWavesPerEU: 4
; NumVGPRsForWavesPerEU: 1
; Occupancy: 10
; WaveLimiterHint : 0
; COMPUTE_PGM_RSRC2:SCRATCH_EN: 0
; COMPUTE_PGM_RSRC2:USER_SGPR: 6
; COMPUTE_PGM_RSRC2:TRAP_HANDLER: 0
; COMPUTE_PGM_RSRC2:TGID_X_EN: 1
; COMPUTE_PGM_RSRC2:TGID_Y_EN: 0
; COMPUTE_PGM_RSRC2:TGID_Z_EN: 0
; COMPUTE_PGM_RSRC2:TIDIG_COMP_CNT: 0
	.section	.text._ZN7rocprim17ROCPRIM_400000_NS6detail17trampoline_kernelINS0_14default_configENS1_32segmented_reduce_config_selectorIfEEZNS1_21segmented_reduce_implIS3_PKfPfPKlfN6hipcub16HIPCUB_304000_NS6detail27convert_result_type_wrapperIS8_S9_N2at6native12_GLOBAL__N_19CustomMinEEEEE10hipError_tPvRmT0_T1_jT2_SQ_T4_T3_P12ihipStream_tbEUlT_E_NS1_11comp_targetILNS1_3genE10ELNS1_11target_archE1201ELNS1_3gpuE5ELNS1_3repE0EEENS1_30default_config_static_selectorELNS0_4arch9wavefront6targetE1EEEvSP_,"axG",@progbits,_ZN7rocprim17ROCPRIM_400000_NS6detail17trampoline_kernelINS0_14default_configENS1_32segmented_reduce_config_selectorIfEEZNS1_21segmented_reduce_implIS3_PKfPfPKlfN6hipcub16HIPCUB_304000_NS6detail27convert_result_type_wrapperIS8_S9_N2at6native12_GLOBAL__N_19CustomMinEEEEE10hipError_tPvRmT0_T1_jT2_SQ_T4_T3_P12ihipStream_tbEUlT_E_NS1_11comp_targetILNS1_3genE10ELNS1_11target_archE1201ELNS1_3gpuE5ELNS1_3repE0EEENS1_30default_config_static_selectorELNS0_4arch9wavefront6targetE1EEEvSP_,comdat
	.globl	_ZN7rocprim17ROCPRIM_400000_NS6detail17trampoline_kernelINS0_14default_configENS1_32segmented_reduce_config_selectorIfEEZNS1_21segmented_reduce_implIS3_PKfPfPKlfN6hipcub16HIPCUB_304000_NS6detail27convert_result_type_wrapperIS8_S9_N2at6native12_GLOBAL__N_19CustomMinEEEEE10hipError_tPvRmT0_T1_jT2_SQ_T4_T3_P12ihipStream_tbEUlT_E_NS1_11comp_targetILNS1_3genE10ELNS1_11target_archE1201ELNS1_3gpuE5ELNS1_3repE0EEENS1_30default_config_static_selectorELNS0_4arch9wavefront6targetE1EEEvSP_ ; -- Begin function _ZN7rocprim17ROCPRIM_400000_NS6detail17trampoline_kernelINS0_14default_configENS1_32segmented_reduce_config_selectorIfEEZNS1_21segmented_reduce_implIS3_PKfPfPKlfN6hipcub16HIPCUB_304000_NS6detail27convert_result_type_wrapperIS8_S9_N2at6native12_GLOBAL__N_19CustomMinEEEEE10hipError_tPvRmT0_T1_jT2_SQ_T4_T3_P12ihipStream_tbEUlT_E_NS1_11comp_targetILNS1_3genE10ELNS1_11target_archE1201ELNS1_3gpuE5ELNS1_3repE0EEENS1_30default_config_static_selectorELNS0_4arch9wavefront6targetE1EEEvSP_
	.p2align	8
	.type	_ZN7rocprim17ROCPRIM_400000_NS6detail17trampoline_kernelINS0_14default_configENS1_32segmented_reduce_config_selectorIfEEZNS1_21segmented_reduce_implIS3_PKfPfPKlfN6hipcub16HIPCUB_304000_NS6detail27convert_result_type_wrapperIS8_S9_N2at6native12_GLOBAL__N_19CustomMinEEEEE10hipError_tPvRmT0_T1_jT2_SQ_T4_T3_P12ihipStream_tbEUlT_E_NS1_11comp_targetILNS1_3genE10ELNS1_11target_archE1201ELNS1_3gpuE5ELNS1_3repE0EEENS1_30default_config_static_selectorELNS0_4arch9wavefront6targetE1EEEvSP_,@function
_ZN7rocprim17ROCPRIM_400000_NS6detail17trampoline_kernelINS0_14default_configENS1_32segmented_reduce_config_selectorIfEEZNS1_21segmented_reduce_implIS3_PKfPfPKlfN6hipcub16HIPCUB_304000_NS6detail27convert_result_type_wrapperIS8_S9_N2at6native12_GLOBAL__N_19CustomMinEEEEE10hipError_tPvRmT0_T1_jT2_SQ_T4_T3_P12ihipStream_tbEUlT_E_NS1_11comp_targetILNS1_3genE10ELNS1_11target_archE1201ELNS1_3gpuE5ELNS1_3repE0EEENS1_30default_config_static_selectorELNS0_4arch9wavefront6targetE1EEEvSP_: ; @_ZN7rocprim17ROCPRIM_400000_NS6detail17trampoline_kernelINS0_14default_configENS1_32segmented_reduce_config_selectorIfEEZNS1_21segmented_reduce_implIS3_PKfPfPKlfN6hipcub16HIPCUB_304000_NS6detail27convert_result_type_wrapperIS8_S9_N2at6native12_GLOBAL__N_19CustomMinEEEEE10hipError_tPvRmT0_T1_jT2_SQ_T4_T3_P12ihipStream_tbEUlT_E_NS1_11comp_targetILNS1_3genE10ELNS1_11target_archE1201ELNS1_3gpuE5ELNS1_3repE0EEENS1_30default_config_static_selectorELNS0_4arch9wavefront6targetE1EEEvSP_
; %bb.0:
	.section	.rodata,"a",@progbits
	.p2align	6, 0x0
	.amdhsa_kernel _ZN7rocprim17ROCPRIM_400000_NS6detail17trampoline_kernelINS0_14default_configENS1_32segmented_reduce_config_selectorIfEEZNS1_21segmented_reduce_implIS3_PKfPfPKlfN6hipcub16HIPCUB_304000_NS6detail27convert_result_type_wrapperIS8_S9_N2at6native12_GLOBAL__N_19CustomMinEEEEE10hipError_tPvRmT0_T1_jT2_SQ_T4_T3_P12ihipStream_tbEUlT_E_NS1_11comp_targetILNS1_3genE10ELNS1_11target_archE1201ELNS1_3gpuE5ELNS1_3repE0EEENS1_30default_config_static_selectorELNS0_4arch9wavefront6targetE1EEEvSP_
		.amdhsa_group_segment_fixed_size 0
		.amdhsa_private_segment_fixed_size 0
		.amdhsa_kernarg_size 48
		.amdhsa_user_sgpr_count 6
		.amdhsa_user_sgpr_private_segment_buffer 1
		.amdhsa_user_sgpr_dispatch_ptr 0
		.amdhsa_user_sgpr_queue_ptr 0
		.amdhsa_user_sgpr_kernarg_segment_ptr 1
		.amdhsa_user_sgpr_dispatch_id 0
		.amdhsa_user_sgpr_flat_scratch_init 0
		.amdhsa_user_sgpr_private_segment_size 0
		.amdhsa_uses_dynamic_stack 0
		.amdhsa_system_sgpr_private_segment_wavefront_offset 0
		.amdhsa_system_sgpr_workgroup_id_x 1
		.amdhsa_system_sgpr_workgroup_id_y 0
		.amdhsa_system_sgpr_workgroup_id_z 0
		.amdhsa_system_sgpr_workgroup_info 0
		.amdhsa_system_vgpr_workitem_id 0
		.amdhsa_next_free_vgpr 1
		.amdhsa_next_free_sgpr 0
		.amdhsa_reserve_vcc 0
		.amdhsa_reserve_flat_scratch 0
		.amdhsa_float_round_mode_32 0
		.amdhsa_float_round_mode_16_64 0
		.amdhsa_float_denorm_mode_32 3
		.amdhsa_float_denorm_mode_16_64 3
		.amdhsa_dx10_clamp 1
		.amdhsa_ieee_mode 1
		.amdhsa_fp16_overflow 0
		.amdhsa_exception_fp_ieee_invalid_op 0
		.amdhsa_exception_fp_denorm_src 0
		.amdhsa_exception_fp_ieee_div_zero 0
		.amdhsa_exception_fp_ieee_overflow 0
		.amdhsa_exception_fp_ieee_underflow 0
		.amdhsa_exception_fp_ieee_inexact 0
		.amdhsa_exception_int_div_zero 0
	.end_amdhsa_kernel
	.section	.text._ZN7rocprim17ROCPRIM_400000_NS6detail17trampoline_kernelINS0_14default_configENS1_32segmented_reduce_config_selectorIfEEZNS1_21segmented_reduce_implIS3_PKfPfPKlfN6hipcub16HIPCUB_304000_NS6detail27convert_result_type_wrapperIS8_S9_N2at6native12_GLOBAL__N_19CustomMinEEEEE10hipError_tPvRmT0_T1_jT2_SQ_T4_T3_P12ihipStream_tbEUlT_E_NS1_11comp_targetILNS1_3genE10ELNS1_11target_archE1201ELNS1_3gpuE5ELNS1_3repE0EEENS1_30default_config_static_selectorELNS0_4arch9wavefront6targetE1EEEvSP_,"axG",@progbits,_ZN7rocprim17ROCPRIM_400000_NS6detail17trampoline_kernelINS0_14default_configENS1_32segmented_reduce_config_selectorIfEEZNS1_21segmented_reduce_implIS3_PKfPfPKlfN6hipcub16HIPCUB_304000_NS6detail27convert_result_type_wrapperIS8_S9_N2at6native12_GLOBAL__N_19CustomMinEEEEE10hipError_tPvRmT0_T1_jT2_SQ_T4_T3_P12ihipStream_tbEUlT_E_NS1_11comp_targetILNS1_3genE10ELNS1_11target_archE1201ELNS1_3gpuE5ELNS1_3repE0EEENS1_30default_config_static_selectorELNS0_4arch9wavefront6targetE1EEEvSP_,comdat
.Lfunc_end198:
	.size	_ZN7rocprim17ROCPRIM_400000_NS6detail17trampoline_kernelINS0_14default_configENS1_32segmented_reduce_config_selectorIfEEZNS1_21segmented_reduce_implIS3_PKfPfPKlfN6hipcub16HIPCUB_304000_NS6detail27convert_result_type_wrapperIS8_S9_N2at6native12_GLOBAL__N_19CustomMinEEEEE10hipError_tPvRmT0_T1_jT2_SQ_T4_T3_P12ihipStream_tbEUlT_E_NS1_11comp_targetILNS1_3genE10ELNS1_11target_archE1201ELNS1_3gpuE5ELNS1_3repE0EEENS1_30default_config_static_selectorELNS0_4arch9wavefront6targetE1EEEvSP_, .Lfunc_end198-_ZN7rocprim17ROCPRIM_400000_NS6detail17trampoline_kernelINS0_14default_configENS1_32segmented_reduce_config_selectorIfEEZNS1_21segmented_reduce_implIS3_PKfPfPKlfN6hipcub16HIPCUB_304000_NS6detail27convert_result_type_wrapperIS8_S9_N2at6native12_GLOBAL__N_19CustomMinEEEEE10hipError_tPvRmT0_T1_jT2_SQ_T4_T3_P12ihipStream_tbEUlT_E_NS1_11comp_targetILNS1_3genE10ELNS1_11target_archE1201ELNS1_3gpuE5ELNS1_3repE0EEENS1_30default_config_static_selectorELNS0_4arch9wavefront6targetE1EEEvSP_
                                        ; -- End function
	.set _ZN7rocprim17ROCPRIM_400000_NS6detail17trampoline_kernelINS0_14default_configENS1_32segmented_reduce_config_selectorIfEEZNS1_21segmented_reduce_implIS3_PKfPfPKlfN6hipcub16HIPCUB_304000_NS6detail27convert_result_type_wrapperIS8_S9_N2at6native12_GLOBAL__N_19CustomMinEEEEE10hipError_tPvRmT0_T1_jT2_SQ_T4_T3_P12ihipStream_tbEUlT_E_NS1_11comp_targetILNS1_3genE10ELNS1_11target_archE1201ELNS1_3gpuE5ELNS1_3repE0EEENS1_30default_config_static_selectorELNS0_4arch9wavefront6targetE1EEEvSP_.num_vgpr, 0
	.set _ZN7rocprim17ROCPRIM_400000_NS6detail17trampoline_kernelINS0_14default_configENS1_32segmented_reduce_config_selectorIfEEZNS1_21segmented_reduce_implIS3_PKfPfPKlfN6hipcub16HIPCUB_304000_NS6detail27convert_result_type_wrapperIS8_S9_N2at6native12_GLOBAL__N_19CustomMinEEEEE10hipError_tPvRmT0_T1_jT2_SQ_T4_T3_P12ihipStream_tbEUlT_E_NS1_11comp_targetILNS1_3genE10ELNS1_11target_archE1201ELNS1_3gpuE5ELNS1_3repE0EEENS1_30default_config_static_selectorELNS0_4arch9wavefront6targetE1EEEvSP_.num_agpr, 0
	.set _ZN7rocprim17ROCPRIM_400000_NS6detail17trampoline_kernelINS0_14default_configENS1_32segmented_reduce_config_selectorIfEEZNS1_21segmented_reduce_implIS3_PKfPfPKlfN6hipcub16HIPCUB_304000_NS6detail27convert_result_type_wrapperIS8_S9_N2at6native12_GLOBAL__N_19CustomMinEEEEE10hipError_tPvRmT0_T1_jT2_SQ_T4_T3_P12ihipStream_tbEUlT_E_NS1_11comp_targetILNS1_3genE10ELNS1_11target_archE1201ELNS1_3gpuE5ELNS1_3repE0EEENS1_30default_config_static_selectorELNS0_4arch9wavefront6targetE1EEEvSP_.numbered_sgpr, 0
	.set _ZN7rocprim17ROCPRIM_400000_NS6detail17trampoline_kernelINS0_14default_configENS1_32segmented_reduce_config_selectorIfEEZNS1_21segmented_reduce_implIS3_PKfPfPKlfN6hipcub16HIPCUB_304000_NS6detail27convert_result_type_wrapperIS8_S9_N2at6native12_GLOBAL__N_19CustomMinEEEEE10hipError_tPvRmT0_T1_jT2_SQ_T4_T3_P12ihipStream_tbEUlT_E_NS1_11comp_targetILNS1_3genE10ELNS1_11target_archE1201ELNS1_3gpuE5ELNS1_3repE0EEENS1_30default_config_static_selectorELNS0_4arch9wavefront6targetE1EEEvSP_.num_named_barrier, 0
	.set _ZN7rocprim17ROCPRIM_400000_NS6detail17trampoline_kernelINS0_14default_configENS1_32segmented_reduce_config_selectorIfEEZNS1_21segmented_reduce_implIS3_PKfPfPKlfN6hipcub16HIPCUB_304000_NS6detail27convert_result_type_wrapperIS8_S9_N2at6native12_GLOBAL__N_19CustomMinEEEEE10hipError_tPvRmT0_T1_jT2_SQ_T4_T3_P12ihipStream_tbEUlT_E_NS1_11comp_targetILNS1_3genE10ELNS1_11target_archE1201ELNS1_3gpuE5ELNS1_3repE0EEENS1_30default_config_static_selectorELNS0_4arch9wavefront6targetE1EEEvSP_.private_seg_size, 0
	.set _ZN7rocprim17ROCPRIM_400000_NS6detail17trampoline_kernelINS0_14default_configENS1_32segmented_reduce_config_selectorIfEEZNS1_21segmented_reduce_implIS3_PKfPfPKlfN6hipcub16HIPCUB_304000_NS6detail27convert_result_type_wrapperIS8_S9_N2at6native12_GLOBAL__N_19CustomMinEEEEE10hipError_tPvRmT0_T1_jT2_SQ_T4_T3_P12ihipStream_tbEUlT_E_NS1_11comp_targetILNS1_3genE10ELNS1_11target_archE1201ELNS1_3gpuE5ELNS1_3repE0EEENS1_30default_config_static_selectorELNS0_4arch9wavefront6targetE1EEEvSP_.uses_vcc, 0
	.set _ZN7rocprim17ROCPRIM_400000_NS6detail17trampoline_kernelINS0_14default_configENS1_32segmented_reduce_config_selectorIfEEZNS1_21segmented_reduce_implIS3_PKfPfPKlfN6hipcub16HIPCUB_304000_NS6detail27convert_result_type_wrapperIS8_S9_N2at6native12_GLOBAL__N_19CustomMinEEEEE10hipError_tPvRmT0_T1_jT2_SQ_T4_T3_P12ihipStream_tbEUlT_E_NS1_11comp_targetILNS1_3genE10ELNS1_11target_archE1201ELNS1_3gpuE5ELNS1_3repE0EEENS1_30default_config_static_selectorELNS0_4arch9wavefront6targetE1EEEvSP_.uses_flat_scratch, 0
	.set _ZN7rocprim17ROCPRIM_400000_NS6detail17trampoline_kernelINS0_14default_configENS1_32segmented_reduce_config_selectorIfEEZNS1_21segmented_reduce_implIS3_PKfPfPKlfN6hipcub16HIPCUB_304000_NS6detail27convert_result_type_wrapperIS8_S9_N2at6native12_GLOBAL__N_19CustomMinEEEEE10hipError_tPvRmT0_T1_jT2_SQ_T4_T3_P12ihipStream_tbEUlT_E_NS1_11comp_targetILNS1_3genE10ELNS1_11target_archE1201ELNS1_3gpuE5ELNS1_3repE0EEENS1_30default_config_static_selectorELNS0_4arch9wavefront6targetE1EEEvSP_.has_dyn_sized_stack, 0
	.set _ZN7rocprim17ROCPRIM_400000_NS6detail17trampoline_kernelINS0_14default_configENS1_32segmented_reduce_config_selectorIfEEZNS1_21segmented_reduce_implIS3_PKfPfPKlfN6hipcub16HIPCUB_304000_NS6detail27convert_result_type_wrapperIS8_S9_N2at6native12_GLOBAL__N_19CustomMinEEEEE10hipError_tPvRmT0_T1_jT2_SQ_T4_T3_P12ihipStream_tbEUlT_E_NS1_11comp_targetILNS1_3genE10ELNS1_11target_archE1201ELNS1_3gpuE5ELNS1_3repE0EEENS1_30default_config_static_selectorELNS0_4arch9wavefront6targetE1EEEvSP_.has_recursion, 0
	.set _ZN7rocprim17ROCPRIM_400000_NS6detail17trampoline_kernelINS0_14default_configENS1_32segmented_reduce_config_selectorIfEEZNS1_21segmented_reduce_implIS3_PKfPfPKlfN6hipcub16HIPCUB_304000_NS6detail27convert_result_type_wrapperIS8_S9_N2at6native12_GLOBAL__N_19CustomMinEEEEE10hipError_tPvRmT0_T1_jT2_SQ_T4_T3_P12ihipStream_tbEUlT_E_NS1_11comp_targetILNS1_3genE10ELNS1_11target_archE1201ELNS1_3gpuE5ELNS1_3repE0EEENS1_30default_config_static_selectorELNS0_4arch9wavefront6targetE1EEEvSP_.has_indirect_call, 0
	.section	.AMDGPU.csdata,"",@progbits
; Kernel info:
; codeLenInByte = 0
; TotalNumSgprs: 4
; NumVgprs: 0
; ScratchSize: 0
; MemoryBound: 0
; FloatMode: 240
; IeeeMode: 1
; LDSByteSize: 0 bytes/workgroup (compile time only)
; SGPRBlocks: 0
; VGPRBlocks: 0
; NumSGPRsForWavesPerEU: 4
; NumVGPRsForWavesPerEU: 1
; Occupancy: 10
; WaveLimiterHint : 0
; COMPUTE_PGM_RSRC2:SCRATCH_EN: 0
; COMPUTE_PGM_RSRC2:USER_SGPR: 6
; COMPUTE_PGM_RSRC2:TRAP_HANDLER: 0
; COMPUTE_PGM_RSRC2:TGID_X_EN: 1
; COMPUTE_PGM_RSRC2:TGID_Y_EN: 0
; COMPUTE_PGM_RSRC2:TGID_Z_EN: 0
; COMPUTE_PGM_RSRC2:TIDIG_COMP_CNT: 0
	.section	.text._ZN7rocprim17ROCPRIM_400000_NS6detail17trampoline_kernelINS0_14default_configENS1_32segmented_reduce_config_selectorIfEEZNS1_21segmented_reduce_implIS3_PKfPfPKlfN6hipcub16HIPCUB_304000_NS6detail27convert_result_type_wrapperIS8_S9_N2at6native12_GLOBAL__N_19CustomMinEEEEE10hipError_tPvRmT0_T1_jT2_SQ_T4_T3_P12ihipStream_tbEUlT_E_NS1_11comp_targetILNS1_3genE4ELNS1_11target_archE910ELNS1_3gpuE8ELNS1_3repE0EEENS1_30default_config_static_selectorELNS0_4arch9wavefront6targetE1EEEvSP_,"axG",@progbits,_ZN7rocprim17ROCPRIM_400000_NS6detail17trampoline_kernelINS0_14default_configENS1_32segmented_reduce_config_selectorIfEEZNS1_21segmented_reduce_implIS3_PKfPfPKlfN6hipcub16HIPCUB_304000_NS6detail27convert_result_type_wrapperIS8_S9_N2at6native12_GLOBAL__N_19CustomMinEEEEE10hipError_tPvRmT0_T1_jT2_SQ_T4_T3_P12ihipStream_tbEUlT_E_NS1_11comp_targetILNS1_3genE4ELNS1_11target_archE910ELNS1_3gpuE8ELNS1_3repE0EEENS1_30default_config_static_selectorELNS0_4arch9wavefront6targetE1EEEvSP_,comdat
	.globl	_ZN7rocprim17ROCPRIM_400000_NS6detail17trampoline_kernelINS0_14default_configENS1_32segmented_reduce_config_selectorIfEEZNS1_21segmented_reduce_implIS3_PKfPfPKlfN6hipcub16HIPCUB_304000_NS6detail27convert_result_type_wrapperIS8_S9_N2at6native12_GLOBAL__N_19CustomMinEEEEE10hipError_tPvRmT0_T1_jT2_SQ_T4_T3_P12ihipStream_tbEUlT_E_NS1_11comp_targetILNS1_3genE4ELNS1_11target_archE910ELNS1_3gpuE8ELNS1_3repE0EEENS1_30default_config_static_selectorELNS0_4arch9wavefront6targetE1EEEvSP_ ; -- Begin function _ZN7rocprim17ROCPRIM_400000_NS6detail17trampoline_kernelINS0_14default_configENS1_32segmented_reduce_config_selectorIfEEZNS1_21segmented_reduce_implIS3_PKfPfPKlfN6hipcub16HIPCUB_304000_NS6detail27convert_result_type_wrapperIS8_S9_N2at6native12_GLOBAL__N_19CustomMinEEEEE10hipError_tPvRmT0_T1_jT2_SQ_T4_T3_P12ihipStream_tbEUlT_E_NS1_11comp_targetILNS1_3genE4ELNS1_11target_archE910ELNS1_3gpuE8ELNS1_3repE0EEENS1_30default_config_static_selectorELNS0_4arch9wavefront6targetE1EEEvSP_
	.p2align	8
	.type	_ZN7rocprim17ROCPRIM_400000_NS6detail17trampoline_kernelINS0_14default_configENS1_32segmented_reduce_config_selectorIfEEZNS1_21segmented_reduce_implIS3_PKfPfPKlfN6hipcub16HIPCUB_304000_NS6detail27convert_result_type_wrapperIS8_S9_N2at6native12_GLOBAL__N_19CustomMinEEEEE10hipError_tPvRmT0_T1_jT2_SQ_T4_T3_P12ihipStream_tbEUlT_E_NS1_11comp_targetILNS1_3genE4ELNS1_11target_archE910ELNS1_3gpuE8ELNS1_3repE0EEENS1_30default_config_static_selectorELNS0_4arch9wavefront6targetE1EEEvSP_,@function
_ZN7rocprim17ROCPRIM_400000_NS6detail17trampoline_kernelINS0_14default_configENS1_32segmented_reduce_config_selectorIfEEZNS1_21segmented_reduce_implIS3_PKfPfPKlfN6hipcub16HIPCUB_304000_NS6detail27convert_result_type_wrapperIS8_S9_N2at6native12_GLOBAL__N_19CustomMinEEEEE10hipError_tPvRmT0_T1_jT2_SQ_T4_T3_P12ihipStream_tbEUlT_E_NS1_11comp_targetILNS1_3genE4ELNS1_11target_archE910ELNS1_3gpuE8ELNS1_3repE0EEENS1_30default_config_static_selectorELNS0_4arch9wavefront6targetE1EEEvSP_: ; @_ZN7rocprim17ROCPRIM_400000_NS6detail17trampoline_kernelINS0_14default_configENS1_32segmented_reduce_config_selectorIfEEZNS1_21segmented_reduce_implIS3_PKfPfPKlfN6hipcub16HIPCUB_304000_NS6detail27convert_result_type_wrapperIS8_S9_N2at6native12_GLOBAL__N_19CustomMinEEEEE10hipError_tPvRmT0_T1_jT2_SQ_T4_T3_P12ihipStream_tbEUlT_E_NS1_11comp_targetILNS1_3genE4ELNS1_11target_archE910ELNS1_3gpuE8ELNS1_3repE0EEENS1_30default_config_static_selectorELNS0_4arch9wavefront6targetE1EEEvSP_
; %bb.0:
	.section	.rodata,"a",@progbits
	.p2align	6, 0x0
	.amdhsa_kernel _ZN7rocprim17ROCPRIM_400000_NS6detail17trampoline_kernelINS0_14default_configENS1_32segmented_reduce_config_selectorIfEEZNS1_21segmented_reduce_implIS3_PKfPfPKlfN6hipcub16HIPCUB_304000_NS6detail27convert_result_type_wrapperIS8_S9_N2at6native12_GLOBAL__N_19CustomMinEEEEE10hipError_tPvRmT0_T1_jT2_SQ_T4_T3_P12ihipStream_tbEUlT_E_NS1_11comp_targetILNS1_3genE4ELNS1_11target_archE910ELNS1_3gpuE8ELNS1_3repE0EEENS1_30default_config_static_selectorELNS0_4arch9wavefront6targetE1EEEvSP_
		.amdhsa_group_segment_fixed_size 0
		.amdhsa_private_segment_fixed_size 0
		.amdhsa_kernarg_size 48
		.amdhsa_user_sgpr_count 6
		.amdhsa_user_sgpr_private_segment_buffer 1
		.amdhsa_user_sgpr_dispatch_ptr 0
		.amdhsa_user_sgpr_queue_ptr 0
		.amdhsa_user_sgpr_kernarg_segment_ptr 1
		.amdhsa_user_sgpr_dispatch_id 0
		.amdhsa_user_sgpr_flat_scratch_init 0
		.amdhsa_user_sgpr_private_segment_size 0
		.amdhsa_uses_dynamic_stack 0
		.amdhsa_system_sgpr_private_segment_wavefront_offset 0
		.amdhsa_system_sgpr_workgroup_id_x 1
		.amdhsa_system_sgpr_workgroup_id_y 0
		.amdhsa_system_sgpr_workgroup_id_z 0
		.amdhsa_system_sgpr_workgroup_info 0
		.amdhsa_system_vgpr_workitem_id 0
		.amdhsa_next_free_vgpr 1
		.amdhsa_next_free_sgpr 0
		.amdhsa_reserve_vcc 0
		.amdhsa_reserve_flat_scratch 0
		.amdhsa_float_round_mode_32 0
		.amdhsa_float_round_mode_16_64 0
		.amdhsa_float_denorm_mode_32 3
		.amdhsa_float_denorm_mode_16_64 3
		.amdhsa_dx10_clamp 1
		.amdhsa_ieee_mode 1
		.amdhsa_fp16_overflow 0
		.amdhsa_exception_fp_ieee_invalid_op 0
		.amdhsa_exception_fp_denorm_src 0
		.amdhsa_exception_fp_ieee_div_zero 0
		.amdhsa_exception_fp_ieee_overflow 0
		.amdhsa_exception_fp_ieee_underflow 0
		.amdhsa_exception_fp_ieee_inexact 0
		.amdhsa_exception_int_div_zero 0
	.end_amdhsa_kernel
	.section	.text._ZN7rocprim17ROCPRIM_400000_NS6detail17trampoline_kernelINS0_14default_configENS1_32segmented_reduce_config_selectorIfEEZNS1_21segmented_reduce_implIS3_PKfPfPKlfN6hipcub16HIPCUB_304000_NS6detail27convert_result_type_wrapperIS8_S9_N2at6native12_GLOBAL__N_19CustomMinEEEEE10hipError_tPvRmT0_T1_jT2_SQ_T4_T3_P12ihipStream_tbEUlT_E_NS1_11comp_targetILNS1_3genE4ELNS1_11target_archE910ELNS1_3gpuE8ELNS1_3repE0EEENS1_30default_config_static_selectorELNS0_4arch9wavefront6targetE1EEEvSP_,"axG",@progbits,_ZN7rocprim17ROCPRIM_400000_NS6detail17trampoline_kernelINS0_14default_configENS1_32segmented_reduce_config_selectorIfEEZNS1_21segmented_reduce_implIS3_PKfPfPKlfN6hipcub16HIPCUB_304000_NS6detail27convert_result_type_wrapperIS8_S9_N2at6native12_GLOBAL__N_19CustomMinEEEEE10hipError_tPvRmT0_T1_jT2_SQ_T4_T3_P12ihipStream_tbEUlT_E_NS1_11comp_targetILNS1_3genE4ELNS1_11target_archE910ELNS1_3gpuE8ELNS1_3repE0EEENS1_30default_config_static_selectorELNS0_4arch9wavefront6targetE1EEEvSP_,comdat
.Lfunc_end199:
	.size	_ZN7rocprim17ROCPRIM_400000_NS6detail17trampoline_kernelINS0_14default_configENS1_32segmented_reduce_config_selectorIfEEZNS1_21segmented_reduce_implIS3_PKfPfPKlfN6hipcub16HIPCUB_304000_NS6detail27convert_result_type_wrapperIS8_S9_N2at6native12_GLOBAL__N_19CustomMinEEEEE10hipError_tPvRmT0_T1_jT2_SQ_T4_T3_P12ihipStream_tbEUlT_E_NS1_11comp_targetILNS1_3genE4ELNS1_11target_archE910ELNS1_3gpuE8ELNS1_3repE0EEENS1_30default_config_static_selectorELNS0_4arch9wavefront6targetE1EEEvSP_, .Lfunc_end199-_ZN7rocprim17ROCPRIM_400000_NS6detail17trampoline_kernelINS0_14default_configENS1_32segmented_reduce_config_selectorIfEEZNS1_21segmented_reduce_implIS3_PKfPfPKlfN6hipcub16HIPCUB_304000_NS6detail27convert_result_type_wrapperIS8_S9_N2at6native12_GLOBAL__N_19CustomMinEEEEE10hipError_tPvRmT0_T1_jT2_SQ_T4_T3_P12ihipStream_tbEUlT_E_NS1_11comp_targetILNS1_3genE4ELNS1_11target_archE910ELNS1_3gpuE8ELNS1_3repE0EEENS1_30default_config_static_selectorELNS0_4arch9wavefront6targetE1EEEvSP_
                                        ; -- End function
	.set _ZN7rocprim17ROCPRIM_400000_NS6detail17trampoline_kernelINS0_14default_configENS1_32segmented_reduce_config_selectorIfEEZNS1_21segmented_reduce_implIS3_PKfPfPKlfN6hipcub16HIPCUB_304000_NS6detail27convert_result_type_wrapperIS8_S9_N2at6native12_GLOBAL__N_19CustomMinEEEEE10hipError_tPvRmT0_T1_jT2_SQ_T4_T3_P12ihipStream_tbEUlT_E_NS1_11comp_targetILNS1_3genE4ELNS1_11target_archE910ELNS1_3gpuE8ELNS1_3repE0EEENS1_30default_config_static_selectorELNS0_4arch9wavefront6targetE1EEEvSP_.num_vgpr, 0
	.set _ZN7rocprim17ROCPRIM_400000_NS6detail17trampoline_kernelINS0_14default_configENS1_32segmented_reduce_config_selectorIfEEZNS1_21segmented_reduce_implIS3_PKfPfPKlfN6hipcub16HIPCUB_304000_NS6detail27convert_result_type_wrapperIS8_S9_N2at6native12_GLOBAL__N_19CustomMinEEEEE10hipError_tPvRmT0_T1_jT2_SQ_T4_T3_P12ihipStream_tbEUlT_E_NS1_11comp_targetILNS1_3genE4ELNS1_11target_archE910ELNS1_3gpuE8ELNS1_3repE0EEENS1_30default_config_static_selectorELNS0_4arch9wavefront6targetE1EEEvSP_.num_agpr, 0
	.set _ZN7rocprim17ROCPRIM_400000_NS6detail17trampoline_kernelINS0_14default_configENS1_32segmented_reduce_config_selectorIfEEZNS1_21segmented_reduce_implIS3_PKfPfPKlfN6hipcub16HIPCUB_304000_NS6detail27convert_result_type_wrapperIS8_S9_N2at6native12_GLOBAL__N_19CustomMinEEEEE10hipError_tPvRmT0_T1_jT2_SQ_T4_T3_P12ihipStream_tbEUlT_E_NS1_11comp_targetILNS1_3genE4ELNS1_11target_archE910ELNS1_3gpuE8ELNS1_3repE0EEENS1_30default_config_static_selectorELNS0_4arch9wavefront6targetE1EEEvSP_.numbered_sgpr, 0
	.set _ZN7rocprim17ROCPRIM_400000_NS6detail17trampoline_kernelINS0_14default_configENS1_32segmented_reduce_config_selectorIfEEZNS1_21segmented_reduce_implIS3_PKfPfPKlfN6hipcub16HIPCUB_304000_NS6detail27convert_result_type_wrapperIS8_S9_N2at6native12_GLOBAL__N_19CustomMinEEEEE10hipError_tPvRmT0_T1_jT2_SQ_T4_T3_P12ihipStream_tbEUlT_E_NS1_11comp_targetILNS1_3genE4ELNS1_11target_archE910ELNS1_3gpuE8ELNS1_3repE0EEENS1_30default_config_static_selectorELNS0_4arch9wavefront6targetE1EEEvSP_.num_named_barrier, 0
	.set _ZN7rocprim17ROCPRIM_400000_NS6detail17trampoline_kernelINS0_14default_configENS1_32segmented_reduce_config_selectorIfEEZNS1_21segmented_reduce_implIS3_PKfPfPKlfN6hipcub16HIPCUB_304000_NS6detail27convert_result_type_wrapperIS8_S9_N2at6native12_GLOBAL__N_19CustomMinEEEEE10hipError_tPvRmT0_T1_jT2_SQ_T4_T3_P12ihipStream_tbEUlT_E_NS1_11comp_targetILNS1_3genE4ELNS1_11target_archE910ELNS1_3gpuE8ELNS1_3repE0EEENS1_30default_config_static_selectorELNS0_4arch9wavefront6targetE1EEEvSP_.private_seg_size, 0
	.set _ZN7rocprim17ROCPRIM_400000_NS6detail17trampoline_kernelINS0_14default_configENS1_32segmented_reduce_config_selectorIfEEZNS1_21segmented_reduce_implIS3_PKfPfPKlfN6hipcub16HIPCUB_304000_NS6detail27convert_result_type_wrapperIS8_S9_N2at6native12_GLOBAL__N_19CustomMinEEEEE10hipError_tPvRmT0_T1_jT2_SQ_T4_T3_P12ihipStream_tbEUlT_E_NS1_11comp_targetILNS1_3genE4ELNS1_11target_archE910ELNS1_3gpuE8ELNS1_3repE0EEENS1_30default_config_static_selectorELNS0_4arch9wavefront6targetE1EEEvSP_.uses_vcc, 0
	.set _ZN7rocprim17ROCPRIM_400000_NS6detail17trampoline_kernelINS0_14default_configENS1_32segmented_reduce_config_selectorIfEEZNS1_21segmented_reduce_implIS3_PKfPfPKlfN6hipcub16HIPCUB_304000_NS6detail27convert_result_type_wrapperIS8_S9_N2at6native12_GLOBAL__N_19CustomMinEEEEE10hipError_tPvRmT0_T1_jT2_SQ_T4_T3_P12ihipStream_tbEUlT_E_NS1_11comp_targetILNS1_3genE4ELNS1_11target_archE910ELNS1_3gpuE8ELNS1_3repE0EEENS1_30default_config_static_selectorELNS0_4arch9wavefront6targetE1EEEvSP_.uses_flat_scratch, 0
	.set _ZN7rocprim17ROCPRIM_400000_NS6detail17trampoline_kernelINS0_14default_configENS1_32segmented_reduce_config_selectorIfEEZNS1_21segmented_reduce_implIS3_PKfPfPKlfN6hipcub16HIPCUB_304000_NS6detail27convert_result_type_wrapperIS8_S9_N2at6native12_GLOBAL__N_19CustomMinEEEEE10hipError_tPvRmT0_T1_jT2_SQ_T4_T3_P12ihipStream_tbEUlT_E_NS1_11comp_targetILNS1_3genE4ELNS1_11target_archE910ELNS1_3gpuE8ELNS1_3repE0EEENS1_30default_config_static_selectorELNS0_4arch9wavefront6targetE1EEEvSP_.has_dyn_sized_stack, 0
	.set _ZN7rocprim17ROCPRIM_400000_NS6detail17trampoline_kernelINS0_14default_configENS1_32segmented_reduce_config_selectorIfEEZNS1_21segmented_reduce_implIS3_PKfPfPKlfN6hipcub16HIPCUB_304000_NS6detail27convert_result_type_wrapperIS8_S9_N2at6native12_GLOBAL__N_19CustomMinEEEEE10hipError_tPvRmT0_T1_jT2_SQ_T4_T3_P12ihipStream_tbEUlT_E_NS1_11comp_targetILNS1_3genE4ELNS1_11target_archE910ELNS1_3gpuE8ELNS1_3repE0EEENS1_30default_config_static_selectorELNS0_4arch9wavefront6targetE1EEEvSP_.has_recursion, 0
	.set _ZN7rocprim17ROCPRIM_400000_NS6detail17trampoline_kernelINS0_14default_configENS1_32segmented_reduce_config_selectorIfEEZNS1_21segmented_reduce_implIS3_PKfPfPKlfN6hipcub16HIPCUB_304000_NS6detail27convert_result_type_wrapperIS8_S9_N2at6native12_GLOBAL__N_19CustomMinEEEEE10hipError_tPvRmT0_T1_jT2_SQ_T4_T3_P12ihipStream_tbEUlT_E_NS1_11comp_targetILNS1_3genE4ELNS1_11target_archE910ELNS1_3gpuE8ELNS1_3repE0EEENS1_30default_config_static_selectorELNS0_4arch9wavefront6targetE1EEEvSP_.has_indirect_call, 0
	.section	.AMDGPU.csdata,"",@progbits
; Kernel info:
; codeLenInByte = 0
; TotalNumSgprs: 4
; NumVgprs: 0
; ScratchSize: 0
; MemoryBound: 0
; FloatMode: 240
; IeeeMode: 1
; LDSByteSize: 0 bytes/workgroup (compile time only)
; SGPRBlocks: 0
; VGPRBlocks: 0
; NumSGPRsForWavesPerEU: 4
; NumVGPRsForWavesPerEU: 1
; Occupancy: 10
; WaveLimiterHint : 0
; COMPUTE_PGM_RSRC2:SCRATCH_EN: 0
; COMPUTE_PGM_RSRC2:USER_SGPR: 6
; COMPUTE_PGM_RSRC2:TRAP_HANDLER: 0
; COMPUTE_PGM_RSRC2:TGID_X_EN: 1
; COMPUTE_PGM_RSRC2:TGID_Y_EN: 0
; COMPUTE_PGM_RSRC2:TGID_Z_EN: 0
; COMPUTE_PGM_RSRC2:TIDIG_COMP_CNT: 0
	.section	.text._ZN7rocprim17ROCPRIM_400000_NS6detail17trampoline_kernelINS0_14default_configENS1_32segmented_reduce_config_selectorIfEEZNS1_21segmented_reduce_implIS3_PKfPfPKlfN6hipcub16HIPCUB_304000_NS6detail27convert_result_type_wrapperIS8_S9_N2at6native12_GLOBAL__N_19CustomMinEEEEE10hipError_tPvRmT0_T1_jT2_SQ_T4_T3_P12ihipStream_tbEUlT_E_NS1_11comp_targetILNS1_3genE3ELNS1_11target_archE908ELNS1_3gpuE7ELNS1_3repE0EEENS1_30default_config_static_selectorELNS0_4arch9wavefront6targetE1EEEvSP_,"axG",@progbits,_ZN7rocprim17ROCPRIM_400000_NS6detail17trampoline_kernelINS0_14default_configENS1_32segmented_reduce_config_selectorIfEEZNS1_21segmented_reduce_implIS3_PKfPfPKlfN6hipcub16HIPCUB_304000_NS6detail27convert_result_type_wrapperIS8_S9_N2at6native12_GLOBAL__N_19CustomMinEEEEE10hipError_tPvRmT0_T1_jT2_SQ_T4_T3_P12ihipStream_tbEUlT_E_NS1_11comp_targetILNS1_3genE3ELNS1_11target_archE908ELNS1_3gpuE7ELNS1_3repE0EEENS1_30default_config_static_selectorELNS0_4arch9wavefront6targetE1EEEvSP_,comdat
	.globl	_ZN7rocprim17ROCPRIM_400000_NS6detail17trampoline_kernelINS0_14default_configENS1_32segmented_reduce_config_selectorIfEEZNS1_21segmented_reduce_implIS3_PKfPfPKlfN6hipcub16HIPCUB_304000_NS6detail27convert_result_type_wrapperIS8_S9_N2at6native12_GLOBAL__N_19CustomMinEEEEE10hipError_tPvRmT0_T1_jT2_SQ_T4_T3_P12ihipStream_tbEUlT_E_NS1_11comp_targetILNS1_3genE3ELNS1_11target_archE908ELNS1_3gpuE7ELNS1_3repE0EEENS1_30default_config_static_selectorELNS0_4arch9wavefront6targetE1EEEvSP_ ; -- Begin function _ZN7rocprim17ROCPRIM_400000_NS6detail17trampoline_kernelINS0_14default_configENS1_32segmented_reduce_config_selectorIfEEZNS1_21segmented_reduce_implIS3_PKfPfPKlfN6hipcub16HIPCUB_304000_NS6detail27convert_result_type_wrapperIS8_S9_N2at6native12_GLOBAL__N_19CustomMinEEEEE10hipError_tPvRmT0_T1_jT2_SQ_T4_T3_P12ihipStream_tbEUlT_E_NS1_11comp_targetILNS1_3genE3ELNS1_11target_archE908ELNS1_3gpuE7ELNS1_3repE0EEENS1_30default_config_static_selectorELNS0_4arch9wavefront6targetE1EEEvSP_
	.p2align	8
	.type	_ZN7rocprim17ROCPRIM_400000_NS6detail17trampoline_kernelINS0_14default_configENS1_32segmented_reduce_config_selectorIfEEZNS1_21segmented_reduce_implIS3_PKfPfPKlfN6hipcub16HIPCUB_304000_NS6detail27convert_result_type_wrapperIS8_S9_N2at6native12_GLOBAL__N_19CustomMinEEEEE10hipError_tPvRmT0_T1_jT2_SQ_T4_T3_P12ihipStream_tbEUlT_E_NS1_11comp_targetILNS1_3genE3ELNS1_11target_archE908ELNS1_3gpuE7ELNS1_3repE0EEENS1_30default_config_static_selectorELNS0_4arch9wavefront6targetE1EEEvSP_,@function
_ZN7rocprim17ROCPRIM_400000_NS6detail17trampoline_kernelINS0_14default_configENS1_32segmented_reduce_config_selectorIfEEZNS1_21segmented_reduce_implIS3_PKfPfPKlfN6hipcub16HIPCUB_304000_NS6detail27convert_result_type_wrapperIS8_S9_N2at6native12_GLOBAL__N_19CustomMinEEEEE10hipError_tPvRmT0_T1_jT2_SQ_T4_T3_P12ihipStream_tbEUlT_E_NS1_11comp_targetILNS1_3genE3ELNS1_11target_archE908ELNS1_3gpuE7ELNS1_3repE0EEENS1_30default_config_static_selectorELNS0_4arch9wavefront6targetE1EEEvSP_: ; @_ZN7rocprim17ROCPRIM_400000_NS6detail17trampoline_kernelINS0_14default_configENS1_32segmented_reduce_config_selectorIfEEZNS1_21segmented_reduce_implIS3_PKfPfPKlfN6hipcub16HIPCUB_304000_NS6detail27convert_result_type_wrapperIS8_S9_N2at6native12_GLOBAL__N_19CustomMinEEEEE10hipError_tPvRmT0_T1_jT2_SQ_T4_T3_P12ihipStream_tbEUlT_E_NS1_11comp_targetILNS1_3genE3ELNS1_11target_archE908ELNS1_3gpuE7ELNS1_3repE0EEENS1_30default_config_static_selectorELNS0_4arch9wavefront6targetE1EEEvSP_
; %bb.0:
	.section	.rodata,"a",@progbits
	.p2align	6, 0x0
	.amdhsa_kernel _ZN7rocprim17ROCPRIM_400000_NS6detail17trampoline_kernelINS0_14default_configENS1_32segmented_reduce_config_selectorIfEEZNS1_21segmented_reduce_implIS3_PKfPfPKlfN6hipcub16HIPCUB_304000_NS6detail27convert_result_type_wrapperIS8_S9_N2at6native12_GLOBAL__N_19CustomMinEEEEE10hipError_tPvRmT0_T1_jT2_SQ_T4_T3_P12ihipStream_tbEUlT_E_NS1_11comp_targetILNS1_3genE3ELNS1_11target_archE908ELNS1_3gpuE7ELNS1_3repE0EEENS1_30default_config_static_selectorELNS0_4arch9wavefront6targetE1EEEvSP_
		.amdhsa_group_segment_fixed_size 0
		.amdhsa_private_segment_fixed_size 0
		.amdhsa_kernarg_size 48
		.amdhsa_user_sgpr_count 6
		.amdhsa_user_sgpr_private_segment_buffer 1
		.amdhsa_user_sgpr_dispatch_ptr 0
		.amdhsa_user_sgpr_queue_ptr 0
		.amdhsa_user_sgpr_kernarg_segment_ptr 1
		.amdhsa_user_sgpr_dispatch_id 0
		.amdhsa_user_sgpr_flat_scratch_init 0
		.amdhsa_user_sgpr_private_segment_size 0
		.amdhsa_uses_dynamic_stack 0
		.amdhsa_system_sgpr_private_segment_wavefront_offset 0
		.amdhsa_system_sgpr_workgroup_id_x 1
		.amdhsa_system_sgpr_workgroup_id_y 0
		.amdhsa_system_sgpr_workgroup_id_z 0
		.amdhsa_system_sgpr_workgroup_info 0
		.amdhsa_system_vgpr_workitem_id 0
		.amdhsa_next_free_vgpr 1
		.amdhsa_next_free_sgpr 0
		.amdhsa_reserve_vcc 0
		.amdhsa_reserve_flat_scratch 0
		.amdhsa_float_round_mode_32 0
		.amdhsa_float_round_mode_16_64 0
		.amdhsa_float_denorm_mode_32 3
		.amdhsa_float_denorm_mode_16_64 3
		.amdhsa_dx10_clamp 1
		.amdhsa_ieee_mode 1
		.amdhsa_fp16_overflow 0
		.amdhsa_exception_fp_ieee_invalid_op 0
		.amdhsa_exception_fp_denorm_src 0
		.amdhsa_exception_fp_ieee_div_zero 0
		.amdhsa_exception_fp_ieee_overflow 0
		.amdhsa_exception_fp_ieee_underflow 0
		.amdhsa_exception_fp_ieee_inexact 0
		.amdhsa_exception_int_div_zero 0
	.end_amdhsa_kernel
	.section	.text._ZN7rocprim17ROCPRIM_400000_NS6detail17trampoline_kernelINS0_14default_configENS1_32segmented_reduce_config_selectorIfEEZNS1_21segmented_reduce_implIS3_PKfPfPKlfN6hipcub16HIPCUB_304000_NS6detail27convert_result_type_wrapperIS8_S9_N2at6native12_GLOBAL__N_19CustomMinEEEEE10hipError_tPvRmT0_T1_jT2_SQ_T4_T3_P12ihipStream_tbEUlT_E_NS1_11comp_targetILNS1_3genE3ELNS1_11target_archE908ELNS1_3gpuE7ELNS1_3repE0EEENS1_30default_config_static_selectorELNS0_4arch9wavefront6targetE1EEEvSP_,"axG",@progbits,_ZN7rocprim17ROCPRIM_400000_NS6detail17trampoline_kernelINS0_14default_configENS1_32segmented_reduce_config_selectorIfEEZNS1_21segmented_reduce_implIS3_PKfPfPKlfN6hipcub16HIPCUB_304000_NS6detail27convert_result_type_wrapperIS8_S9_N2at6native12_GLOBAL__N_19CustomMinEEEEE10hipError_tPvRmT0_T1_jT2_SQ_T4_T3_P12ihipStream_tbEUlT_E_NS1_11comp_targetILNS1_3genE3ELNS1_11target_archE908ELNS1_3gpuE7ELNS1_3repE0EEENS1_30default_config_static_selectorELNS0_4arch9wavefront6targetE1EEEvSP_,comdat
.Lfunc_end200:
	.size	_ZN7rocprim17ROCPRIM_400000_NS6detail17trampoline_kernelINS0_14default_configENS1_32segmented_reduce_config_selectorIfEEZNS1_21segmented_reduce_implIS3_PKfPfPKlfN6hipcub16HIPCUB_304000_NS6detail27convert_result_type_wrapperIS8_S9_N2at6native12_GLOBAL__N_19CustomMinEEEEE10hipError_tPvRmT0_T1_jT2_SQ_T4_T3_P12ihipStream_tbEUlT_E_NS1_11comp_targetILNS1_3genE3ELNS1_11target_archE908ELNS1_3gpuE7ELNS1_3repE0EEENS1_30default_config_static_selectorELNS0_4arch9wavefront6targetE1EEEvSP_, .Lfunc_end200-_ZN7rocprim17ROCPRIM_400000_NS6detail17trampoline_kernelINS0_14default_configENS1_32segmented_reduce_config_selectorIfEEZNS1_21segmented_reduce_implIS3_PKfPfPKlfN6hipcub16HIPCUB_304000_NS6detail27convert_result_type_wrapperIS8_S9_N2at6native12_GLOBAL__N_19CustomMinEEEEE10hipError_tPvRmT0_T1_jT2_SQ_T4_T3_P12ihipStream_tbEUlT_E_NS1_11comp_targetILNS1_3genE3ELNS1_11target_archE908ELNS1_3gpuE7ELNS1_3repE0EEENS1_30default_config_static_selectorELNS0_4arch9wavefront6targetE1EEEvSP_
                                        ; -- End function
	.set _ZN7rocprim17ROCPRIM_400000_NS6detail17trampoline_kernelINS0_14default_configENS1_32segmented_reduce_config_selectorIfEEZNS1_21segmented_reduce_implIS3_PKfPfPKlfN6hipcub16HIPCUB_304000_NS6detail27convert_result_type_wrapperIS8_S9_N2at6native12_GLOBAL__N_19CustomMinEEEEE10hipError_tPvRmT0_T1_jT2_SQ_T4_T3_P12ihipStream_tbEUlT_E_NS1_11comp_targetILNS1_3genE3ELNS1_11target_archE908ELNS1_3gpuE7ELNS1_3repE0EEENS1_30default_config_static_selectorELNS0_4arch9wavefront6targetE1EEEvSP_.num_vgpr, 0
	.set _ZN7rocprim17ROCPRIM_400000_NS6detail17trampoline_kernelINS0_14default_configENS1_32segmented_reduce_config_selectorIfEEZNS1_21segmented_reduce_implIS3_PKfPfPKlfN6hipcub16HIPCUB_304000_NS6detail27convert_result_type_wrapperIS8_S9_N2at6native12_GLOBAL__N_19CustomMinEEEEE10hipError_tPvRmT0_T1_jT2_SQ_T4_T3_P12ihipStream_tbEUlT_E_NS1_11comp_targetILNS1_3genE3ELNS1_11target_archE908ELNS1_3gpuE7ELNS1_3repE0EEENS1_30default_config_static_selectorELNS0_4arch9wavefront6targetE1EEEvSP_.num_agpr, 0
	.set _ZN7rocprim17ROCPRIM_400000_NS6detail17trampoline_kernelINS0_14default_configENS1_32segmented_reduce_config_selectorIfEEZNS1_21segmented_reduce_implIS3_PKfPfPKlfN6hipcub16HIPCUB_304000_NS6detail27convert_result_type_wrapperIS8_S9_N2at6native12_GLOBAL__N_19CustomMinEEEEE10hipError_tPvRmT0_T1_jT2_SQ_T4_T3_P12ihipStream_tbEUlT_E_NS1_11comp_targetILNS1_3genE3ELNS1_11target_archE908ELNS1_3gpuE7ELNS1_3repE0EEENS1_30default_config_static_selectorELNS0_4arch9wavefront6targetE1EEEvSP_.numbered_sgpr, 0
	.set _ZN7rocprim17ROCPRIM_400000_NS6detail17trampoline_kernelINS0_14default_configENS1_32segmented_reduce_config_selectorIfEEZNS1_21segmented_reduce_implIS3_PKfPfPKlfN6hipcub16HIPCUB_304000_NS6detail27convert_result_type_wrapperIS8_S9_N2at6native12_GLOBAL__N_19CustomMinEEEEE10hipError_tPvRmT0_T1_jT2_SQ_T4_T3_P12ihipStream_tbEUlT_E_NS1_11comp_targetILNS1_3genE3ELNS1_11target_archE908ELNS1_3gpuE7ELNS1_3repE0EEENS1_30default_config_static_selectorELNS0_4arch9wavefront6targetE1EEEvSP_.num_named_barrier, 0
	.set _ZN7rocprim17ROCPRIM_400000_NS6detail17trampoline_kernelINS0_14default_configENS1_32segmented_reduce_config_selectorIfEEZNS1_21segmented_reduce_implIS3_PKfPfPKlfN6hipcub16HIPCUB_304000_NS6detail27convert_result_type_wrapperIS8_S9_N2at6native12_GLOBAL__N_19CustomMinEEEEE10hipError_tPvRmT0_T1_jT2_SQ_T4_T3_P12ihipStream_tbEUlT_E_NS1_11comp_targetILNS1_3genE3ELNS1_11target_archE908ELNS1_3gpuE7ELNS1_3repE0EEENS1_30default_config_static_selectorELNS0_4arch9wavefront6targetE1EEEvSP_.private_seg_size, 0
	.set _ZN7rocprim17ROCPRIM_400000_NS6detail17trampoline_kernelINS0_14default_configENS1_32segmented_reduce_config_selectorIfEEZNS1_21segmented_reduce_implIS3_PKfPfPKlfN6hipcub16HIPCUB_304000_NS6detail27convert_result_type_wrapperIS8_S9_N2at6native12_GLOBAL__N_19CustomMinEEEEE10hipError_tPvRmT0_T1_jT2_SQ_T4_T3_P12ihipStream_tbEUlT_E_NS1_11comp_targetILNS1_3genE3ELNS1_11target_archE908ELNS1_3gpuE7ELNS1_3repE0EEENS1_30default_config_static_selectorELNS0_4arch9wavefront6targetE1EEEvSP_.uses_vcc, 0
	.set _ZN7rocprim17ROCPRIM_400000_NS6detail17trampoline_kernelINS0_14default_configENS1_32segmented_reduce_config_selectorIfEEZNS1_21segmented_reduce_implIS3_PKfPfPKlfN6hipcub16HIPCUB_304000_NS6detail27convert_result_type_wrapperIS8_S9_N2at6native12_GLOBAL__N_19CustomMinEEEEE10hipError_tPvRmT0_T1_jT2_SQ_T4_T3_P12ihipStream_tbEUlT_E_NS1_11comp_targetILNS1_3genE3ELNS1_11target_archE908ELNS1_3gpuE7ELNS1_3repE0EEENS1_30default_config_static_selectorELNS0_4arch9wavefront6targetE1EEEvSP_.uses_flat_scratch, 0
	.set _ZN7rocprim17ROCPRIM_400000_NS6detail17trampoline_kernelINS0_14default_configENS1_32segmented_reduce_config_selectorIfEEZNS1_21segmented_reduce_implIS3_PKfPfPKlfN6hipcub16HIPCUB_304000_NS6detail27convert_result_type_wrapperIS8_S9_N2at6native12_GLOBAL__N_19CustomMinEEEEE10hipError_tPvRmT0_T1_jT2_SQ_T4_T3_P12ihipStream_tbEUlT_E_NS1_11comp_targetILNS1_3genE3ELNS1_11target_archE908ELNS1_3gpuE7ELNS1_3repE0EEENS1_30default_config_static_selectorELNS0_4arch9wavefront6targetE1EEEvSP_.has_dyn_sized_stack, 0
	.set _ZN7rocprim17ROCPRIM_400000_NS6detail17trampoline_kernelINS0_14default_configENS1_32segmented_reduce_config_selectorIfEEZNS1_21segmented_reduce_implIS3_PKfPfPKlfN6hipcub16HIPCUB_304000_NS6detail27convert_result_type_wrapperIS8_S9_N2at6native12_GLOBAL__N_19CustomMinEEEEE10hipError_tPvRmT0_T1_jT2_SQ_T4_T3_P12ihipStream_tbEUlT_E_NS1_11comp_targetILNS1_3genE3ELNS1_11target_archE908ELNS1_3gpuE7ELNS1_3repE0EEENS1_30default_config_static_selectorELNS0_4arch9wavefront6targetE1EEEvSP_.has_recursion, 0
	.set _ZN7rocprim17ROCPRIM_400000_NS6detail17trampoline_kernelINS0_14default_configENS1_32segmented_reduce_config_selectorIfEEZNS1_21segmented_reduce_implIS3_PKfPfPKlfN6hipcub16HIPCUB_304000_NS6detail27convert_result_type_wrapperIS8_S9_N2at6native12_GLOBAL__N_19CustomMinEEEEE10hipError_tPvRmT0_T1_jT2_SQ_T4_T3_P12ihipStream_tbEUlT_E_NS1_11comp_targetILNS1_3genE3ELNS1_11target_archE908ELNS1_3gpuE7ELNS1_3repE0EEENS1_30default_config_static_selectorELNS0_4arch9wavefront6targetE1EEEvSP_.has_indirect_call, 0
	.section	.AMDGPU.csdata,"",@progbits
; Kernel info:
; codeLenInByte = 0
; TotalNumSgprs: 4
; NumVgprs: 0
; ScratchSize: 0
; MemoryBound: 0
; FloatMode: 240
; IeeeMode: 1
; LDSByteSize: 0 bytes/workgroup (compile time only)
; SGPRBlocks: 0
; VGPRBlocks: 0
; NumSGPRsForWavesPerEU: 4
; NumVGPRsForWavesPerEU: 1
; Occupancy: 10
; WaveLimiterHint : 0
; COMPUTE_PGM_RSRC2:SCRATCH_EN: 0
; COMPUTE_PGM_RSRC2:USER_SGPR: 6
; COMPUTE_PGM_RSRC2:TRAP_HANDLER: 0
; COMPUTE_PGM_RSRC2:TGID_X_EN: 1
; COMPUTE_PGM_RSRC2:TGID_Y_EN: 0
; COMPUTE_PGM_RSRC2:TGID_Z_EN: 0
; COMPUTE_PGM_RSRC2:TIDIG_COMP_CNT: 0
	.section	.text._ZN7rocprim17ROCPRIM_400000_NS6detail17trampoline_kernelINS0_14default_configENS1_32segmented_reduce_config_selectorIfEEZNS1_21segmented_reduce_implIS3_PKfPfPKlfN6hipcub16HIPCUB_304000_NS6detail27convert_result_type_wrapperIS8_S9_N2at6native12_GLOBAL__N_19CustomMinEEEEE10hipError_tPvRmT0_T1_jT2_SQ_T4_T3_P12ihipStream_tbEUlT_E_NS1_11comp_targetILNS1_3genE2ELNS1_11target_archE906ELNS1_3gpuE6ELNS1_3repE0EEENS1_30default_config_static_selectorELNS0_4arch9wavefront6targetE1EEEvSP_,"axG",@progbits,_ZN7rocprim17ROCPRIM_400000_NS6detail17trampoline_kernelINS0_14default_configENS1_32segmented_reduce_config_selectorIfEEZNS1_21segmented_reduce_implIS3_PKfPfPKlfN6hipcub16HIPCUB_304000_NS6detail27convert_result_type_wrapperIS8_S9_N2at6native12_GLOBAL__N_19CustomMinEEEEE10hipError_tPvRmT0_T1_jT2_SQ_T4_T3_P12ihipStream_tbEUlT_E_NS1_11comp_targetILNS1_3genE2ELNS1_11target_archE906ELNS1_3gpuE6ELNS1_3repE0EEENS1_30default_config_static_selectorELNS0_4arch9wavefront6targetE1EEEvSP_,comdat
	.globl	_ZN7rocprim17ROCPRIM_400000_NS6detail17trampoline_kernelINS0_14default_configENS1_32segmented_reduce_config_selectorIfEEZNS1_21segmented_reduce_implIS3_PKfPfPKlfN6hipcub16HIPCUB_304000_NS6detail27convert_result_type_wrapperIS8_S9_N2at6native12_GLOBAL__N_19CustomMinEEEEE10hipError_tPvRmT0_T1_jT2_SQ_T4_T3_P12ihipStream_tbEUlT_E_NS1_11comp_targetILNS1_3genE2ELNS1_11target_archE906ELNS1_3gpuE6ELNS1_3repE0EEENS1_30default_config_static_selectorELNS0_4arch9wavefront6targetE1EEEvSP_ ; -- Begin function _ZN7rocprim17ROCPRIM_400000_NS6detail17trampoline_kernelINS0_14default_configENS1_32segmented_reduce_config_selectorIfEEZNS1_21segmented_reduce_implIS3_PKfPfPKlfN6hipcub16HIPCUB_304000_NS6detail27convert_result_type_wrapperIS8_S9_N2at6native12_GLOBAL__N_19CustomMinEEEEE10hipError_tPvRmT0_T1_jT2_SQ_T4_T3_P12ihipStream_tbEUlT_E_NS1_11comp_targetILNS1_3genE2ELNS1_11target_archE906ELNS1_3gpuE6ELNS1_3repE0EEENS1_30default_config_static_selectorELNS0_4arch9wavefront6targetE1EEEvSP_
	.p2align	8
	.type	_ZN7rocprim17ROCPRIM_400000_NS6detail17trampoline_kernelINS0_14default_configENS1_32segmented_reduce_config_selectorIfEEZNS1_21segmented_reduce_implIS3_PKfPfPKlfN6hipcub16HIPCUB_304000_NS6detail27convert_result_type_wrapperIS8_S9_N2at6native12_GLOBAL__N_19CustomMinEEEEE10hipError_tPvRmT0_T1_jT2_SQ_T4_T3_P12ihipStream_tbEUlT_E_NS1_11comp_targetILNS1_3genE2ELNS1_11target_archE906ELNS1_3gpuE6ELNS1_3repE0EEENS1_30default_config_static_selectorELNS0_4arch9wavefront6targetE1EEEvSP_,@function
_ZN7rocprim17ROCPRIM_400000_NS6detail17trampoline_kernelINS0_14default_configENS1_32segmented_reduce_config_selectorIfEEZNS1_21segmented_reduce_implIS3_PKfPfPKlfN6hipcub16HIPCUB_304000_NS6detail27convert_result_type_wrapperIS8_S9_N2at6native12_GLOBAL__N_19CustomMinEEEEE10hipError_tPvRmT0_T1_jT2_SQ_T4_T3_P12ihipStream_tbEUlT_E_NS1_11comp_targetILNS1_3genE2ELNS1_11target_archE906ELNS1_3gpuE6ELNS1_3repE0EEENS1_30default_config_static_selectorELNS0_4arch9wavefront6targetE1EEEvSP_: ; @_ZN7rocprim17ROCPRIM_400000_NS6detail17trampoline_kernelINS0_14default_configENS1_32segmented_reduce_config_selectorIfEEZNS1_21segmented_reduce_implIS3_PKfPfPKlfN6hipcub16HIPCUB_304000_NS6detail27convert_result_type_wrapperIS8_S9_N2at6native12_GLOBAL__N_19CustomMinEEEEE10hipError_tPvRmT0_T1_jT2_SQ_T4_T3_P12ihipStream_tbEUlT_E_NS1_11comp_targetILNS1_3genE2ELNS1_11target_archE906ELNS1_3gpuE6ELNS1_3repE0EEENS1_30default_config_static_selectorELNS0_4arch9wavefront6targetE1EEEvSP_
; %bb.0:
	s_load_dwordx8 s[8:15], s[4:5], 0x0
	s_load_dwordx2 s[0:1], s[4:5], 0x20
	s_load_dword s22, s[4:5], 0x2c
	s_mov_b32 s7, 0
	s_waitcnt lgkmcnt(0)
	s_lshl_b64 s[2:3], s[12:13], 3
	s_add_u32 s4, s14, s2
	s_addc_u32 s5, s15, s3
	s_add_u32 s16, s0, s2
	s_addc_u32 s17, s1, s3
	s_lshl_b64 s[0:1], s[6:7], 3
	s_add_u32 s2, s4, s0
	s_addc_u32 s3, s5, s1
	s_load_dwordx2 s[14:15], s[2:3], 0x0
	s_add_u32 s0, s16, s0
	s_addc_u32 s1, s17, s1
	s_load_dwordx2 s[4:5], s[0:1], 0x0
	v_cmp_eq_u32_e64 s[0:1], 0, v0
	s_waitcnt lgkmcnt(0)
	v_mov_b32_e32 v1, s14
	v_mov_b32_e32 v2, s15
	v_cmp_gt_i64_e32 vcc, s[4:5], v[1:2]
	s_cbranch_vccnz .LBB201_3
; %bb.1:
	s_and_b64 s[2:3], s[0:1], exec
	s_cbranch_execz .LBB201_4
; %bb.2:
	v_mov_b32_e32 v1, s22
	s_and_saveexec_b64 s[0:1], s[2:3]
	s_cbranch_execnz .LBB201_373
	s_branch .LBB201_374
.LBB201_3:
	s_mov_b64 s[2:3], 0
.LBB201_4:
	s_add_u32 s0, s14, 0x1000
	v_mov_b32_e32 v1, s4
	s_addc_u32 s1, s15, 0
	v_mov_b32_e32 v2, s5
	v_cmp_le_i64_e32 vcc, s[0:1], v[1:2]
	s_cbranch_vccz .LBB201_20
; %bb.5:
	s_lshl_b64 s[16:17], s[14:15], 2
	s_add_u32 s18, s8, s16
	s_addc_u32 s19, s9, s17
	v_lshlrev_b32_e32 v20, 2, v0
	v_mov_b32_e32 v1, s19
	v_add_co_u32_e32 v3, vcc, s18, v20
	v_addc_co_u32_e32 v4, vcc, 0, v1, vcc
	v_add_co_u32_e32 v1, vcc, 0x1000, v3
	v_addc_co_u32_e32 v2, vcc, 0, v4, vcc
	global_load_dword v19, v20, s[18:19]
	global_load_dword v18, v20, s[18:19] offset:1024
	global_load_dword v17, v20, s[18:19] offset:2048
	;; [unrolled: 1-line block ×3, first 2 shown]
	global_load_dword v15, v[1:2], off
	global_load_dword v14, v[1:2], off offset:1024
	global_load_dword v13, v[1:2], off offset:2048
	;; [unrolled: 1-line block ×3, first 2 shown]
	v_add_co_u32_e32 v1, vcc, 0x2000, v3
	v_addc_co_u32_e32 v2, vcc, 0, v4, vcc
	v_add_co_u32_e32 v21, vcc, 0x3000, v3
	v_addc_co_u32_e32 v22, vcc, 0, v4, vcc
	global_load_dword v11, v[1:2], off
	global_load_dword v10, v[1:2], off offset:1024
	global_load_dword v8, v[1:2], off offset:2048
	;; [unrolled: 1-line block ×3, first 2 shown]
	global_load_dword v6, v[21:22], off
	global_load_dword v5, v[21:22], off offset:1024
	global_load_dword v4, v[21:22], off offset:2048
	;; [unrolled: 1-line block ×3, first 2 shown]
	s_waitcnt vmcnt(15)
	v_cmp_o_f32_e32 vcc, v19, v19
	v_mov_b32_e32 v9, v19
	s_and_saveexec_b64 s[18:19], vcc
	s_cbranch_execnz .LBB201_21
; %bb.6:
	s_or_b64 exec, exec, s[18:19]
	v_cmp_o_f32_e32 vcc, v9, v9
	s_and_saveexec_b64 s[18:19], vcc
	s_cbranch_execnz .LBB201_24
.LBB201_7:
	s_or_b64 exec, exec, s[18:19]
	v_cmp_o_f32_e32 vcc, v9, v9
	s_and_saveexec_b64 s[18:19], vcc
	s_cbranch_execnz .LBB201_27
.LBB201_8:
	s_or_b64 exec, exec, s[18:19]
	v_cmp_o_f32_e32 vcc, v9, v9
	s_and_saveexec_b64 s[18:19], vcc
	s_cbranch_execnz .LBB201_30
.LBB201_9:
	s_or_b64 exec, exec, s[18:19]
	v_cmp_o_f32_e32 vcc, v9, v9
	s_and_saveexec_b64 s[18:19], vcc
	s_cbranch_execnz .LBB201_33
.LBB201_10:
	s_or_b64 exec, exec, s[18:19]
	v_cmp_o_f32_e32 vcc, v9, v9
	s_and_saveexec_b64 s[18:19], vcc
	s_cbranch_execnz .LBB201_36
.LBB201_11:
	s_or_b64 exec, exec, s[18:19]
	v_cmp_o_f32_e32 vcc, v9, v9
	s_and_saveexec_b64 s[18:19], vcc
	s_cbranch_execnz .LBB201_39
.LBB201_12:
	s_or_b64 exec, exec, s[18:19]
	v_cmp_o_f32_e32 vcc, v9, v9
	s_and_saveexec_b64 s[18:19], vcc
	s_cbranch_execnz .LBB201_42
.LBB201_13:
	s_or_b64 exec, exec, s[18:19]
	v_cmp_o_f32_e32 vcc, v9, v9
	s_and_saveexec_b64 s[18:19], vcc
	s_cbranch_execnz .LBB201_45
.LBB201_14:
	s_or_b64 exec, exec, s[18:19]
	v_cmp_o_f32_e32 vcc, v9, v9
	s_and_saveexec_b64 s[18:19], vcc
	s_cbranch_execnz .LBB201_48
.LBB201_15:
	s_or_b64 exec, exec, s[18:19]
	v_cmp_o_f32_e32 vcc, v9, v9
	s_and_saveexec_b64 s[18:19], vcc
	s_cbranch_execnz .LBB201_51
.LBB201_16:
	s_or_b64 exec, exec, s[18:19]
	v_cmp_o_f32_e32 vcc, v9, v9
	s_and_saveexec_b64 s[18:19], vcc
	s_cbranch_execnz .LBB201_54
.LBB201_17:
	s_or_b64 exec, exec, s[18:19]
	v_cmp_o_f32_e32 vcc, v9, v9
	s_and_saveexec_b64 s[18:19], vcc
	s_cbranch_execnz .LBB201_57
.LBB201_18:
	s_or_b64 exec, exec, s[18:19]
	v_cmp_o_f32_e32 vcc, v9, v9
	s_and_saveexec_b64 s[18:19], vcc
	s_cbranch_execnz .LBB201_60
.LBB201_19:
	s_or_b64 exec, exec, s[18:19]
	v_cmp_o_f32_e32 vcc, v9, v9
	s_and_saveexec_b64 s[18:19], vcc
	s_cbranch_execnz .LBB201_63
	s_branch .LBB201_66
.LBB201_20:
                                        ; implicit-def: $vgpr3
	s_cbranch_execnz .LBB201_268
	s_branch .LBB201_366
.LBB201_21:
	s_waitcnt vmcnt(14)
	v_cmp_o_f32_e32 vcc, v18, v18
	v_mov_b32_e32 v9, v18
	s_and_saveexec_b64 s[20:21], vcc
; %bb.22:
	v_cmp_lt_f32_e32 vcc, v18, v19
	v_cndmask_b32_e32 v9, v19, v18, vcc
; %bb.23:
	s_or_b64 exec, exec, s[20:21]
	s_or_b64 exec, exec, s[18:19]
	v_cmp_o_f32_e32 vcc, v9, v9
	s_and_saveexec_b64 s[18:19], vcc
	s_cbranch_execz .LBB201_7
.LBB201_24:
	s_waitcnt vmcnt(13)
	v_cmp_o_f32_e32 vcc, v17, v17
	v_mov_b32_e32 v1, v17
	s_and_saveexec_b64 s[20:21], vcc
; %bb.25:
	v_cmp_lt_f32_e32 vcc, v17, v9
	v_cndmask_b32_e32 v1, v9, v17, vcc
; %bb.26:
	s_or_b64 exec, exec, s[20:21]
	v_mov_b32_e32 v9, v1
	s_or_b64 exec, exec, s[18:19]
	v_cmp_o_f32_e32 vcc, v9, v9
	s_and_saveexec_b64 s[18:19], vcc
	s_cbranch_execz .LBB201_8
.LBB201_27:
	s_waitcnt vmcnt(12)
	v_cmp_o_f32_e32 vcc, v16, v16
	v_mov_b32_e32 v1, v16
	s_and_saveexec_b64 s[20:21], vcc
; %bb.28:
	v_cmp_lt_f32_e32 vcc, v16, v9
	v_cndmask_b32_e32 v1, v9, v16, vcc
; %bb.29:
	s_or_b64 exec, exec, s[20:21]
	v_mov_b32_e32 v9, v1
	s_or_b64 exec, exec, s[18:19]
	v_cmp_o_f32_e32 vcc, v9, v9
	s_and_saveexec_b64 s[18:19], vcc
	s_cbranch_execz .LBB201_9
.LBB201_30:
	s_waitcnt vmcnt(11)
	v_cmp_o_f32_e32 vcc, v15, v15
	v_mov_b32_e32 v1, v15
	s_and_saveexec_b64 s[20:21], vcc
; %bb.31:
	v_cmp_lt_f32_e32 vcc, v15, v9
	v_cndmask_b32_e32 v1, v9, v15, vcc
; %bb.32:
	s_or_b64 exec, exec, s[20:21]
	v_mov_b32_e32 v9, v1
	s_or_b64 exec, exec, s[18:19]
	v_cmp_o_f32_e32 vcc, v9, v9
	s_and_saveexec_b64 s[18:19], vcc
	s_cbranch_execz .LBB201_10
.LBB201_33:
	s_waitcnt vmcnt(10)
	v_cmp_o_f32_e32 vcc, v14, v14
	v_mov_b32_e32 v1, v14
	s_and_saveexec_b64 s[20:21], vcc
; %bb.34:
	v_cmp_lt_f32_e32 vcc, v14, v9
	v_cndmask_b32_e32 v1, v9, v14, vcc
; %bb.35:
	s_or_b64 exec, exec, s[20:21]
	v_mov_b32_e32 v9, v1
	s_or_b64 exec, exec, s[18:19]
	v_cmp_o_f32_e32 vcc, v9, v9
	s_and_saveexec_b64 s[18:19], vcc
	s_cbranch_execz .LBB201_11
.LBB201_36:
	s_waitcnt vmcnt(9)
	v_cmp_o_f32_e32 vcc, v13, v13
	v_mov_b32_e32 v1, v13
	s_and_saveexec_b64 s[20:21], vcc
; %bb.37:
	v_cmp_lt_f32_e32 vcc, v13, v9
	v_cndmask_b32_e32 v1, v9, v13, vcc
; %bb.38:
	s_or_b64 exec, exec, s[20:21]
	v_mov_b32_e32 v9, v1
	s_or_b64 exec, exec, s[18:19]
	v_cmp_o_f32_e32 vcc, v9, v9
	s_and_saveexec_b64 s[18:19], vcc
	s_cbranch_execz .LBB201_12
.LBB201_39:
	s_waitcnt vmcnt(8)
	v_cmp_o_f32_e32 vcc, v12, v12
	v_mov_b32_e32 v1, v12
	s_and_saveexec_b64 s[20:21], vcc
; %bb.40:
	v_cmp_lt_f32_e32 vcc, v12, v9
	v_cndmask_b32_e32 v1, v9, v12, vcc
; %bb.41:
	s_or_b64 exec, exec, s[20:21]
	v_mov_b32_e32 v9, v1
	s_or_b64 exec, exec, s[18:19]
	v_cmp_o_f32_e32 vcc, v9, v9
	s_and_saveexec_b64 s[18:19], vcc
	s_cbranch_execz .LBB201_13
.LBB201_42:
	s_waitcnt vmcnt(7)
	v_cmp_o_f32_e32 vcc, v11, v11
	v_mov_b32_e32 v1, v11
	s_and_saveexec_b64 s[20:21], vcc
; %bb.43:
	v_cmp_lt_f32_e32 vcc, v11, v9
	v_cndmask_b32_e32 v1, v9, v11, vcc
; %bb.44:
	s_or_b64 exec, exec, s[20:21]
	v_mov_b32_e32 v9, v1
	s_or_b64 exec, exec, s[18:19]
	v_cmp_o_f32_e32 vcc, v9, v9
	s_and_saveexec_b64 s[18:19], vcc
	s_cbranch_execz .LBB201_14
.LBB201_45:
	s_waitcnt vmcnt(6)
	v_cmp_o_f32_e32 vcc, v10, v10
	v_mov_b32_e32 v1, v10
	s_and_saveexec_b64 s[20:21], vcc
; %bb.46:
	v_cmp_lt_f32_e32 vcc, v10, v9
	v_cndmask_b32_e32 v1, v9, v10, vcc
; %bb.47:
	s_or_b64 exec, exec, s[20:21]
	v_mov_b32_e32 v9, v1
	s_or_b64 exec, exec, s[18:19]
	v_cmp_o_f32_e32 vcc, v9, v9
	s_and_saveexec_b64 s[18:19], vcc
	s_cbranch_execz .LBB201_15
.LBB201_48:
	s_waitcnt vmcnt(5)
	v_cmp_o_f32_e32 vcc, v8, v8
	v_mov_b32_e32 v1, v8
	s_and_saveexec_b64 s[20:21], vcc
; %bb.49:
	v_cmp_lt_f32_e32 vcc, v8, v9
	v_cndmask_b32_e32 v1, v9, v8, vcc
; %bb.50:
	s_or_b64 exec, exec, s[20:21]
	v_mov_b32_e32 v9, v1
	s_or_b64 exec, exec, s[18:19]
	v_cmp_o_f32_e32 vcc, v9, v9
	s_and_saveexec_b64 s[18:19], vcc
	s_cbranch_execz .LBB201_16
.LBB201_51:
	s_waitcnt vmcnt(4)
	v_cmp_o_f32_e32 vcc, v7, v7
	v_mov_b32_e32 v1, v7
	s_and_saveexec_b64 s[20:21], vcc
; %bb.52:
	v_cmp_lt_f32_e32 vcc, v7, v9
	v_cndmask_b32_e32 v1, v9, v7, vcc
; %bb.53:
	s_or_b64 exec, exec, s[20:21]
	v_mov_b32_e32 v9, v1
	s_or_b64 exec, exec, s[18:19]
	v_cmp_o_f32_e32 vcc, v9, v9
	s_and_saveexec_b64 s[18:19], vcc
	s_cbranch_execz .LBB201_17
.LBB201_54:
	s_waitcnt vmcnt(3)
	v_cmp_o_f32_e32 vcc, v6, v6
	v_mov_b32_e32 v1, v6
	s_and_saveexec_b64 s[20:21], vcc
; %bb.55:
	v_cmp_lt_f32_e32 vcc, v6, v9
	v_cndmask_b32_e32 v1, v9, v6, vcc
; %bb.56:
	s_or_b64 exec, exec, s[20:21]
	v_mov_b32_e32 v9, v1
	s_or_b64 exec, exec, s[18:19]
	v_cmp_o_f32_e32 vcc, v9, v9
	s_and_saveexec_b64 s[18:19], vcc
	s_cbranch_execz .LBB201_18
.LBB201_57:
	s_waitcnt vmcnt(2)
	v_cmp_o_f32_e32 vcc, v5, v5
	v_mov_b32_e32 v1, v5
	s_and_saveexec_b64 s[20:21], vcc
; %bb.58:
	v_cmp_lt_f32_e32 vcc, v5, v9
	v_cndmask_b32_e32 v1, v9, v5, vcc
; %bb.59:
	s_or_b64 exec, exec, s[20:21]
	v_mov_b32_e32 v9, v1
	s_or_b64 exec, exec, s[18:19]
	v_cmp_o_f32_e32 vcc, v9, v9
	s_and_saveexec_b64 s[18:19], vcc
	s_cbranch_execz .LBB201_19
.LBB201_60:
	s_waitcnt vmcnt(1)
	v_cmp_o_f32_e32 vcc, v4, v4
	v_mov_b32_e32 v1, v4
	s_and_saveexec_b64 s[20:21], vcc
; %bb.61:
	v_cmp_lt_f32_e32 vcc, v4, v9
	v_cndmask_b32_e32 v1, v9, v4, vcc
; %bb.62:
	s_or_b64 exec, exec, s[20:21]
	v_mov_b32_e32 v9, v1
	s_or_b64 exec, exec, s[18:19]
	v_cmp_o_f32_e32 vcc, v9, v9
	s_and_saveexec_b64 s[18:19], vcc
	s_cbranch_execz .LBB201_66
.LBB201_63:
	s_waitcnt vmcnt(0)
	v_cmp_o_f32_e32 vcc, v3, v3
	v_mov_b32_e32 v1, v3
	s_and_saveexec_b64 s[20:21], vcc
; %bb.64:
	v_cmp_lt_f32_e32 vcc, v3, v9
	v_cndmask_b32_e32 v1, v9, v3, vcc
; %bb.65:
	s_or_b64 exec, exec, s[20:21]
	v_mov_b32_e32 v9, v1
.LBB201_66:
	s_or_b64 exec, exec, s[18:19]
	s_add_u32 s18, s14, 0x2000
	v_mov_b32_e32 v1, s4
	s_addc_u32 s19, s15, 0
	v_mov_b32_e32 v2, s5
	v_cmp_ge_i64_e32 vcc, s[18:19], v[1:2]
	s_cbranch_vccnz .LBB201_134
; %bb.67:
	s_add_u32 s16, s8, s16
	s_addc_u32 s17, s9, s17
	v_mov_b32_e32 v1, s17
	v_add_co_u32_e32 v2, vcc, s16, v20
	s_waitcnt vmcnt(0)
	v_addc_co_u32_e32 v3, vcc, 0, v1, vcc
	v_add_co_u32_e32 v1, vcc, 0x4000, v2
	v_addc_co_u32_e32 v2, vcc, 0, v3, vcc
.LBB201_68:                             ; =>This Inner Loop Header: Depth=1
	s_waitcnt vmcnt(0)
	v_add_co_u32_e32 v3, vcc, 0x1000, v1
	v_addc_co_u32_e32 v4, vcc, 0, v2, vcc
	v_add_co_u32_e32 v5, vcc, 0x2000, v1
	v_addc_co_u32_e32 v6, vcc, 0, v2, vcc
	v_add_co_u32_e32 v21, vcc, 0x3000, v1
	global_load_dword v15, v[3:4], off
	global_load_dword v14, v[3:4], off offset:1024
	global_load_dword v13, v[3:4], off offset:2048
	;; [unrolled: 1-line block ×3, first 2 shown]
	global_load_dword v11, v[5:6], off
	global_load_dword v10, v[5:6], off offset:1024
	global_load_dword v8, v[5:6], off offset:2048
	;; [unrolled: 1-line block ×3, first 2 shown]
	v_addc_co_u32_e32 v22, vcc, 0, v2, vcc
	global_load_dword v19, v[1:2], off
	global_load_dword v18, v[1:2], off offset:1024
	global_load_dword v17, v[1:2], off offset:2048
	;; [unrolled: 1-line block ×3, first 2 shown]
	global_load_dword v6, v[21:22], off
	global_load_dword v5, v[21:22], off offset:1024
	global_load_dword v4, v[21:22], off offset:2048
	;; [unrolled: 1-line block ×3, first 2 shown]
	v_cmp_o_f32_e32 vcc, v9, v9
	s_and_saveexec_b64 s[16:17], vcc
	s_cbranch_execnz .LBB201_84
; %bb.69:                               ;   in Loop: Header=BB201_68 Depth=1
	s_or_b64 exec, exec, s[16:17]
	v_cmp_o_f32_e32 vcc, v9, v9
	s_and_saveexec_b64 s[16:17], vcc
	s_cbranch_execnz .LBB201_87
.LBB201_70:                             ;   in Loop: Header=BB201_68 Depth=1
	s_or_b64 exec, exec, s[16:17]
	v_cmp_o_f32_e32 vcc, v9, v9
	s_and_saveexec_b64 s[16:17], vcc
	s_cbranch_execnz .LBB201_90
.LBB201_71:                             ;   in Loop: Header=BB201_68 Depth=1
	s_or_b64 exec, exec, s[16:17]
	v_cmp_o_f32_e32 vcc, v9, v9
	s_and_saveexec_b64 s[16:17], vcc
	s_cbranch_execnz .LBB201_93
.LBB201_72:                             ;   in Loop: Header=BB201_68 Depth=1
	s_or_b64 exec, exec, s[16:17]
	v_cmp_o_f32_e32 vcc, v9, v9
	s_and_saveexec_b64 s[16:17], vcc
	s_cbranch_execnz .LBB201_96
.LBB201_73:                             ;   in Loop: Header=BB201_68 Depth=1
	s_or_b64 exec, exec, s[16:17]
	v_cmp_o_f32_e32 vcc, v9, v9
	s_and_saveexec_b64 s[16:17], vcc
	s_cbranch_execnz .LBB201_99
.LBB201_74:                             ;   in Loop: Header=BB201_68 Depth=1
	s_or_b64 exec, exec, s[16:17]
	v_cmp_o_f32_e32 vcc, v9, v9
	s_and_saveexec_b64 s[16:17], vcc
	s_cbranch_execnz .LBB201_102
.LBB201_75:                             ;   in Loop: Header=BB201_68 Depth=1
	s_or_b64 exec, exec, s[16:17]
	v_cmp_o_f32_e32 vcc, v9, v9
	s_and_saveexec_b64 s[16:17], vcc
	s_cbranch_execnz .LBB201_105
.LBB201_76:                             ;   in Loop: Header=BB201_68 Depth=1
	s_or_b64 exec, exec, s[16:17]
	v_cmp_o_f32_e32 vcc, v9, v9
	s_and_saveexec_b64 s[16:17], vcc
	s_cbranch_execnz .LBB201_108
.LBB201_77:                             ;   in Loop: Header=BB201_68 Depth=1
	s_or_b64 exec, exec, s[16:17]
	v_cmp_o_f32_e32 vcc, v9, v9
	s_and_saveexec_b64 s[16:17], vcc
	s_cbranch_execnz .LBB201_111
.LBB201_78:                             ;   in Loop: Header=BB201_68 Depth=1
	s_or_b64 exec, exec, s[16:17]
	v_cmp_o_f32_e32 vcc, v9, v9
	s_and_saveexec_b64 s[16:17], vcc
	s_cbranch_execnz .LBB201_114
.LBB201_79:                             ;   in Loop: Header=BB201_68 Depth=1
	s_or_b64 exec, exec, s[16:17]
	v_cmp_o_f32_e32 vcc, v9, v9
	s_and_saveexec_b64 s[16:17], vcc
	s_cbranch_execnz .LBB201_117
.LBB201_80:                             ;   in Loop: Header=BB201_68 Depth=1
	s_or_b64 exec, exec, s[16:17]
	v_cmp_o_f32_e32 vcc, v9, v9
	s_and_saveexec_b64 s[16:17], vcc
	s_cbranch_execnz .LBB201_120
.LBB201_81:                             ;   in Loop: Header=BB201_68 Depth=1
	s_or_b64 exec, exec, s[16:17]
	v_cmp_o_f32_e32 vcc, v9, v9
	s_and_saveexec_b64 s[16:17], vcc
	s_cbranch_execnz .LBB201_123
.LBB201_82:                             ;   in Loop: Header=BB201_68 Depth=1
	s_or_b64 exec, exec, s[16:17]
	v_cmp_o_f32_e32 vcc, v9, v9
	s_and_saveexec_b64 s[16:17], vcc
	s_cbranch_execnz .LBB201_126
.LBB201_83:                             ;   in Loop: Header=BB201_68 Depth=1
	s_or_b64 exec, exec, s[16:17]
	v_cmp_o_f32_e32 vcc, v9, v9
	s_and_saveexec_b64 s[16:17], vcc
	s_cbranch_execnz .LBB201_129
	s_branch .LBB201_132
.LBB201_84:                             ;   in Loop: Header=BB201_68 Depth=1
	s_waitcnt vmcnt(7)
	v_cmp_o_f32_e32 vcc, v19, v19
	v_mov_b32_e32 v21, v19
	s_and_saveexec_b64 s[18:19], vcc
; %bb.85:                               ;   in Loop: Header=BB201_68 Depth=1
	v_cmp_lt_f32_e32 vcc, v19, v9
	v_cndmask_b32_e32 v21, v9, v19, vcc
; %bb.86:                               ;   in Loop: Header=BB201_68 Depth=1
	s_or_b64 exec, exec, s[18:19]
	v_mov_b32_e32 v9, v21
	s_or_b64 exec, exec, s[16:17]
	v_cmp_o_f32_e32 vcc, v9, v9
	s_and_saveexec_b64 s[16:17], vcc
	s_cbranch_execz .LBB201_70
.LBB201_87:                             ;   in Loop: Header=BB201_68 Depth=1
	s_waitcnt vmcnt(6)
	v_cmp_o_f32_e32 vcc, v18, v18
	v_mov_b32_e32 v21, v18
	s_and_saveexec_b64 s[18:19], vcc
; %bb.88:                               ;   in Loop: Header=BB201_68 Depth=1
	v_cmp_lt_f32_e32 vcc, v18, v9
	v_cndmask_b32_e32 v21, v9, v18, vcc
; %bb.89:                               ;   in Loop: Header=BB201_68 Depth=1
	s_or_b64 exec, exec, s[18:19]
	v_mov_b32_e32 v9, v21
	s_or_b64 exec, exec, s[16:17]
	v_cmp_o_f32_e32 vcc, v9, v9
	s_and_saveexec_b64 s[16:17], vcc
	s_cbranch_execz .LBB201_71
.LBB201_90:                             ;   in Loop: Header=BB201_68 Depth=1
	s_waitcnt vmcnt(5)
	v_cmp_o_f32_e32 vcc, v17, v17
	v_mov_b32_e32 v21, v17
	s_and_saveexec_b64 s[18:19], vcc
; %bb.91:                               ;   in Loop: Header=BB201_68 Depth=1
	v_cmp_lt_f32_e32 vcc, v17, v9
	v_cndmask_b32_e32 v21, v9, v17, vcc
; %bb.92:                               ;   in Loop: Header=BB201_68 Depth=1
	s_or_b64 exec, exec, s[18:19]
	v_mov_b32_e32 v9, v21
	s_or_b64 exec, exec, s[16:17]
	v_cmp_o_f32_e32 vcc, v9, v9
	s_and_saveexec_b64 s[16:17], vcc
	s_cbranch_execz .LBB201_72
.LBB201_93:                             ;   in Loop: Header=BB201_68 Depth=1
	s_waitcnt vmcnt(4)
	v_cmp_o_f32_e32 vcc, v16, v16
	v_mov_b32_e32 v21, v16
	s_and_saveexec_b64 s[18:19], vcc
; %bb.94:                               ;   in Loop: Header=BB201_68 Depth=1
	v_cmp_lt_f32_e32 vcc, v16, v9
	v_cndmask_b32_e32 v21, v9, v16, vcc
; %bb.95:                               ;   in Loop: Header=BB201_68 Depth=1
	s_or_b64 exec, exec, s[18:19]
	v_mov_b32_e32 v9, v21
	s_or_b64 exec, exec, s[16:17]
	v_cmp_o_f32_e32 vcc, v9, v9
	s_and_saveexec_b64 s[16:17], vcc
	s_cbranch_execz .LBB201_73
.LBB201_96:                             ;   in Loop: Header=BB201_68 Depth=1
	s_waitcnt vmcnt(15)
	v_cmp_o_f32_e32 vcc, v15, v15
	v_mov_b32_e32 v21, v15
	s_and_saveexec_b64 s[18:19], vcc
; %bb.97:                               ;   in Loop: Header=BB201_68 Depth=1
	v_cmp_lt_f32_e32 vcc, v15, v9
	v_cndmask_b32_e32 v21, v9, v15, vcc
; %bb.98:                               ;   in Loop: Header=BB201_68 Depth=1
	s_or_b64 exec, exec, s[18:19]
	v_mov_b32_e32 v9, v21
	s_or_b64 exec, exec, s[16:17]
	v_cmp_o_f32_e32 vcc, v9, v9
	s_and_saveexec_b64 s[16:17], vcc
	s_cbranch_execz .LBB201_74
.LBB201_99:                             ;   in Loop: Header=BB201_68 Depth=1
	s_waitcnt vmcnt(14)
	v_cmp_o_f32_e32 vcc, v14, v14
	v_mov_b32_e32 v21, v14
	s_and_saveexec_b64 s[18:19], vcc
; %bb.100:                              ;   in Loop: Header=BB201_68 Depth=1
	v_cmp_lt_f32_e32 vcc, v14, v9
	v_cndmask_b32_e32 v21, v9, v14, vcc
; %bb.101:                              ;   in Loop: Header=BB201_68 Depth=1
	s_or_b64 exec, exec, s[18:19]
	v_mov_b32_e32 v9, v21
	s_or_b64 exec, exec, s[16:17]
	v_cmp_o_f32_e32 vcc, v9, v9
	s_and_saveexec_b64 s[16:17], vcc
	s_cbranch_execz .LBB201_75
.LBB201_102:                            ;   in Loop: Header=BB201_68 Depth=1
	s_waitcnt vmcnt(13)
	v_cmp_o_f32_e32 vcc, v13, v13
	v_mov_b32_e32 v21, v13
	s_and_saveexec_b64 s[18:19], vcc
; %bb.103:                              ;   in Loop: Header=BB201_68 Depth=1
	v_cmp_lt_f32_e32 vcc, v13, v9
	v_cndmask_b32_e32 v21, v9, v13, vcc
; %bb.104:                              ;   in Loop: Header=BB201_68 Depth=1
	s_or_b64 exec, exec, s[18:19]
	v_mov_b32_e32 v9, v21
	s_or_b64 exec, exec, s[16:17]
	v_cmp_o_f32_e32 vcc, v9, v9
	s_and_saveexec_b64 s[16:17], vcc
	s_cbranch_execz .LBB201_76
.LBB201_105:                            ;   in Loop: Header=BB201_68 Depth=1
	s_waitcnt vmcnt(12)
	v_cmp_o_f32_e32 vcc, v12, v12
	v_mov_b32_e32 v21, v12
	s_and_saveexec_b64 s[18:19], vcc
; %bb.106:                              ;   in Loop: Header=BB201_68 Depth=1
	v_cmp_lt_f32_e32 vcc, v12, v9
	v_cndmask_b32_e32 v21, v9, v12, vcc
; %bb.107:                              ;   in Loop: Header=BB201_68 Depth=1
	s_or_b64 exec, exec, s[18:19]
	v_mov_b32_e32 v9, v21
	s_or_b64 exec, exec, s[16:17]
	v_cmp_o_f32_e32 vcc, v9, v9
	s_and_saveexec_b64 s[16:17], vcc
	s_cbranch_execz .LBB201_77
.LBB201_108:                            ;   in Loop: Header=BB201_68 Depth=1
	s_waitcnt vmcnt(11)
	v_cmp_o_f32_e32 vcc, v11, v11
	v_mov_b32_e32 v21, v11
	s_and_saveexec_b64 s[18:19], vcc
; %bb.109:                              ;   in Loop: Header=BB201_68 Depth=1
	v_cmp_lt_f32_e32 vcc, v11, v9
	v_cndmask_b32_e32 v21, v9, v11, vcc
; %bb.110:                              ;   in Loop: Header=BB201_68 Depth=1
	s_or_b64 exec, exec, s[18:19]
	v_mov_b32_e32 v9, v21
	s_or_b64 exec, exec, s[16:17]
	v_cmp_o_f32_e32 vcc, v9, v9
	s_and_saveexec_b64 s[16:17], vcc
	s_cbranch_execz .LBB201_78
.LBB201_111:                            ;   in Loop: Header=BB201_68 Depth=1
	s_waitcnt vmcnt(10)
	v_cmp_o_f32_e32 vcc, v10, v10
	v_mov_b32_e32 v21, v10
	s_and_saveexec_b64 s[18:19], vcc
; %bb.112:                              ;   in Loop: Header=BB201_68 Depth=1
	v_cmp_lt_f32_e32 vcc, v10, v9
	v_cndmask_b32_e32 v21, v9, v10, vcc
; %bb.113:                              ;   in Loop: Header=BB201_68 Depth=1
	s_or_b64 exec, exec, s[18:19]
	v_mov_b32_e32 v9, v21
	s_or_b64 exec, exec, s[16:17]
	v_cmp_o_f32_e32 vcc, v9, v9
	s_and_saveexec_b64 s[16:17], vcc
	s_cbranch_execz .LBB201_79
.LBB201_114:                            ;   in Loop: Header=BB201_68 Depth=1
	s_waitcnt vmcnt(9)
	v_cmp_o_f32_e32 vcc, v8, v8
	v_mov_b32_e32 v21, v8
	s_and_saveexec_b64 s[18:19], vcc
; %bb.115:                              ;   in Loop: Header=BB201_68 Depth=1
	v_cmp_lt_f32_e32 vcc, v8, v9
	v_cndmask_b32_e32 v21, v9, v8, vcc
; %bb.116:                              ;   in Loop: Header=BB201_68 Depth=1
	s_or_b64 exec, exec, s[18:19]
	v_mov_b32_e32 v9, v21
	s_or_b64 exec, exec, s[16:17]
	v_cmp_o_f32_e32 vcc, v9, v9
	s_and_saveexec_b64 s[16:17], vcc
	s_cbranch_execz .LBB201_80
.LBB201_117:                            ;   in Loop: Header=BB201_68 Depth=1
	s_waitcnt vmcnt(8)
	v_cmp_o_f32_e32 vcc, v7, v7
	v_mov_b32_e32 v21, v7
	s_and_saveexec_b64 s[18:19], vcc
; %bb.118:                              ;   in Loop: Header=BB201_68 Depth=1
	v_cmp_lt_f32_e32 vcc, v7, v9
	v_cndmask_b32_e32 v21, v9, v7, vcc
; %bb.119:                              ;   in Loop: Header=BB201_68 Depth=1
	s_or_b64 exec, exec, s[18:19]
	v_mov_b32_e32 v9, v21
	s_or_b64 exec, exec, s[16:17]
	v_cmp_o_f32_e32 vcc, v9, v9
	s_and_saveexec_b64 s[16:17], vcc
	s_cbranch_execz .LBB201_81
.LBB201_120:                            ;   in Loop: Header=BB201_68 Depth=1
	s_waitcnt vmcnt(3)
	v_cmp_o_f32_e32 vcc, v6, v6
	v_mov_b32_e32 v21, v6
	s_and_saveexec_b64 s[18:19], vcc
; %bb.121:                              ;   in Loop: Header=BB201_68 Depth=1
	v_cmp_lt_f32_e32 vcc, v6, v9
	v_cndmask_b32_e32 v21, v9, v6, vcc
; %bb.122:                              ;   in Loop: Header=BB201_68 Depth=1
	s_or_b64 exec, exec, s[18:19]
	v_mov_b32_e32 v9, v21
	s_or_b64 exec, exec, s[16:17]
	v_cmp_o_f32_e32 vcc, v9, v9
	s_and_saveexec_b64 s[16:17], vcc
	s_cbranch_execz .LBB201_82
.LBB201_123:                            ;   in Loop: Header=BB201_68 Depth=1
	s_waitcnt vmcnt(2)
	v_cmp_o_f32_e32 vcc, v5, v5
	v_mov_b32_e32 v21, v5
	s_and_saveexec_b64 s[18:19], vcc
; %bb.124:                              ;   in Loop: Header=BB201_68 Depth=1
	v_cmp_lt_f32_e32 vcc, v5, v9
	v_cndmask_b32_e32 v21, v9, v5, vcc
; %bb.125:                              ;   in Loop: Header=BB201_68 Depth=1
	s_or_b64 exec, exec, s[18:19]
	v_mov_b32_e32 v9, v21
	s_or_b64 exec, exec, s[16:17]
	v_cmp_o_f32_e32 vcc, v9, v9
	s_and_saveexec_b64 s[16:17], vcc
	s_cbranch_execz .LBB201_83
.LBB201_126:                            ;   in Loop: Header=BB201_68 Depth=1
	s_waitcnt vmcnt(1)
	v_cmp_o_f32_e32 vcc, v4, v4
	v_mov_b32_e32 v21, v4
	s_and_saveexec_b64 s[18:19], vcc
; %bb.127:                              ;   in Loop: Header=BB201_68 Depth=1
	v_cmp_lt_f32_e32 vcc, v4, v9
	v_cndmask_b32_e32 v21, v9, v4, vcc
; %bb.128:                              ;   in Loop: Header=BB201_68 Depth=1
	s_or_b64 exec, exec, s[18:19]
	v_mov_b32_e32 v9, v21
	s_or_b64 exec, exec, s[16:17]
	v_cmp_o_f32_e32 vcc, v9, v9
	s_and_saveexec_b64 s[16:17], vcc
	s_cbranch_execz .LBB201_132
.LBB201_129:                            ;   in Loop: Header=BB201_68 Depth=1
	s_waitcnt vmcnt(0)
	v_cmp_o_f32_e32 vcc, v3, v3
	v_mov_b32_e32 v21, v3
	s_and_saveexec_b64 s[18:19], vcc
; %bb.130:                              ;   in Loop: Header=BB201_68 Depth=1
	v_cmp_lt_f32_e32 vcc, v3, v9
	v_cndmask_b32_e32 v21, v9, v3, vcc
; %bb.131:                              ;   in Loop: Header=BB201_68 Depth=1
	s_or_b64 exec, exec, s[18:19]
	v_mov_b32_e32 v9, v21
.LBB201_132:                            ;   in Loop: Header=BB201_68 Depth=1
	s_or_b64 exec, exec, s[16:17]
	s_add_u32 s16, s0, 0x1000
	s_addc_u32 s17, s1, 0
	s_add_u32 s0, s0, 0x2000
	v_mov_b32_e32 v22, s5
	s_addc_u32 s1, s1, 0
	v_mov_b32_e32 v21, s4
	v_add_co_u32_e32 v1, vcc, 0x4000, v1
	v_cmp_lt_i64_e64 s[0:1], s[0:1], v[21:22]
	v_addc_co_u32_e32 v2, vcc, 0, v2, vcc
	s_and_b64 vcc, exec, s[0:1]
	s_cbranch_vccz .LBB201_135
; %bb.133:                              ;   in Loop: Header=BB201_68 Depth=1
	s_mov_b64 s[0:1], s[16:17]
	s_branch .LBB201_68
.LBB201_134:
	s_mov_b64 s[16:17], s[0:1]
.LBB201_135:
	s_sub_i32 s18, s4, s16
	s_lshl_b64 s[0:1], s[16:17], 2
	s_add_u32 s0, s8, s0
	s_addc_u32 s1, s9, s1
	v_cmp_gt_u32_e32 vcc, s18, v0
	s_and_saveexec_b64 s[16:17], vcc
	s_cbranch_execz .LBB201_137
; %bb.136:
	global_load_dword v19, v20, s[0:1]
.LBB201_137:
	s_or_b64 exec, exec, s[16:17]
	v_or_b32_e32 v32, 0x100, v0
	v_cmp_gt_u32_e32 vcc, s18, v32
	s_and_saveexec_b64 s[16:17], vcc
	s_cbranch_execz .LBB201_139
; %bb.138:
	global_load_dword v18, v20, s[0:1] offset:1024
.LBB201_139:
	s_or_b64 exec, exec, s[16:17]
	v_or_b32_e32 v31, 0x200, v0
	v_cmp_gt_u32_e32 vcc, s18, v31
	s_and_saveexec_b64 s[16:17], vcc
	s_cbranch_execz .LBB201_141
; %bb.140:
	global_load_dword v17, v20, s[0:1] offset:2048
.LBB201_141:
	;; [unrolled: 8-line block ×3, first 2 shown]
	s_or_b64 exec, exec, s[16:17]
	v_or_b32_e32 v29, 0x400, v0
	v_cmp_gt_u32_e32 vcc, s18, v29
	s_and_saveexec_b64 s[16:17], vcc
	s_cbranch_execz .LBB201_145
; %bb.144:
	v_lshlrev_b32_e32 v1, 2, v29
	global_load_dword v15, v1, s[0:1]
.LBB201_145:
	s_or_b64 exec, exec, s[16:17]
	v_or_b32_e32 v28, 0x500, v0
	v_cmp_gt_u32_e32 vcc, s18, v28
	s_and_saveexec_b64 s[16:17], vcc
	s_cbranch_execz .LBB201_147
; %bb.146:
	v_lshlrev_b32_e32 v1, 2, v28
	global_load_dword v14, v1, s[0:1]
.LBB201_147:
	;; [unrolled: 9-line block ×11, first 2 shown]
	s_or_b64 exec, exec, s[16:17]
	v_or_b32_e32 v1, 0xf00, v0
	v_cmp_gt_u32_e32 vcc, s18, v1
	s_and_saveexec_b64 s[16:17], vcc
	s_cbranch_execz .LBB201_167
; %bb.166:
	s_waitcnt vmcnt(0)
	v_lshlrev_b32_e32 v3, 2, v1
	global_load_dword v3, v3, s[0:1]
.LBB201_167:
	s_or_b64 exec, exec, s[16:17]
	v_cmp_gt_u32_e32 vcc, s18, v0
	v_cmp_o_f32_e64 s[0:1], v9, v9
	s_and_b64 s[16:17], vcc, s[0:1]
	s_and_saveexec_b64 s[0:1], s[16:17]
	s_cbranch_execz .LBB201_171
; %bb.168:
	s_waitcnt vmcnt(0)
	v_cmp_o_f32_e32 vcc, v19, v19
	s_and_saveexec_b64 s[16:17], vcc
; %bb.169:
	v_cmp_lt_f32_e32 vcc, v19, v9
	v_cndmask_b32_e32 v19, v9, v19, vcc
; %bb.170:
	s_or_b64 exec, exec, s[16:17]
	v_mov_b32_e32 v9, v19
.LBB201_171:
	s_or_b64 exec, exec, s[0:1]
	v_cmp_gt_u32_e32 vcc, s18, v32
	v_cmp_o_f32_e64 s[0:1], v9, v9
	s_and_b64 s[16:17], vcc, s[0:1]
	s_and_saveexec_b64 s[0:1], s[16:17]
	s_cbranch_execz .LBB201_175
; %bb.172:
	s_waitcnt vmcnt(0)
	v_cmp_o_f32_e32 vcc, v18, v18
	s_and_saveexec_b64 s[16:17], vcc
; %bb.173:
	v_cmp_lt_f32_e32 vcc, v18, v9
	v_cndmask_b32_e32 v18, v9, v18, vcc
; %bb.174:
	s_or_b64 exec, exec, s[16:17]
	v_mov_b32_e32 v9, v18
.LBB201_175:
	;; [unrolled: 17-line block ×16, first 2 shown]
	s_or_b64 exec, exec, s[0:1]
	s_nop 0
	v_mov_b32_dpp v1, v9 quad_perm:[1,0,3,2] row_mask:0xf bank_mask:0xf bound_ctrl:1
	v_cmp_o_f32_e32 vcc, v1, v1
	s_and_saveexec_b64 s[0:1], vcc
	s_xor_b64 s[0:1], exec, s[0:1]
	s_cbranch_execz .LBB201_235
; %bb.232:
	v_cmp_o_f32_e32 vcc, v9, v9
	s_and_saveexec_b64 s[16:17], vcc
; %bb.233:
	v_cmp_lt_f32_e32 vcc, v9, v1
	v_cndmask_b32_e32 v9, v1, v9, vcc
; %bb.234:
	s_or_b64 exec, exec, s[16:17]
	v_mov_b32_e32 v1, v9
.LBB201_235:
	s_or_b64 exec, exec, s[0:1]
	s_nop 0
	v_mov_b32_dpp v2, v1 quad_perm:[2,3,0,1] row_mask:0xf bank_mask:0xf bound_ctrl:1
	v_cmp_o_f32_e32 vcc, v2, v2
	s_and_saveexec_b64 s[0:1], vcc
	s_cbranch_execz .LBB201_239
; %bb.236:
	v_cmp_o_f32_e32 vcc, v1, v1
	s_and_saveexec_b64 s[16:17], vcc
; %bb.237:
	v_cmp_lt_f32_e32 vcc, v1, v2
	v_cndmask_b32_e32 v1, v2, v1, vcc
; %bb.238:
	s_or_b64 exec, exec, s[16:17]
	v_mov_b32_e32 v2, v1
.LBB201_239:
	s_or_b64 exec, exec, s[0:1]
	s_nop 0
	v_mov_b32_dpp v1, v2 row_ror:4 row_mask:0xf bank_mask:0xf bound_ctrl:1
	v_cmp_o_f32_e32 vcc, v1, v1
	s_and_saveexec_b64 s[0:1], vcc
	s_cbranch_execz .LBB201_243
; %bb.240:
	v_cmp_o_f32_e32 vcc, v2, v2
	s_and_saveexec_b64 s[16:17], vcc
; %bb.241:
	v_cmp_lt_f32_e32 vcc, v2, v1
	v_cndmask_b32_e32 v2, v1, v2, vcc
; %bb.242:
	s_or_b64 exec, exec, s[16:17]
	v_mov_b32_e32 v1, v2
.LBB201_243:
	s_or_b64 exec, exec, s[0:1]
	s_nop 0
	v_mov_b32_dpp v2, v1 row_ror:8 row_mask:0xf bank_mask:0xf bound_ctrl:1
	v_cmp_o_f32_e32 vcc, v2, v2
	s_and_saveexec_b64 s[0:1], vcc
	s_cbranch_execz .LBB201_247
; %bb.244:
	v_cmp_o_f32_e32 vcc, v1, v1
	s_and_saveexec_b64 s[16:17], vcc
; %bb.245:
	v_cmp_lt_f32_e32 vcc, v1, v2
	v_cndmask_b32_e32 v1, v2, v1, vcc
; %bb.246:
	s_or_b64 exec, exec, s[16:17]
	v_mov_b32_e32 v2, v1
.LBB201_247:
	s_or_b64 exec, exec, s[0:1]
	s_nop 0
	v_mov_b32_dpp v1, v2 row_bcast:15 row_mask:0xf bank_mask:0xf bound_ctrl:1
	v_cmp_o_f32_e32 vcc, v1, v1
	s_and_saveexec_b64 s[0:1], vcc
	s_cbranch_execz .LBB201_251
; %bb.248:
	v_cmp_o_f32_e32 vcc, v2, v2
	s_and_saveexec_b64 s[16:17], vcc
; %bb.249:
	v_cmp_lt_f32_e32 vcc, v2, v1
	v_cndmask_b32_e32 v2, v1, v2, vcc
; %bb.250:
	s_or_b64 exec, exec, s[16:17]
	v_mov_b32_e32 v1, v2
.LBB201_251:
	s_or_b64 exec, exec, s[0:1]
	s_waitcnt vmcnt(0)
	v_mov_b32_dpp v3, v1 row_bcast:31 row_mask:0xf bank_mask:0xf bound_ctrl:1
	v_cmp_o_f32_e32 vcc, v3, v3
	s_and_saveexec_b64 s[0:1], vcc
	s_cbranch_execz .LBB201_255
; %bb.252:
	v_cmp_o_f32_e32 vcc, v1, v1
	s_and_saveexec_b64 s[16:17], vcc
; %bb.253:
	v_cmp_lt_f32_e32 vcc, v1, v3
	v_cndmask_b32_e32 v1, v3, v1, vcc
; %bb.254:
	s_or_b64 exec, exec, s[16:17]
	v_mov_b32_e32 v3, v1
.LBB201_255:
	s_or_b64 exec, exec, s[0:1]
	v_mbcnt_lo_u32_b32 v1, -1, 0
	v_mbcnt_hi_u32_b32 v2, -1, v1
	v_lshlrev_b32_e32 v1, 2, v2
	v_or_b32_e32 v4, 0xfc, v1
	ds_bpermute_b32 v3, v4, v3
	v_cmp_eq_u32_e32 vcc, 0, v2
	s_and_saveexec_b64 s[0:1], vcc
	s_cbranch_execz .LBB201_257
; %bb.256:
	v_lshrrev_b32_e32 v4, 4, v0
	v_and_b32_e32 v4, 12, v4
	s_waitcnt lgkmcnt(0)
	ds_write_b32 v4, v3
.LBB201_257:
	s_or_b64 exec, exec, s[0:1]
	v_cmp_gt_u32_e32 vcc, 64, v0
	s_waitcnt lgkmcnt(0)
	s_barrier
	s_and_saveexec_b64 s[0:1], vcc
	s_cbranch_execz .LBB201_267
; %bb.258:
	v_and_b32_e32 v4, 3, v2
	v_lshlrev_b32_e32 v3, 2, v4
	ds_read_b32 v3, v3
	v_cmp_ne_u32_e32 vcc, 3, v4
	v_addc_co_u32_e32 v2, vcc, 0, v2, vcc
	v_lshlrev_b32_e32 v2, 2, v2
	s_waitcnt lgkmcnt(0)
	ds_bpermute_b32 v2, v2, v3
	v_cmp_o_f32_e32 vcc, v3, v3
	s_and_saveexec_b64 s[16:17], vcc
	s_cbranch_execz .LBB201_262
; %bb.259:
	s_waitcnt lgkmcnt(0)
	v_cmp_o_f32_e32 vcc, v2, v2
	s_and_saveexec_b64 s[18:19], vcc
; %bb.260:
	v_cmp_gt_f32_e32 vcc, v3, v2
	v_cndmask_b32_e32 v2, v3, v2, vcc
; %bb.261:
	s_or_b64 exec, exec, s[18:19]
	v_mov_b32_e32 v3, v2
.LBB201_262:
	s_or_b64 exec, exec, s[16:17]
	v_or_b32_e32 v1, 8, v1
	ds_bpermute_b32 v1, v1, v3
	v_cmp_o_f32_e32 vcc, v3, v3
	s_and_saveexec_b64 s[16:17], vcc
	s_cbranch_execz .LBB201_266
; %bb.263:
	s_waitcnt lgkmcnt(0)
	v_cmp_o_f32_e32 vcc, v1, v1
	s_and_saveexec_b64 s[18:19], vcc
; %bb.264:
	v_cmp_gt_f32_e32 vcc, v3, v1
	v_cndmask_b32_e32 v1, v3, v1, vcc
; %bb.265:
	s_or_b64 exec, exec, s[18:19]
	v_mov_b32_e32 v3, v1
.LBB201_266:
	s_or_b64 exec, exec, s[16:17]
.LBB201_267:
	s_or_b64 exec, exec, s[0:1]
	s_branch .LBB201_366
.LBB201_268:
	s_sub_i32 s20, s4, s14
	v_cmp_gt_u32_e32 vcc, s20, v0
                                        ; implicit-def: $vgpr5
	s_and_saveexec_b64 s[16:17], vcc
	s_cbranch_execz .LBB201_278
; %bb.269:
	s_waitcnt lgkmcnt(0)
	v_mov_b32_e32 v1, s15
	v_add_co_u32_e32 v6, vcc, s14, v0
	v_addc_co_u32_e32 v7, vcc, 0, v1, vcc
	v_lshlrev_b64 v[2:3], 2, v[6:7]
	v_mov_b32_e32 v1, s9
	v_add_co_u32_e64 v4, s[0:1], s8, v2
	v_addc_co_u32_e64 v5, vcc, v1, v3, s[0:1]
	global_load_dword v5, v[4:5], off
	v_add_co_u32_e32 v1, vcc, 0x100, v6
	v_addc_co_u32_e32 v2, vcc, 0, v7, vcc
	v_cmp_gt_i64_e32 vcc, s[4:5], v[1:2]
	s_and_saveexec_b64 s[14:15], vcc
	s_cbranch_execz .LBB201_277
; %bb.270:
	v_mov_b32_e32 v6, s9
	v_addc_co_u32_e64 v6, vcc, v6, v3, s[0:1]
	v_add_co_u32_e32 v3, vcc, 0x400, v4
	v_addc_co_u32_e32 v4, vcc, 0, v6, vcc
	s_mov_b64 s[8:9], 0
	s_branch .LBB201_273
.LBB201_271:                            ;   in Loop: Header=BB201_273 Depth=1
	s_or_b64 exec, exec, s[18:19]
	v_mov_b32_e32 v5, v6
.LBB201_272:                            ;   in Loop: Header=BB201_273 Depth=1
	s_or_b64 exec, exec, s[0:1]
	v_add_co_u32_e32 v1, vcc, 0x100, v1
	v_addc_co_u32_e32 v2, vcc, 0, v2, vcc
	v_cmp_le_i64_e64 s[0:1], s[4:5], v[1:2]
	v_add_co_u32_e32 v3, vcc, 0x400, v3
	s_or_b64 s[8:9], s[0:1], s[8:9]
	v_addc_co_u32_e32 v4, vcc, 0, v4, vcc
	s_andn2_b64 exec, exec, s[8:9]
	s_cbranch_execz .LBB201_276
.LBB201_273:                            ; =>This Inner Loop Header: Depth=1
	s_waitcnt vmcnt(0)
	v_cmp_o_f32_e32 vcc, v5, v5
	s_and_saveexec_b64 s[0:1], vcc
	s_cbranch_execz .LBB201_272
; %bb.274:                              ;   in Loop: Header=BB201_273 Depth=1
	global_load_dword v6, v[3:4], off
	s_waitcnt vmcnt(0)
	v_cmp_o_f32_e32 vcc, v6, v6
	s_and_saveexec_b64 s[18:19], vcc
	s_cbranch_execz .LBB201_271
; %bb.275:                              ;   in Loop: Header=BB201_273 Depth=1
	v_cmp_lt_f32_e32 vcc, v6, v5
	v_cndmask_b32_e32 v6, v5, v6, vcc
	s_branch .LBB201_271
.LBB201_276:
	s_or_b64 exec, exec, s[8:9]
.LBB201_277:
	s_or_b64 exec, exec, s[14:15]
.LBB201_278:
	s_or_b64 exec, exec, s[16:17]
	s_waitcnt lgkmcnt(0)
	v_mbcnt_lo_u32_b32 v1, -1, 0
	s_cmpk_lt_u32 s20, 0x100
	v_lshrrev_b32_e32 v2, 6, v0
	v_mbcnt_hi_u32_b32 v1, -1, v1
	s_cbranch_scc0 .LBB201_328
; %bb.279:
	v_and_b32_e32 v4, 63, v1
	v_cmp_ne_u32_e32 vcc, 63, v4
	v_addc_co_u32_e32 v6, vcc, 0, v1, vcc
	v_lshlrev_b32_e32 v6, 2, v6
	s_waitcnt vmcnt(0)
	ds_bpermute_b32 v7, v6, v5
	v_and_b32_e32 v3, 0xc0, v0
	v_sub_u32_e64 v6, s20, v3 clamp
	v_add_u32_e32 v3, 1, v4
	v_cmp_lt_u32_e32 vcc, v3, v6
	v_mov_b32_e32 v3, v5
	s_and_saveexec_b64 s[0:1], vcc
	s_cbranch_execz .LBB201_285
; %bb.280:
	v_cmp_o_f32_e32 vcc, v5, v5
	v_mov_b32_e32 v3, v5
	s_and_saveexec_b64 s[4:5], vcc
	s_cbranch_execz .LBB201_284
; %bb.281:
	s_waitcnt lgkmcnt(0)
	v_cmp_o_f32_e32 vcc, v7, v7
	s_and_saveexec_b64 s[8:9], vcc
; %bb.282:
	v_cmp_gt_f32_e32 vcc, v5, v7
	v_cndmask_b32_e32 v7, v5, v7, vcc
; %bb.283:
	s_or_b64 exec, exec, s[8:9]
	v_mov_b32_e32 v3, v7
.LBB201_284:
	s_or_b64 exec, exec, s[4:5]
.LBB201_285:
	s_or_b64 exec, exec, s[0:1]
	v_cmp_gt_u32_e32 vcc, 62, v4
	s_waitcnt lgkmcnt(0)
	v_cndmask_b32_e64 v7, 0, 2, vcc
	v_add_lshl_u32 v7, v7, v1, 2
	ds_bpermute_b32 v7, v7, v3
	v_add_u32_e32 v8, 2, v4
	v_cmp_lt_u32_e32 vcc, v8, v6
	s_and_saveexec_b64 s[0:1], vcc
	s_cbranch_execz .LBB201_291
; %bb.286:
	v_cmp_o_f32_e32 vcc, v3, v3
	s_and_saveexec_b64 s[4:5], vcc
	s_cbranch_execz .LBB201_290
; %bb.287:
	s_waitcnt lgkmcnt(0)
	v_cmp_o_f32_e32 vcc, v7, v7
	s_and_saveexec_b64 s[8:9], vcc
; %bb.288:
	v_cmp_gt_f32_e32 vcc, v3, v7
	v_cndmask_b32_e32 v7, v3, v7, vcc
; %bb.289:
	s_or_b64 exec, exec, s[8:9]
	v_mov_b32_e32 v3, v7
.LBB201_290:
	s_or_b64 exec, exec, s[4:5]
.LBB201_291:
	s_or_b64 exec, exec, s[0:1]
	v_cmp_gt_u32_e32 vcc, 60, v4
	s_waitcnt lgkmcnt(0)
	v_cndmask_b32_e64 v7, 0, 4, vcc
	v_add_lshl_u32 v7, v7, v1, 2
	ds_bpermute_b32 v7, v7, v3
	v_add_u32_e32 v8, 4, v4
	v_cmp_lt_u32_e32 vcc, v8, v6
	s_and_saveexec_b64 s[0:1], vcc
	s_cbranch_execz .LBB201_297
; %bb.292:
	v_cmp_o_f32_e32 vcc, v3, v3
	s_and_saveexec_b64 s[4:5], vcc
	s_cbranch_execz .LBB201_296
; %bb.293:
	s_waitcnt lgkmcnt(0)
	v_cmp_o_f32_e32 vcc, v7, v7
	s_and_saveexec_b64 s[8:9], vcc
; %bb.294:
	v_cmp_gt_f32_e32 vcc, v3, v7
	v_cndmask_b32_e32 v7, v3, v7, vcc
; %bb.295:
	s_or_b64 exec, exec, s[8:9]
	v_mov_b32_e32 v3, v7
.LBB201_296:
	s_or_b64 exec, exec, s[4:5]
.LBB201_297:
	;; [unrolled: 27-line block ×4, first 2 shown]
	s_or_b64 exec, exec, s[0:1]
	s_waitcnt lgkmcnt(0)
	v_lshlrev_b32_e32 v7, 2, v1
	v_or_b32_e32 v8, 0x80, v7
	ds_bpermute_b32 v8, v8, v3
	v_add_u32_e32 v4, 32, v4
	v_cmp_lt_u32_e32 vcc, v4, v6
	v_cmp_o_f32_e64 s[0:1], v3, v3
	s_and_b64 s[4:5], vcc, s[0:1]
	s_and_saveexec_b64 s[0:1], s[4:5]
	s_cbranch_execz .LBB201_313
; %bb.310:
	s_waitcnt lgkmcnt(0)
	v_cmp_o_f32_e32 vcc, v8, v8
	s_and_saveexec_b64 s[4:5], vcc
; %bb.311:
	v_cmp_gt_f32_e32 vcc, v3, v8
	v_cndmask_b32_e32 v8, v3, v8, vcc
; %bb.312:
	s_or_b64 exec, exec, s[4:5]
	v_mov_b32_e32 v3, v8
.LBB201_313:
	s_or_b64 exec, exec, s[0:1]
	v_cmp_eq_u32_e32 vcc, 0, v1
	s_and_saveexec_b64 s[0:1], vcc
; %bb.314:
	v_lshlrev_b32_e32 v4, 2, v2
	ds_write_b32 v4, v3
; %bb.315:
	s_or_b64 exec, exec, s[0:1]
	v_cmp_gt_u32_e32 vcc, 4, v0
	s_waitcnt lgkmcnt(0)
	s_barrier
	s_and_saveexec_b64 s[4:5], vcc
	s_cbranch_execz .LBB201_327
; %bb.316:
	ds_read_b32 v3, v7
	v_and_b32_e32 v4, 3, v1
	v_cmp_ne_u32_e32 vcc, 3, v4
	v_addc_co_u32_e32 v6, vcc, 0, v1, vcc
	v_lshlrev_b32_e32 v6, 2, v6
	s_waitcnt lgkmcnt(0)
	ds_bpermute_b32 v6, v6, v3
	s_add_i32 s20, s20, 63
	s_lshr_b32 s16, s20, 6
	v_add_u32_e32 v8, 1, v4
	v_cmp_gt_u32_e32 vcc, s16, v8
	s_and_saveexec_b64 s[0:1], vcc
	s_cbranch_execz .LBB201_322
; %bb.317:
	v_cmp_o_f32_e32 vcc, v3, v3
	s_and_saveexec_b64 s[8:9], vcc
	s_cbranch_execz .LBB201_321
; %bb.318:
	s_waitcnt lgkmcnt(0)
	v_cmp_o_f32_e32 vcc, v6, v6
	s_and_saveexec_b64 s[14:15], vcc
; %bb.319:
	v_cmp_gt_f32_e32 vcc, v3, v6
	v_cndmask_b32_e32 v6, v3, v6, vcc
; %bb.320:
	s_or_b64 exec, exec, s[14:15]
	v_mov_b32_e32 v3, v6
.LBB201_321:
	s_or_b64 exec, exec, s[8:9]
.LBB201_322:
	s_or_b64 exec, exec, s[0:1]
	s_waitcnt lgkmcnt(0)
	v_or_b32_e32 v6, 8, v7
	ds_bpermute_b32 v6, v6, v3
	v_add_u32_e32 v4, 2, v4
	v_cmp_gt_u32_e32 vcc, s16, v4
	v_cmp_o_f32_e64 s[0:1], v3, v3
	s_and_b64 s[8:9], vcc, s[0:1]
	s_and_saveexec_b64 s[0:1], s[8:9]
	s_cbranch_execz .LBB201_326
; %bb.323:
	s_waitcnt lgkmcnt(0)
	v_cmp_o_f32_e32 vcc, v6, v6
	s_and_saveexec_b64 s[8:9], vcc
; %bb.324:
	v_cmp_gt_f32_e32 vcc, v3, v6
	v_cndmask_b32_e32 v6, v3, v6, vcc
; %bb.325:
	s_or_b64 exec, exec, s[8:9]
	v_mov_b32_e32 v3, v6
.LBB201_326:
	s_or_b64 exec, exec, s[0:1]
.LBB201_327:
	s_or_b64 exec, exec, s[4:5]
	s_branch .LBB201_366
.LBB201_328:
                                        ; implicit-def: $vgpr3
	s_cbranch_execz .LBB201_366
; %bb.329:
	s_waitcnt vmcnt(0)
	v_mov_b32_dpp v3, v5 quad_perm:[1,0,3,2] row_mask:0xf bank_mask:0xf bound_ctrl:1
	v_cmp_o_f32_e32 vcc, v3, v3
	s_and_saveexec_b64 s[0:1], vcc
	s_cbranch_execz .LBB201_333
; %bb.330:
	v_cmp_o_f32_e32 vcc, v5, v5
	s_and_saveexec_b64 s[4:5], vcc
; %bb.331:
	v_cmp_lt_f32_e32 vcc, v5, v3
	v_cndmask_b32_e32 v5, v3, v5, vcc
; %bb.332:
	s_or_b64 exec, exec, s[4:5]
	v_mov_b32_e32 v3, v5
.LBB201_333:
	s_or_b64 exec, exec, s[0:1]
	s_nop 0
	v_mov_b32_dpp v4, v3 quad_perm:[2,3,0,1] row_mask:0xf bank_mask:0xf bound_ctrl:1
	v_cmp_o_f32_e32 vcc, v4, v4
	s_and_saveexec_b64 s[0:1], vcc
	s_cbranch_execz .LBB201_337
; %bb.334:
	v_cmp_o_f32_e32 vcc, v3, v3
	s_and_saveexec_b64 s[4:5], vcc
; %bb.335:
	v_cmp_lt_f32_e32 vcc, v3, v4
	v_cndmask_b32_e32 v3, v4, v3, vcc
; %bb.336:
	s_or_b64 exec, exec, s[4:5]
	v_mov_b32_e32 v4, v3
.LBB201_337:
	s_or_b64 exec, exec, s[0:1]
	s_nop 0
	v_mov_b32_dpp v3, v4 row_ror:4 row_mask:0xf bank_mask:0xf bound_ctrl:1
	v_cmp_o_f32_e32 vcc, v3, v3
	s_and_saveexec_b64 s[0:1], vcc
	s_cbranch_execz .LBB201_341
; %bb.338:
	v_cmp_o_f32_e32 vcc, v4, v4
	s_and_saveexec_b64 s[4:5], vcc
; %bb.339:
	v_cmp_lt_f32_e32 vcc, v4, v3
	v_cndmask_b32_e32 v4, v3, v4, vcc
; %bb.340:
	s_or_b64 exec, exec, s[4:5]
	v_mov_b32_e32 v3, v4
.LBB201_341:
	s_or_b64 exec, exec, s[0:1]
	s_nop 0
	v_mov_b32_dpp v4, v3 row_ror:8 row_mask:0xf bank_mask:0xf bound_ctrl:1
	v_cmp_o_f32_e32 vcc, v4, v4
	s_and_saveexec_b64 s[0:1], vcc
	s_cbranch_execz .LBB201_345
; %bb.342:
	v_cmp_o_f32_e32 vcc, v3, v3
	s_and_saveexec_b64 s[4:5], vcc
; %bb.343:
	v_cmp_lt_f32_e32 vcc, v3, v4
	v_cndmask_b32_e32 v3, v4, v3, vcc
; %bb.344:
	s_or_b64 exec, exec, s[4:5]
	v_mov_b32_e32 v4, v3
.LBB201_345:
	s_or_b64 exec, exec, s[0:1]
	s_nop 0
	v_mov_b32_dpp v3, v4 row_bcast:15 row_mask:0xf bank_mask:0xf bound_ctrl:1
	v_cmp_o_f32_e32 vcc, v3, v3
	s_and_saveexec_b64 s[0:1], vcc
	s_cbranch_execz .LBB201_349
; %bb.346:
	v_cmp_o_f32_e32 vcc, v4, v4
	s_and_saveexec_b64 s[4:5], vcc
; %bb.347:
	v_cmp_lt_f32_e32 vcc, v4, v3
	v_cndmask_b32_e32 v4, v3, v4, vcc
; %bb.348:
	s_or_b64 exec, exec, s[4:5]
	v_mov_b32_e32 v3, v4
.LBB201_349:
	s_or_b64 exec, exec, s[0:1]
	s_nop 0
	v_mov_b32_dpp v5, v3 row_bcast:31 row_mask:0xf bank_mask:0xf bound_ctrl:1
	v_cmp_o_f32_e32 vcc, v5, v5
	s_and_saveexec_b64 s[0:1], vcc
	s_cbranch_execz .LBB201_353
; %bb.350:
	v_cmp_o_f32_e32 vcc, v3, v3
	s_and_saveexec_b64 s[4:5], vcc
; %bb.351:
	v_cmp_lt_f32_e32 vcc, v3, v5
	v_cndmask_b32_e32 v3, v5, v3, vcc
; %bb.352:
	s_or_b64 exec, exec, s[4:5]
	v_mov_b32_e32 v5, v3
.LBB201_353:
	s_or_b64 exec, exec, s[0:1]
	v_lshlrev_b32_e32 v4, 2, v1
	v_or_b32_e32 v3, 0xfc, v4
	ds_bpermute_b32 v3, v3, v5
	v_cmp_eq_u32_e32 vcc, 0, v1
	s_and_saveexec_b64 s[0:1], vcc
	s_cbranch_execz .LBB201_355
; %bb.354:
	v_lshlrev_b32_e32 v2, 2, v2
	s_waitcnt lgkmcnt(0)
	ds_write_b32 v2, v3
.LBB201_355:
	s_or_b64 exec, exec, s[0:1]
	v_cmp_gt_u32_e32 vcc, 64, v0
	s_waitcnt lgkmcnt(0)
	s_barrier
	s_and_saveexec_b64 s[0:1], vcc
	s_cbranch_execz .LBB201_365
; %bb.356:
	v_and_b32_e32 v2, 3, v1
	v_lshlrev_b32_e32 v3, 2, v2
	ds_read_b32 v3, v3
	v_cmp_ne_u32_e32 vcc, 3, v2
	v_addc_co_u32_e32 v1, vcc, 0, v1, vcc
	v_lshlrev_b32_e32 v1, 2, v1
	s_waitcnt lgkmcnt(0)
	ds_bpermute_b32 v1, v1, v3
	v_cmp_o_f32_e32 vcc, v3, v3
	s_and_saveexec_b64 s[4:5], vcc
	s_cbranch_execz .LBB201_360
; %bb.357:
	s_waitcnt lgkmcnt(0)
	v_cmp_o_f32_e32 vcc, v1, v1
	s_and_saveexec_b64 s[8:9], vcc
; %bb.358:
	v_cmp_gt_f32_e32 vcc, v3, v1
	v_cndmask_b32_e32 v1, v3, v1, vcc
; %bb.359:
	s_or_b64 exec, exec, s[8:9]
	v_mov_b32_e32 v3, v1
.LBB201_360:
	s_or_b64 exec, exec, s[4:5]
	s_waitcnt lgkmcnt(0)
	v_or_b32_e32 v1, 8, v4
	ds_bpermute_b32 v1, v1, v3
	v_cmp_o_f32_e32 vcc, v3, v3
	s_and_saveexec_b64 s[4:5], vcc
	s_cbranch_execz .LBB201_364
; %bb.361:
	s_waitcnt lgkmcnt(0)
	v_cmp_o_f32_e32 vcc, v1, v1
	s_and_saveexec_b64 s[8:9], vcc
; %bb.362:
	v_cmp_gt_f32_e32 vcc, v3, v1
	v_cndmask_b32_e32 v1, v3, v1, vcc
; %bb.363:
	s_or_b64 exec, exec, s[8:9]
	v_mov_b32_e32 v3, v1
.LBB201_364:
	s_or_b64 exec, exec, s[4:5]
.LBB201_365:
	s_or_b64 exec, exec, s[0:1]
.LBB201_366:
	v_cmp_eq_u32_e32 vcc, 0, v0
                                        ; implicit-def: $vgpr1
	s_and_saveexec_b64 s[0:1], vcc
	s_cbranch_execz .LBB201_372
; %bb.367:
	v_cmp_u_f32_e64 s[4:5], s22, s22
	s_and_b64 vcc, exec, s[4:5]
	s_waitcnt lgkmcnt(0)
	v_mov_b32_e32 v1, s22
	s_cbranch_vccnz .LBB201_371
; %bb.368:
	v_cmp_o_f32_e32 vcc, v3, v3
	s_and_saveexec_b64 s[4:5], vcc
; %bb.369:
	v_mov_b32_e32 v0, s22
	v_cmp_gt_f32_e32 vcc, s22, v3
	v_cndmask_b32_e32 v3, v0, v3, vcc
; %bb.370:
	s_or_b64 exec, exec, s[4:5]
	v_mov_b32_e32 v1, v3
.LBB201_371:
	s_or_b64 s[2:3], s[2:3], exec
.LBB201_372:
	s_or_b64 exec, exec, s[0:1]
	s_and_saveexec_b64 s[0:1], s[2:3]
	s_cbranch_execz .LBB201_374
.LBB201_373:
	s_lshl_b64 s[0:1], s[12:13], 2
	s_add_u32 s2, s10, s0
	s_addc_u32 s3, s11, s1
	s_lshl_b64 s[0:1], s[6:7], 2
	s_add_u32 s0, s2, s0
	s_addc_u32 s1, s3, s1
	v_mov_b32_e32 v0, 0
	s_waitcnt lgkmcnt(0)
	global_store_dword v0, v1, s[0:1]
.LBB201_374:
	s_endpgm
	.section	.rodata,"a",@progbits
	.p2align	6, 0x0
	.amdhsa_kernel _ZN7rocprim17ROCPRIM_400000_NS6detail17trampoline_kernelINS0_14default_configENS1_32segmented_reduce_config_selectorIfEEZNS1_21segmented_reduce_implIS3_PKfPfPKlfN6hipcub16HIPCUB_304000_NS6detail27convert_result_type_wrapperIS8_S9_N2at6native12_GLOBAL__N_19CustomMinEEEEE10hipError_tPvRmT0_T1_jT2_SQ_T4_T3_P12ihipStream_tbEUlT_E_NS1_11comp_targetILNS1_3genE2ELNS1_11target_archE906ELNS1_3gpuE6ELNS1_3repE0EEENS1_30default_config_static_selectorELNS0_4arch9wavefront6targetE1EEEvSP_
		.amdhsa_group_segment_fixed_size 16
		.amdhsa_private_segment_fixed_size 0
		.amdhsa_kernarg_size 48
		.amdhsa_user_sgpr_count 6
		.amdhsa_user_sgpr_private_segment_buffer 1
		.amdhsa_user_sgpr_dispatch_ptr 0
		.amdhsa_user_sgpr_queue_ptr 0
		.amdhsa_user_sgpr_kernarg_segment_ptr 1
		.amdhsa_user_sgpr_dispatch_id 0
		.amdhsa_user_sgpr_flat_scratch_init 0
		.amdhsa_user_sgpr_private_segment_size 0
		.amdhsa_uses_dynamic_stack 0
		.amdhsa_system_sgpr_private_segment_wavefront_offset 0
		.amdhsa_system_sgpr_workgroup_id_x 1
		.amdhsa_system_sgpr_workgroup_id_y 0
		.amdhsa_system_sgpr_workgroup_id_z 0
		.amdhsa_system_sgpr_workgroup_info 0
		.amdhsa_system_vgpr_workitem_id 0
		.amdhsa_next_free_vgpr 33
		.amdhsa_next_free_sgpr 23
		.amdhsa_reserve_vcc 1
		.amdhsa_reserve_flat_scratch 0
		.amdhsa_float_round_mode_32 0
		.amdhsa_float_round_mode_16_64 0
		.amdhsa_float_denorm_mode_32 3
		.amdhsa_float_denorm_mode_16_64 3
		.amdhsa_dx10_clamp 1
		.amdhsa_ieee_mode 1
		.amdhsa_fp16_overflow 0
		.amdhsa_exception_fp_ieee_invalid_op 0
		.amdhsa_exception_fp_denorm_src 0
		.amdhsa_exception_fp_ieee_div_zero 0
		.amdhsa_exception_fp_ieee_overflow 0
		.amdhsa_exception_fp_ieee_underflow 0
		.amdhsa_exception_fp_ieee_inexact 0
		.amdhsa_exception_int_div_zero 0
	.end_amdhsa_kernel
	.section	.text._ZN7rocprim17ROCPRIM_400000_NS6detail17trampoline_kernelINS0_14default_configENS1_32segmented_reduce_config_selectorIfEEZNS1_21segmented_reduce_implIS3_PKfPfPKlfN6hipcub16HIPCUB_304000_NS6detail27convert_result_type_wrapperIS8_S9_N2at6native12_GLOBAL__N_19CustomMinEEEEE10hipError_tPvRmT0_T1_jT2_SQ_T4_T3_P12ihipStream_tbEUlT_E_NS1_11comp_targetILNS1_3genE2ELNS1_11target_archE906ELNS1_3gpuE6ELNS1_3repE0EEENS1_30default_config_static_selectorELNS0_4arch9wavefront6targetE1EEEvSP_,"axG",@progbits,_ZN7rocprim17ROCPRIM_400000_NS6detail17trampoline_kernelINS0_14default_configENS1_32segmented_reduce_config_selectorIfEEZNS1_21segmented_reduce_implIS3_PKfPfPKlfN6hipcub16HIPCUB_304000_NS6detail27convert_result_type_wrapperIS8_S9_N2at6native12_GLOBAL__N_19CustomMinEEEEE10hipError_tPvRmT0_T1_jT2_SQ_T4_T3_P12ihipStream_tbEUlT_E_NS1_11comp_targetILNS1_3genE2ELNS1_11target_archE906ELNS1_3gpuE6ELNS1_3repE0EEENS1_30default_config_static_selectorELNS0_4arch9wavefront6targetE1EEEvSP_,comdat
.Lfunc_end201:
	.size	_ZN7rocprim17ROCPRIM_400000_NS6detail17trampoline_kernelINS0_14default_configENS1_32segmented_reduce_config_selectorIfEEZNS1_21segmented_reduce_implIS3_PKfPfPKlfN6hipcub16HIPCUB_304000_NS6detail27convert_result_type_wrapperIS8_S9_N2at6native12_GLOBAL__N_19CustomMinEEEEE10hipError_tPvRmT0_T1_jT2_SQ_T4_T3_P12ihipStream_tbEUlT_E_NS1_11comp_targetILNS1_3genE2ELNS1_11target_archE906ELNS1_3gpuE6ELNS1_3repE0EEENS1_30default_config_static_selectorELNS0_4arch9wavefront6targetE1EEEvSP_, .Lfunc_end201-_ZN7rocprim17ROCPRIM_400000_NS6detail17trampoline_kernelINS0_14default_configENS1_32segmented_reduce_config_selectorIfEEZNS1_21segmented_reduce_implIS3_PKfPfPKlfN6hipcub16HIPCUB_304000_NS6detail27convert_result_type_wrapperIS8_S9_N2at6native12_GLOBAL__N_19CustomMinEEEEE10hipError_tPvRmT0_T1_jT2_SQ_T4_T3_P12ihipStream_tbEUlT_E_NS1_11comp_targetILNS1_3genE2ELNS1_11target_archE906ELNS1_3gpuE6ELNS1_3repE0EEENS1_30default_config_static_selectorELNS0_4arch9wavefront6targetE1EEEvSP_
                                        ; -- End function
	.set _ZN7rocprim17ROCPRIM_400000_NS6detail17trampoline_kernelINS0_14default_configENS1_32segmented_reduce_config_selectorIfEEZNS1_21segmented_reduce_implIS3_PKfPfPKlfN6hipcub16HIPCUB_304000_NS6detail27convert_result_type_wrapperIS8_S9_N2at6native12_GLOBAL__N_19CustomMinEEEEE10hipError_tPvRmT0_T1_jT2_SQ_T4_T3_P12ihipStream_tbEUlT_E_NS1_11comp_targetILNS1_3genE2ELNS1_11target_archE906ELNS1_3gpuE6ELNS1_3repE0EEENS1_30default_config_static_selectorELNS0_4arch9wavefront6targetE1EEEvSP_.num_vgpr, 33
	.set _ZN7rocprim17ROCPRIM_400000_NS6detail17trampoline_kernelINS0_14default_configENS1_32segmented_reduce_config_selectorIfEEZNS1_21segmented_reduce_implIS3_PKfPfPKlfN6hipcub16HIPCUB_304000_NS6detail27convert_result_type_wrapperIS8_S9_N2at6native12_GLOBAL__N_19CustomMinEEEEE10hipError_tPvRmT0_T1_jT2_SQ_T4_T3_P12ihipStream_tbEUlT_E_NS1_11comp_targetILNS1_3genE2ELNS1_11target_archE906ELNS1_3gpuE6ELNS1_3repE0EEENS1_30default_config_static_selectorELNS0_4arch9wavefront6targetE1EEEvSP_.num_agpr, 0
	.set _ZN7rocprim17ROCPRIM_400000_NS6detail17trampoline_kernelINS0_14default_configENS1_32segmented_reduce_config_selectorIfEEZNS1_21segmented_reduce_implIS3_PKfPfPKlfN6hipcub16HIPCUB_304000_NS6detail27convert_result_type_wrapperIS8_S9_N2at6native12_GLOBAL__N_19CustomMinEEEEE10hipError_tPvRmT0_T1_jT2_SQ_T4_T3_P12ihipStream_tbEUlT_E_NS1_11comp_targetILNS1_3genE2ELNS1_11target_archE906ELNS1_3gpuE6ELNS1_3repE0EEENS1_30default_config_static_selectorELNS0_4arch9wavefront6targetE1EEEvSP_.numbered_sgpr, 23
	.set _ZN7rocprim17ROCPRIM_400000_NS6detail17trampoline_kernelINS0_14default_configENS1_32segmented_reduce_config_selectorIfEEZNS1_21segmented_reduce_implIS3_PKfPfPKlfN6hipcub16HIPCUB_304000_NS6detail27convert_result_type_wrapperIS8_S9_N2at6native12_GLOBAL__N_19CustomMinEEEEE10hipError_tPvRmT0_T1_jT2_SQ_T4_T3_P12ihipStream_tbEUlT_E_NS1_11comp_targetILNS1_3genE2ELNS1_11target_archE906ELNS1_3gpuE6ELNS1_3repE0EEENS1_30default_config_static_selectorELNS0_4arch9wavefront6targetE1EEEvSP_.num_named_barrier, 0
	.set _ZN7rocprim17ROCPRIM_400000_NS6detail17trampoline_kernelINS0_14default_configENS1_32segmented_reduce_config_selectorIfEEZNS1_21segmented_reduce_implIS3_PKfPfPKlfN6hipcub16HIPCUB_304000_NS6detail27convert_result_type_wrapperIS8_S9_N2at6native12_GLOBAL__N_19CustomMinEEEEE10hipError_tPvRmT0_T1_jT2_SQ_T4_T3_P12ihipStream_tbEUlT_E_NS1_11comp_targetILNS1_3genE2ELNS1_11target_archE906ELNS1_3gpuE6ELNS1_3repE0EEENS1_30default_config_static_selectorELNS0_4arch9wavefront6targetE1EEEvSP_.private_seg_size, 0
	.set _ZN7rocprim17ROCPRIM_400000_NS6detail17trampoline_kernelINS0_14default_configENS1_32segmented_reduce_config_selectorIfEEZNS1_21segmented_reduce_implIS3_PKfPfPKlfN6hipcub16HIPCUB_304000_NS6detail27convert_result_type_wrapperIS8_S9_N2at6native12_GLOBAL__N_19CustomMinEEEEE10hipError_tPvRmT0_T1_jT2_SQ_T4_T3_P12ihipStream_tbEUlT_E_NS1_11comp_targetILNS1_3genE2ELNS1_11target_archE906ELNS1_3gpuE6ELNS1_3repE0EEENS1_30default_config_static_selectorELNS0_4arch9wavefront6targetE1EEEvSP_.uses_vcc, 1
	.set _ZN7rocprim17ROCPRIM_400000_NS6detail17trampoline_kernelINS0_14default_configENS1_32segmented_reduce_config_selectorIfEEZNS1_21segmented_reduce_implIS3_PKfPfPKlfN6hipcub16HIPCUB_304000_NS6detail27convert_result_type_wrapperIS8_S9_N2at6native12_GLOBAL__N_19CustomMinEEEEE10hipError_tPvRmT0_T1_jT2_SQ_T4_T3_P12ihipStream_tbEUlT_E_NS1_11comp_targetILNS1_3genE2ELNS1_11target_archE906ELNS1_3gpuE6ELNS1_3repE0EEENS1_30default_config_static_selectorELNS0_4arch9wavefront6targetE1EEEvSP_.uses_flat_scratch, 0
	.set _ZN7rocprim17ROCPRIM_400000_NS6detail17trampoline_kernelINS0_14default_configENS1_32segmented_reduce_config_selectorIfEEZNS1_21segmented_reduce_implIS3_PKfPfPKlfN6hipcub16HIPCUB_304000_NS6detail27convert_result_type_wrapperIS8_S9_N2at6native12_GLOBAL__N_19CustomMinEEEEE10hipError_tPvRmT0_T1_jT2_SQ_T4_T3_P12ihipStream_tbEUlT_E_NS1_11comp_targetILNS1_3genE2ELNS1_11target_archE906ELNS1_3gpuE6ELNS1_3repE0EEENS1_30default_config_static_selectorELNS0_4arch9wavefront6targetE1EEEvSP_.has_dyn_sized_stack, 0
	.set _ZN7rocprim17ROCPRIM_400000_NS6detail17trampoline_kernelINS0_14default_configENS1_32segmented_reduce_config_selectorIfEEZNS1_21segmented_reduce_implIS3_PKfPfPKlfN6hipcub16HIPCUB_304000_NS6detail27convert_result_type_wrapperIS8_S9_N2at6native12_GLOBAL__N_19CustomMinEEEEE10hipError_tPvRmT0_T1_jT2_SQ_T4_T3_P12ihipStream_tbEUlT_E_NS1_11comp_targetILNS1_3genE2ELNS1_11target_archE906ELNS1_3gpuE6ELNS1_3repE0EEENS1_30default_config_static_selectorELNS0_4arch9wavefront6targetE1EEEvSP_.has_recursion, 0
	.set _ZN7rocprim17ROCPRIM_400000_NS6detail17trampoline_kernelINS0_14default_configENS1_32segmented_reduce_config_selectorIfEEZNS1_21segmented_reduce_implIS3_PKfPfPKlfN6hipcub16HIPCUB_304000_NS6detail27convert_result_type_wrapperIS8_S9_N2at6native12_GLOBAL__N_19CustomMinEEEEE10hipError_tPvRmT0_T1_jT2_SQ_T4_T3_P12ihipStream_tbEUlT_E_NS1_11comp_targetILNS1_3genE2ELNS1_11target_archE906ELNS1_3gpuE6ELNS1_3repE0EEENS1_30default_config_static_selectorELNS0_4arch9wavefront6targetE1EEEvSP_.has_indirect_call, 0
	.section	.AMDGPU.csdata,"",@progbits
; Kernel info:
; codeLenInByte = 6420
; TotalNumSgprs: 27
; NumVgprs: 33
; ScratchSize: 0
; MemoryBound: 0
; FloatMode: 240
; IeeeMode: 1
; LDSByteSize: 16 bytes/workgroup (compile time only)
; SGPRBlocks: 3
; VGPRBlocks: 8
; NumSGPRsForWavesPerEU: 27
; NumVGPRsForWavesPerEU: 33
; Occupancy: 7
; WaveLimiterHint : 1
; COMPUTE_PGM_RSRC2:SCRATCH_EN: 0
; COMPUTE_PGM_RSRC2:USER_SGPR: 6
; COMPUTE_PGM_RSRC2:TRAP_HANDLER: 0
; COMPUTE_PGM_RSRC2:TGID_X_EN: 1
; COMPUTE_PGM_RSRC2:TGID_Y_EN: 0
; COMPUTE_PGM_RSRC2:TGID_Z_EN: 0
; COMPUTE_PGM_RSRC2:TIDIG_COMP_CNT: 0
	.section	.text._ZN7rocprim17ROCPRIM_400000_NS6detail17trampoline_kernelINS0_14default_configENS1_32segmented_reduce_config_selectorIfEEZNS1_21segmented_reduce_implIS3_PKfPfPKlfN6hipcub16HIPCUB_304000_NS6detail27convert_result_type_wrapperIS8_S9_N2at6native12_GLOBAL__N_19CustomMinEEEEE10hipError_tPvRmT0_T1_jT2_SQ_T4_T3_P12ihipStream_tbEUlT_E_NS1_11comp_targetILNS1_3genE9ELNS1_11target_archE1100ELNS1_3gpuE3ELNS1_3repE0EEENS1_30default_config_static_selectorELNS0_4arch9wavefront6targetE1EEEvSP_,"axG",@progbits,_ZN7rocprim17ROCPRIM_400000_NS6detail17trampoline_kernelINS0_14default_configENS1_32segmented_reduce_config_selectorIfEEZNS1_21segmented_reduce_implIS3_PKfPfPKlfN6hipcub16HIPCUB_304000_NS6detail27convert_result_type_wrapperIS8_S9_N2at6native12_GLOBAL__N_19CustomMinEEEEE10hipError_tPvRmT0_T1_jT2_SQ_T4_T3_P12ihipStream_tbEUlT_E_NS1_11comp_targetILNS1_3genE9ELNS1_11target_archE1100ELNS1_3gpuE3ELNS1_3repE0EEENS1_30default_config_static_selectorELNS0_4arch9wavefront6targetE1EEEvSP_,comdat
	.globl	_ZN7rocprim17ROCPRIM_400000_NS6detail17trampoline_kernelINS0_14default_configENS1_32segmented_reduce_config_selectorIfEEZNS1_21segmented_reduce_implIS3_PKfPfPKlfN6hipcub16HIPCUB_304000_NS6detail27convert_result_type_wrapperIS8_S9_N2at6native12_GLOBAL__N_19CustomMinEEEEE10hipError_tPvRmT0_T1_jT2_SQ_T4_T3_P12ihipStream_tbEUlT_E_NS1_11comp_targetILNS1_3genE9ELNS1_11target_archE1100ELNS1_3gpuE3ELNS1_3repE0EEENS1_30default_config_static_selectorELNS0_4arch9wavefront6targetE1EEEvSP_ ; -- Begin function _ZN7rocprim17ROCPRIM_400000_NS6detail17trampoline_kernelINS0_14default_configENS1_32segmented_reduce_config_selectorIfEEZNS1_21segmented_reduce_implIS3_PKfPfPKlfN6hipcub16HIPCUB_304000_NS6detail27convert_result_type_wrapperIS8_S9_N2at6native12_GLOBAL__N_19CustomMinEEEEE10hipError_tPvRmT0_T1_jT2_SQ_T4_T3_P12ihipStream_tbEUlT_E_NS1_11comp_targetILNS1_3genE9ELNS1_11target_archE1100ELNS1_3gpuE3ELNS1_3repE0EEENS1_30default_config_static_selectorELNS0_4arch9wavefront6targetE1EEEvSP_
	.p2align	8
	.type	_ZN7rocprim17ROCPRIM_400000_NS6detail17trampoline_kernelINS0_14default_configENS1_32segmented_reduce_config_selectorIfEEZNS1_21segmented_reduce_implIS3_PKfPfPKlfN6hipcub16HIPCUB_304000_NS6detail27convert_result_type_wrapperIS8_S9_N2at6native12_GLOBAL__N_19CustomMinEEEEE10hipError_tPvRmT0_T1_jT2_SQ_T4_T3_P12ihipStream_tbEUlT_E_NS1_11comp_targetILNS1_3genE9ELNS1_11target_archE1100ELNS1_3gpuE3ELNS1_3repE0EEENS1_30default_config_static_selectorELNS0_4arch9wavefront6targetE1EEEvSP_,@function
_ZN7rocprim17ROCPRIM_400000_NS6detail17trampoline_kernelINS0_14default_configENS1_32segmented_reduce_config_selectorIfEEZNS1_21segmented_reduce_implIS3_PKfPfPKlfN6hipcub16HIPCUB_304000_NS6detail27convert_result_type_wrapperIS8_S9_N2at6native12_GLOBAL__N_19CustomMinEEEEE10hipError_tPvRmT0_T1_jT2_SQ_T4_T3_P12ihipStream_tbEUlT_E_NS1_11comp_targetILNS1_3genE9ELNS1_11target_archE1100ELNS1_3gpuE3ELNS1_3repE0EEENS1_30default_config_static_selectorELNS0_4arch9wavefront6targetE1EEEvSP_: ; @_ZN7rocprim17ROCPRIM_400000_NS6detail17trampoline_kernelINS0_14default_configENS1_32segmented_reduce_config_selectorIfEEZNS1_21segmented_reduce_implIS3_PKfPfPKlfN6hipcub16HIPCUB_304000_NS6detail27convert_result_type_wrapperIS8_S9_N2at6native12_GLOBAL__N_19CustomMinEEEEE10hipError_tPvRmT0_T1_jT2_SQ_T4_T3_P12ihipStream_tbEUlT_E_NS1_11comp_targetILNS1_3genE9ELNS1_11target_archE1100ELNS1_3gpuE3ELNS1_3repE0EEENS1_30default_config_static_selectorELNS0_4arch9wavefront6targetE1EEEvSP_
; %bb.0:
	.section	.rodata,"a",@progbits
	.p2align	6, 0x0
	.amdhsa_kernel _ZN7rocprim17ROCPRIM_400000_NS6detail17trampoline_kernelINS0_14default_configENS1_32segmented_reduce_config_selectorIfEEZNS1_21segmented_reduce_implIS3_PKfPfPKlfN6hipcub16HIPCUB_304000_NS6detail27convert_result_type_wrapperIS8_S9_N2at6native12_GLOBAL__N_19CustomMinEEEEE10hipError_tPvRmT0_T1_jT2_SQ_T4_T3_P12ihipStream_tbEUlT_E_NS1_11comp_targetILNS1_3genE9ELNS1_11target_archE1100ELNS1_3gpuE3ELNS1_3repE0EEENS1_30default_config_static_selectorELNS0_4arch9wavefront6targetE1EEEvSP_
		.amdhsa_group_segment_fixed_size 0
		.amdhsa_private_segment_fixed_size 0
		.amdhsa_kernarg_size 48
		.amdhsa_user_sgpr_count 6
		.amdhsa_user_sgpr_private_segment_buffer 1
		.amdhsa_user_sgpr_dispatch_ptr 0
		.amdhsa_user_sgpr_queue_ptr 0
		.amdhsa_user_sgpr_kernarg_segment_ptr 1
		.amdhsa_user_sgpr_dispatch_id 0
		.amdhsa_user_sgpr_flat_scratch_init 0
		.amdhsa_user_sgpr_private_segment_size 0
		.amdhsa_uses_dynamic_stack 0
		.amdhsa_system_sgpr_private_segment_wavefront_offset 0
		.amdhsa_system_sgpr_workgroup_id_x 1
		.amdhsa_system_sgpr_workgroup_id_y 0
		.amdhsa_system_sgpr_workgroup_id_z 0
		.amdhsa_system_sgpr_workgroup_info 0
		.amdhsa_system_vgpr_workitem_id 0
		.amdhsa_next_free_vgpr 1
		.amdhsa_next_free_sgpr 0
		.amdhsa_reserve_vcc 0
		.amdhsa_reserve_flat_scratch 0
		.amdhsa_float_round_mode_32 0
		.amdhsa_float_round_mode_16_64 0
		.amdhsa_float_denorm_mode_32 3
		.amdhsa_float_denorm_mode_16_64 3
		.amdhsa_dx10_clamp 1
		.amdhsa_ieee_mode 1
		.amdhsa_fp16_overflow 0
		.amdhsa_exception_fp_ieee_invalid_op 0
		.amdhsa_exception_fp_denorm_src 0
		.amdhsa_exception_fp_ieee_div_zero 0
		.amdhsa_exception_fp_ieee_overflow 0
		.amdhsa_exception_fp_ieee_underflow 0
		.amdhsa_exception_fp_ieee_inexact 0
		.amdhsa_exception_int_div_zero 0
	.end_amdhsa_kernel
	.section	.text._ZN7rocprim17ROCPRIM_400000_NS6detail17trampoline_kernelINS0_14default_configENS1_32segmented_reduce_config_selectorIfEEZNS1_21segmented_reduce_implIS3_PKfPfPKlfN6hipcub16HIPCUB_304000_NS6detail27convert_result_type_wrapperIS8_S9_N2at6native12_GLOBAL__N_19CustomMinEEEEE10hipError_tPvRmT0_T1_jT2_SQ_T4_T3_P12ihipStream_tbEUlT_E_NS1_11comp_targetILNS1_3genE9ELNS1_11target_archE1100ELNS1_3gpuE3ELNS1_3repE0EEENS1_30default_config_static_selectorELNS0_4arch9wavefront6targetE1EEEvSP_,"axG",@progbits,_ZN7rocprim17ROCPRIM_400000_NS6detail17trampoline_kernelINS0_14default_configENS1_32segmented_reduce_config_selectorIfEEZNS1_21segmented_reduce_implIS3_PKfPfPKlfN6hipcub16HIPCUB_304000_NS6detail27convert_result_type_wrapperIS8_S9_N2at6native12_GLOBAL__N_19CustomMinEEEEE10hipError_tPvRmT0_T1_jT2_SQ_T4_T3_P12ihipStream_tbEUlT_E_NS1_11comp_targetILNS1_3genE9ELNS1_11target_archE1100ELNS1_3gpuE3ELNS1_3repE0EEENS1_30default_config_static_selectorELNS0_4arch9wavefront6targetE1EEEvSP_,comdat
.Lfunc_end202:
	.size	_ZN7rocprim17ROCPRIM_400000_NS6detail17trampoline_kernelINS0_14default_configENS1_32segmented_reduce_config_selectorIfEEZNS1_21segmented_reduce_implIS3_PKfPfPKlfN6hipcub16HIPCUB_304000_NS6detail27convert_result_type_wrapperIS8_S9_N2at6native12_GLOBAL__N_19CustomMinEEEEE10hipError_tPvRmT0_T1_jT2_SQ_T4_T3_P12ihipStream_tbEUlT_E_NS1_11comp_targetILNS1_3genE9ELNS1_11target_archE1100ELNS1_3gpuE3ELNS1_3repE0EEENS1_30default_config_static_selectorELNS0_4arch9wavefront6targetE1EEEvSP_, .Lfunc_end202-_ZN7rocprim17ROCPRIM_400000_NS6detail17trampoline_kernelINS0_14default_configENS1_32segmented_reduce_config_selectorIfEEZNS1_21segmented_reduce_implIS3_PKfPfPKlfN6hipcub16HIPCUB_304000_NS6detail27convert_result_type_wrapperIS8_S9_N2at6native12_GLOBAL__N_19CustomMinEEEEE10hipError_tPvRmT0_T1_jT2_SQ_T4_T3_P12ihipStream_tbEUlT_E_NS1_11comp_targetILNS1_3genE9ELNS1_11target_archE1100ELNS1_3gpuE3ELNS1_3repE0EEENS1_30default_config_static_selectorELNS0_4arch9wavefront6targetE1EEEvSP_
                                        ; -- End function
	.set _ZN7rocprim17ROCPRIM_400000_NS6detail17trampoline_kernelINS0_14default_configENS1_32segmented_reduce_config_selectorIfEEZNS1_21segmented_reduce_implIS3_PKfPfPKlfN6hipcub16HIPCUB_304000_NS6detail27convert_result_type_wrapperIS8_S9_N2at6native12_GLOBAL__N_19CustomMinEEEEE10hipError_tPvRmT0_T1_jT2_SQ_T4_T3_P12ihipStream_tbEUlT_E_NS1_11comp_targetILNS1_3genE9ELNS1_11target_archE1100ELNS1_3gpuE3ELNS1_3repE0EEENS1_30default_config_static_selectorELNS0_4arch9wavefront6targetE1EEEvSP_.num_vgpr, 0
	.set _ZN7rocprim17ROCPRIM_400000_NS6detail17trampoline_kernelINS0_14default_configENS1_32segmented_reduce_config_selectorIfEEZNS1_21segmented_reduce_implIS3_PKfPfPKlfN6hipcub16HIPCUB_304000_NS6detail27convert_result_type_wrapperIS8_S9_N2at6native12_GLOBAL__N_19CustomMinEEEEE10hipError_tPvRmT0_T1_jT2_SQ_T4_T3_P12ihipStream_tbEUlT_E_NS1_11comp_targetILNS1_3genE9ELNS1_11target_archE1100ELNS1_3gpuE3ELNS1_3repE0EEENS1_30default_config_static_selectorELNS0_4arch9wavefront6targetE1EEEvSP_.num_agpr, 0
	.set _ZN7rocprim17ROCPRIM_400000_NS6detail17trampoline_kernelINS0_14default_configENS1_32segmented_reduce_config_selectorIfEEZNS1_21segmented_reduce_implIS3_PKfPfPKlfN6hipcub16HIPCUB_304000_NS6detail27convert_result_type_wrapperIS8_S9_N2at6native12_GLOBAL__N_19CustomMinEEEEE10hipError_tPvRmT0_T1_jT2_SQ_T4_T3_P12ihipStream_tbEUlT_E_NS1_11comp_targetILNS1_3genE9ELNS1_11target_archE1100ELNS1_3gpuE3ELNS1_3repE0EEENS1_30default_config_static_selectorELNS0_4arch9wavefront6targetE1EEEvSP_.numbered_sgpr, 0
	.set _ZN7rocprim17ROCPRIM_400000_NS6detail17trampoline_kernelINS0_14default_configENS1_32segmented_reduce_config_selectorIfEEZNS1_21segmented_reduce_implIS3_PKfPfPKlfN6hipcub16HIPCUB_304000_NS6detail27convert_result_type_wrapperIS8_S9_N2at6native12_GLOBAL__N_19CustomMinEEEEE10hipError_tPvRmT0_T1_jT2_SQ_T4_T3_P12ihipStream_tbEUlT_E_NS1_11comp_targetILNS1_3genE9ELNS1_11target_archE1100ELNS1_3gpuE3ELNS1_3repE0EEENS1_30default_config_static_selectorELNS0_4arch9wavefront6targetE1EEEvSP_.num_named_barrier, 0
	.set _ZN7rocprim17ROCPRIM_400000_NS6detail17trampoline_kernelINS0_14default_configENS1_32segmented_reduce_config_selectorIfEEZNS1_21segmented_reduce_implIS3_PKfPfPKlfN6hipcub16HIPCUB_304000_NS6detail27convert_result_type_wrapperIS8_S9_N2at6native12_GLOBAL__N_19CustomMinEEEEE10hipError_tPvRmT0_T1_jT2_SQ_T4_T3_P12ihipStream_tbEUlT_E_NS1_11comp_targetILNS1_3genE9ELNS1_11target_archE1100ELNS1_3gpuE3ELNS1_3repE0EEENS1_30default_config_static_selectorELNS0_4arch9wavefront6targetE1EEEvSP_.private_seg_size, 0
	.set _ZN7rocprim17ROCPRIM_400000_NS6detail17trampoline_kernelINS0_14default_configENS1_32segmented_reduce_config_selectorIfEEZNS1_21segmented_reduce_implIS3_PKfPfPKlfN6hipcub16HIPCUB_304000_NS6detail27convert_result_type_wrapperIS8_S9_N2at6native12_GLOBAL__N_19CustomMinEEEEE10hipError_tPvRmT0_T1_jT2_SQ_T4_T3_P12ihipStream_tbEUlT_E_NS1_11comp_targetILNS1_3genE9ELNS1_11target_archE1100ELNS1_3gpuE3ELNS1_3repE0EEENS1_30default_config_static_selectorELNS0_4arch9wavefront6targetE1EEEvSP_.uses_vcc, 0
	.set _ZN7rocprim17ROCPRIM_400000_NS6detail17trampoline_kernelINS0_14default_configENS1_32segmented_reduce_config_selectorIfEEZNS1_21segmented_reduce_implIS3_PKfPfPKlfN6hipcub16HIPCUB_304000_NS6detail27convert_result_type_wrapperIS8_S9_N2at6native12_GLOBAL__N_19CustomMinEEEEE10hipError_tPvRmT0_T1_jT2_SQ_T4_T3_P12ihipStream_tbEUlT_E_NS1_11comp_targetILNS1_3genE9ELNS1_11target_archE1100ELNS1_3gpuE3ELNS1_3repE0EEENS1_30default_config_static_selectorELNS0_4arch9wavefront6targetE1EEEvSP_.uses_flat_scratch, 0
	.set _ZN7rocprim17ROCPRIM_400000_NS6detail17trampoline_kernelINS0_14default_configENS1_32segmented_reduce_config_selectorIfEEZNS1_21segmented_reduce_implIS3_PKfPfPKlfN6hipcub16HIPCUB_304000_NS6detail27convert_result_type_wrapperIS8_S9_N2at6native12_GLOBAL__N_19CustomMinEEEEE10hipError_tPvRmT0_T1_jT2_SQ_T4_T3_P12ihipStream_tbEUlT_E_NS1_11comp_targetILNS1_3genE9ELNS1_11target_archE1100ELNS1_3gpuE3ELNS1_3repE0EEENS1_30default_config_static_selectorELNS0_4arch9wavefront6targetE1EEEvSP_.has_dyn_sized_stack, 0
	.set _ZN7rocprim17ROCPRIM_400000_NS6detail17trampoline_kernelINS0_14default_configENS1_32segmented_reduce_config_selectorIfEEZNS1_21segmented_reduce_implIS3_PKfPfPKlfN6hipcub16HIPCUB_304000_NS6detail27convert_result_type_wrapperIS8_S9_N2at6native12_GLOBAL__N_19CustomMinEEEEE10hipError_tPvRmT0_T1_jT2_SQ_T4_T3_P12ihipStream_tbEUlT_E_NS1_11comp_targetILNS1_3genE9ELNS1_11target_archE1100ELNS1_3gpuE3ELNS1_3repE0EEENS1_30default_config_static_selectorELNS0_4arch9wavefront6targetE1EEEvSP_.has_recursion, 0
	.set _ZN7rocprim17ROCPRIM_400000_NS6detail17trampoline_kernelINS0_14default_configENS1_32segmented_reduce_config_selectorIfEEZNS1_21segmented_reduce_implIS3_PKfPfPKlfN6hipcub16HIPCUB_304000_NS6detail27convert_result_type_wrapperIS8_S9_N2at6native12_GLOBAL__N_19CustomMinEEEEE10hipError_tPvRmT0_T1_jT2_SQ_T4_T3_P12ihipStream_tbEUlT_E_NS1_11comp_targetILNS1_3genE9ELNS1_11target_archE1100ELNS1_3gpuE3ELNS1_3repE0EEENS1_30default_config_static_selectorELNS0_4arch9wavefront6targetE1EEEvSP_.has_indirect_call, 0
	.section	.AMDGPU.csdata,"",@progbits
; Kernel info:
; codeLenInByte = 0
; TotalNumSgprs: 4
; NumVgprs: 0
; ScratchSize: 0
; MemoryBound: 0
; FloatMode: 240
; IeeeMode: 1
; LDSByteSize: 0 bytes/workgroup (compile time only)
; SGPRBlocks: 0
; VGPRBlocks: 0
; NumSGPRsForWavesPerEU: 4
; NumVGPRsForWavesPerEU: 1
; Occupancy: 10
; WaveLimiterHint : 0
; COMPUTE_PGM_RSRC2:SCRATCH_EN: 0
; COMPUTE_PGM_RSRC2:USER_SGPR: 6
; COMPUTE_PGM_RSRC2:TRAP_HANDLER: 0
; COMPUTE_PGM_RSRC2:TGID_X_EN: 1
; COMPUTE_PGM_RSRC2:TGID_Y_EN: 0
; COMPUTE_PGM_RSRC2:TGID_Z_EN: 0
; COMPUTE_PGM_RSRC2:TIDIG_COMP_CNT: 0
	.section	.text._ZN7rocprim17ROCPRIM_400000_NS6detail17trampoline_kernelINS0_14default_configENS1_32segmented_reduce_config_selectorIfEEZNS1_21segmented_reduce_implIS3_PKfPfPKlfN6hipcub16HIPCUB_304000_NS6detail27convert_result_type_wrapperIS8_S9_N2at6native12_GLOBAL__N_19CustomMinEEEEE10hipError_tPvRmT0_T1_jT2_SQ_T4_T3_P12ihipStream_tbEUlT_E_NS1_11comp_targetILNS1_3genE8ELNS1_11target_archE1030ELNS1_3gpuE2ELNS1_3repE0EEENS1_30default_config_static_selectorELNS0_4arch9wavefront6targetE1EEEvSP_,"axG",@progbits,_ZN7rocprim17ROCPRIM_400000_NS6detail17trampoline_kernelINS0_14default_configENS1_32segmented_reduce_config_selectorIfEEZNS1_21segmented_reduce_implIS3_PKfPfPKlfN6hipcub16HIPCUB_304000_NS6detail27convert_result_type_wrapperIS8_S9_N2at6native12_GLOBAL__N_19CustomMinEEEEE10hipError_tPvRmT0_T1_jT2_SQ_T4_T3_P12ihipStream_tbEUlT_E_NS1_11comp_targetILNS1_3genE8ELNS1_11target_archE1030ELNS1_3gpuE2ELNS1_3repE0EEENS1_30default_config_static_selectorELNS0_4arch9wavefront6targetE1EEEvSP_,comdat
	.globl	_ZN7rocprim17ROCPRIM_400000_NS6detail17trampoline_kernelINS0_14default_configENS1_32segmented_reduce_config_selectorIfEEZNS1_21segmented_reduce_implIS3_PKfPfPKlfN6hipcub16HIPCUB_304000_NS6detail27convert_result_type_wrapperIS8_S9_N2at6native12_GLOBAL__N_19CustomMinEEEEE10hipError_tPvRmT0_T1_jT2_SQ_T4_T3_P12ihipStream_tbEUlT_E_NS1_11comp_targetILNS1_3genE8ELNS1_11target_archE1030ELNS1_3gpuE2ELNS1_3repE0EEENS1_30default_config_static_selectorELNS0_4arch9wavefront6targetE1EEEvSP_ ; -- Begin function _ZN7rocprim17ROCPRIM_400000_NS6detail17trampoline_kernelINS0_14default_configENS1_32segmented_reduce_config_selectorIfEEZNS1_21segmented_reduce_implIS3_PKfPfPKlfN6hipcub16HIPCUB_304000_NS6detail27convert_result_type_wrapperIS8_S9_N2at6native12_GLOBAL__N_19CustomMinEEEEE10hipError_tPvRmT0_T1_jT2_SQ_T4_T3_P12ihipStream_tbEUlT_E_NS1_11comp_targetILNS1_3genE8ELNS1_11target_archE1030ELNS1_3gpuE2ELNS1_3repE0EEENS1_30default_config_static_selectorELNS0_4arch9wavefront6targetE1EEEvSP_
	.p2align	8
	.type	_ZN7rocprim17ROCPRIM_400000_NS6detail17trampoline_kernelINS0_14default_configENS1_32segmented_reduce_config_selectorIfEEZNS1_21segmented_reduce_implIS3_PKfPfPKlfN6hipcub16HIPCUB_304000_NS6detail27convert_result_type_wrapperIS8_S9_N2at6native12_GLOBAL__N_19CustomMinEEEEE10hipError_tPvRmT0_T1_jT2_SQ_T4_T3_P12ihipStream_tbEUlT_E_NS1_11comp_targetILNS1_3genE8ELNS1_11target_archE1030ELNS1_3gpuE2ELNS1_3repE0EEENS1_30default_config_static_selectorELNS0_4arch9wavefront6targetE1EEEvSP_,@function
_ZN7rocprim17ROCPRIM_400000_NS6detail17trampoline_kernelINS0_14default_configENS1_32segmented_reduce_config_selectorIfEEZNS1_21segmented_reduce_implIS3_PKfPfPKlfN6hipcub16HIPCUB_304000_NS6detail27convert_result_type_wrapperIS8_S9_N2at6native12_GLOBAL__N_19CustomMinEEEEE10hipError_tPvRmT0_T1_jT2_SQ_T4_T3_P12ihipStream_tbEUlT_E_NS1_11comp_targetILNS1_3genE8ELNS1_11target_archE1030ELNS1_3gpuE2ELNS1_3repE0EEENS1_30default_config_static_selectorELNS0_4arch9wavefront6targetE1EEEvSP_: ; @_ZN7rocprim17ROCPRIM_400000_NS6detail17trampoline_kernelINS0_14default_configENS1_32segmented_reduce_config_selectorIfEEZNS1_21segmented_reduce_implIS3_PKfPfPKlfN6hipcub16HIPCUB_304000_NS6detail27convert_result_type_wrapperIS8_S9_N2at6native12_GLOBAL__N_19CustomMinEEEEE10hipError_tPvRmT0_T1_jT2_SQ_T4_T3_P12ihipStream_tbEUlT_E_NS1_11comp_targetILNS1_3genE8ELNS1_11target_archE1030ELNS1_3gpuE2ELNS1_3repE0EEENS1_30default_config_static_selectorELNS0_4arch9wavefront6targetE1EEEvSP_
; %bb.0:
	.section	.rodata,"a",@progbits
	.p2align	6, 0x0
	.amdhsa_kernel _ZN7rocprim17ROCPRIM_400000_NS6detail17trampoline_kernelINS0_14default_configENS1_32segmented_reduce_config_selectorIfEEZNS1_21segmented_reduce_implIS3_PKfPfPKlfN6hipcub16HIPCUB_304000_NS6detail27convert_result_type_wrapperIS8_S9_N2at6native12_GLOBAL__N_19CustomMinEEEEE10hipError_tPvRmT0_T1_jT2_SQ_T4_T3_P12ihipStream_tbEUlT_E_NS1_11comp_targetILNS1_3genE8ELNS1_11target_archE1030ELNS1_3gpuE2ELNS1_3repE0EEENS1_30default_config_static_selectorELNS0_4arch9wavefront6targetE1EEEvSP_
		.amdhsa_group_segment_fixed_size 0
		.amdhsa_private_segment_fixed_size 0
		.amdhsa_kernarg_size 48
		.amdhsa_user_sgpr_count 6
		.amdhsa_user_sgpr_private_segment_buffer 1
		.amdhsa_user_sgpr_dispatch_ptr 0
		.amdhsa_user_sgpr_queue_ptr 0
		.amdhsa_user_sgpr_kernarg_segment_ptr 1
		.amdhsa_user_sgpr_dispatch_id 0
		.amdhsa_user_sgpr_flat_scratch_init 0
		.amdhsa_user_sgpr_private_segment_size 0
		.amdhsa_uses_dynamic_stack 0
		.amdhsa_system_sgpr_private_segment_wavefront_offset 0
		.amdhsa_system_sgpr_workgroup_id_x 1
		.amdhsa_system_sgpr_workgroup_id_y 0
		.amdhsa_system_sgpr_workgroup_id_z 0
		.amdhsa_system_sgpr_workgroup_info 0
		.amdhsa_system_vgpr_workitem_id 0
		.amdhsa_next_free_vgpr 1
		.amdhsa_next_free_sgpr 0
		.amdhsa_reserve_vcc 0
		.amdhsa_reserve_flat_scratch 0
		.amdhsa_float_round_mode_32 0
		.amdhsa_float_round_mode_16_64 0
		.amdhsa_float_denorm_mode_32 3
		.amdhsa_float_denorm_mode_16_64 3
		.amdhsa_dx10_clamp 1
		.amdhsa_ieee_mode 1
		.amdhsa_fp16_overflow 0
		.amdhsa_exception_fp_ieee_invalid_op 0
		.amdhsa_exception_fp_denorm_src 0
		.amdhsa_exception_fp_ieee_div_zero 0
		.amdhsa_exception_fp_ieee_overflow 0
		.amdhsa_exception_fp_ieee_underflow 0
		.amdhsa_exception_fp_ieee_inexact 0
		.amdhsa_exception_int_div_zero 0
	.end_amdhsa_kernel
	.section	.text._ZN7rocprim17ROCPRIM_400000_NS6detail17trampoline_kernelINS0_14default_configENS1_32segmented_reduce_config_selectorIfEEZNS1_21segmented_reduce_implIS3_PKfPfPKlfN6hipcub16HIPCUB_304000_NS6detail27convert_result_type_wrapperIS8_S9_N2at6native12_GLOBAL__N_19CustomMinEEEEE10hipError_tPvRmT0_T1_jT2_SQ_T4_T3_P12ihipStream_tbEUlT_E_NS1_11comp_targetILNS1_3genE8ELNS1_11target_archE1030ELNS1_3gpuE2ELNS1_3repE0EEENS1_30default_config_static_selectorELNS0_4arch9wavefront6targetE1EEEvSP_,"axG",@progbits,_ZN7rocprim17ROCPRIM_400000_NS6detail17trampoline_kernelINS0_14default_configENS1_32segmented_reduce_config_selectorIfEEZNS1_21segmented_reduce_implIS3_PKfPfPKlfN6hipcub16HIPCUB_304000_NS6detail27convert_result_type_wrapperIS8_S9_N2at6native12_GLOBAL__N_19CustomMinEEEEE10hipError_tPvRmT0_T1_jT2_SQ_T4_T3_P12ihipStream_tbEUlT_E_NS1_11comp_targetILNS1_3genE8ELNS1_11target_archE1030ELNS1_3gpuE2ELNS1_3repE0EEENS1_30default_config_static_selectorELNS0_4arch9wavefront6targetE1EEEvSP_,comdat
.Lfunc_end203:
	.size	_ZN7rocprim17ROCPRIM_400000_NS6detail17trampoline_kernelINS0_14default_configENS1_32segmented_reduce_config_selectorIfEEZNS1_21segmented_reduce_implIS3_PKfPfPKlfN6hipcub16HIPCUB_304000_NS6detail27convert_result_type_wrapperIS8_S9_N2at6native12_GLOBAL__N_19CustomMinEEEEE10hipError_tPvRmT0_T1_jT2_SQ_T4_T3_P12ihipStream_tbEUlT_E_NS1_11comp_targetILNS1_3genE8ELNS1_11target_archE1030ELNS1_3gpuE2ELNS1_3repE0EEENS1_30default_config_static_selectorELNS0_4arch9wavefront6targetE1EEEvSP_, .Lfunc_end203-_ZN7rocprim17ROCPRIM_400000_NS6detail17trampoline_kernelINS0_14default_configENS1_32segmented_reduce_config_selectorIfEEZNS1_21segmented_reduce_implIS3_PKfPfPKlfN6hipcub16HIPCUB_304000_NS6detail27convert_result_type_wrapperIS8_S9_N2at6native12_GLOBAL__N_19CustomMinEEEEE10hipError_tPvRmT0_T1_jT2_SQ_T4_T3_P12ihipStream_tbEUlT_E_NS1_11comp_targetILNS1_3genE8ELNS1_11target_archE1030ELNS1_3gpuE2ELNS1_3repE0EEENS1_30default_config_static_selectorELNS0_4arch9wavefront6targetE1EEEvSP_
                                        ; -- End function
	.set _ZN7rocprim17ROCPRIM_400000_NS6detail17trampoline_kernelINS0_14default_configENS1_32segmented_reduce_config_selectorIfEEZNS1_21segmented_reduce_implIS3_PKfPfPKlfN6hipcub16HIPCUB_304000_NS6detail27convert_result_type_wrapperIS8_S9_N2at6native12_GLOBAL__N_19CustomMinEEEEE10hipError_tPvRmT0_T1_jT2_SQ_T4_T3_P12ihipStream_tbEUlT_E_NS1_11comp_targetILNS1_3genE8ELNS1_11target_archE1030ELNS1_3gpuE2ELNS1_3repE0EEENS1_30default_config_static_selectorELNS0_4arch9wavefront6targetE1EEEvSP_.num_vgpr, 0
	.set _ZN7rocprim17ROCPRIM_400000_NS6detail17trampoline_kernelINS0_14default_configENS1_32segmented_reduce_config_selectorIfEEZNS1_21segmented_reduce_implIS3_PKfPfPKlfN6hipcub16HIPCUB_304000_NS6detail27convert_result_type_wrapperIS8_S9_N2at6native12_GLOBAL__N_19CustomMinEEEEE10hipError_tPvRmT0_T1_jT2_SQ_T4_T3_P12ihipStream_tbEUlT_E_NS1_11comp_targetILNS1_3genE8ELNS1_11target_archE1030ELNS1_3gpuE2ELNS1_3repE0EEENS1_30default_config_static_selectorELNS0_4arch9wavefront6targetE1EEEvSP_.num_agpr, 0
	.set _ZN7rocprim17ROCPRIM_400000_NS6detail17trampoline_kernelINS0_14default_configENS1_32segmented_reduce_config_selectorIfEEZNS1_21segmented_reduce_implIS3_PKfPfPKlfN6hipcub16HIPCUB_304000_NS6detail27convert_result_type_wrapperIS8_S9_N2at6native12_GLOBAL__N_19CustomMinEEEEE10hipError_tPvRmT0_T1_jT2_SQ_T4_T3_P12ihipStream_tbEUlT_E_NS1_11comp_targetILNS1_3genE8ELNS1_11target_archE1030ELNS1_3gpuE2ELNS1_3repE0EEENS1_30default_config_static_selectorELNS0_4arch9wavefront6targetE1EEEvSP_.numbered_sgpr, 0
	.set _ZN7rocprim17ROCPRIM_400000_NS6detail17trampoline_kernelINS0_14default_configENS1_32segmented_reduce_config_selectorIfEEZNS1_21segmented_reduce_implIS3_PKfPfPKlfN6hipcub16HIPCUB_304000_NS6detail27convert_result_type_wrapperIS8_S9_N2at6native12_GLOBAL__N_19CustomMinEEEEE10hipError_tPvRmT0_T1_jT2_SQ_T4_T3_P12ihipStream_tbEUlT_E_NS1_11comp_targetILNS1_3genE8ELNS1_11target_archE1030ELNS1_3gpuE2ELNS1_3repE0EEENS1_30default_config_static_selectorELNS0_4arch9wavefront6targetE1EEEvSP_.num_named_barrier, 0
	.set _ZN7rocprim17ROCPRIM_400000_NS6detail17trampoline_kernelINS0_14default_configENS1_32segmented_reduce_config_selectorIfEEZNS1_21segmented_reduce_implIS3_PKfPfPKlfN6hipcub16HIPCUB_304000_NS6detail27convert_result_type_wrapperIS8_S9_N2at6native12_GLOBAL__N_19CustomMinEEEEE10hipError_tPvRmT0_T1_jT2_SQ_T4_T3_P12ihipStream_tbEUlT_E_NS1_11comp_targetILNS1_3genE8ELNS1_11target_archE1030ELNS1_3gpuE2ELNS1_3repE0EEENS1_30default_config_static_selectorELNS0_4arch9wavefront6targetE1EEEvSP_.private_seg_size, 0
	.set _ZN7rocprim17ROCPRIM_400000_NS6detail17trampoline_kernelINS0_14default_configENS1_32segmented_reduce_config_selectorIfEEZNS1_21segmented_reduce_implIS3_PKfPfPKlfN6hipcub16HIPCUB_304000_NS6detail27convert_result_type_wrapperIS8_S9_N2at6native12_GLOBAL__N_19CustomMinEEEEE10hipError_tPvRmT0_T1_jT2_SQ_T4_T3_P12ihipStream_tbEUlT_E_NS1_11comp_targetILNS1_3genE8ELNS1_11target_archE1030ELNS1_3gpuE2ELNS1_3repE0EEENS1_30default_config_static_selectorELNS0_4arch9wavefront6targetE1EEEvSP_.uses_vcc, 0
	.set _ZN7rocprim17ROCPRIM_400000_NS6detail17trampoline_kernelINS0_14default_configENS1_32segmented_reduce_config_selectorIfEEZNS1_21segmented_reduce_implIS3_PKfPfPKlfN6hipcub16HIPCUB_304000_NS6detail27convert_result_type_wrapperIS8_S9_N2at6native12_GLOBAL__N_19CustomMinEEEEE10hipError_tPvRmT0_T1_jT2_SQ_T4_T3_P12ihipStream_tbEUlT_E_NS1_11comp_targetILNS1_3genE8ELNS1_11target_archE1030ELNS1_3gpuE2ELNS1_3repE0EEENS1_30default_config_static_selectorELNS0_4arch9wavefront6targetE1EEEvSP_.uses_flat_scratch, 0
	.set _ZN7rocprim17ROCPRIM_400000_NS6detail17trampoline_kernelINS0_14default_configENS1_32segmented_reduce_config_selectorIfEEZNS1_21segmented_reduce_implIS3_PKfPfPKlfN6hipcub16HIPCUB_304000_NS6detail27convert_result_type_wrapperIS8_S9_N2at6native12_GLOBAL__N_19CustomMinEEEEE10hipError_tPvRmT0_T1_jT2_SQ_T4_T3_P12ihipStream_tbEUlT_E_NS1_11comp_targetILNS1_3genE8ELNS1_11target_archE1030ELNS1_3gpuE2ELNS1_3repE0EEENS1_30default_config_static_selectorELNS0_4arch9wavefront6targetE1EEEvSP_.has_dyn_sized_stack, 0
	.set _ZN7rocprim17ROCPRIM_400000_NS6detail17trampoline_kernelINS0_14default_configENS1_32segmented_reduce_config_selectorIfEEZNS1_21segmented_reduce_implIS3_PKfPfPKlfN6hipcub16HIPCUB_304000_NS6detail27convert_result_type_wrapperIS8_S9_N2at6native12_GLOBAL__N_19CustomMinEEEEE10hipError_tPvRmT0_T1_jT2_SQ_T4_T3_P12ihipStream_tbEUlT_E_NS1_11comp_targetILNS1_3genE8ELNS1_11target_archE1030ELNS1_3gpuE2ELNS1_3repE0EEENS1_30default_config_static_selectorELNS0_4arch9wavefront6targetE1EEEvSP_.has_recursion, 0
	.set _ZN7rocprim17ROCPRIM_400000_NS6detail17trampoline_kernelINS0_14default_configENS1_32segmented_reduce_config_selectorIfEEZNS1_21segmented_reduce_implIS3_PKfPfPKlfN6hipcub16HIPCUB_304000_NS6detail27convert_result_type_wrapperIS8_S9_N2at6native12_GLOBAL__N_19CustomMinEEEEE10hipError_tPvRmT0_T1_jT2_SQ_T4_T3_P12ihipStream_tbEUlT_E_NS1_11comp_targetILNS1_3genE8ELNS1_11target_archE1030ELNS1_3gpuE2ELNS1_3repE0EEENS1_30default_config_static_selectorELNS0_4arch9wavefront6targetE1EEEvSP_.has_indirect_call, 0
	.section	.AMDGPU.csdata,"",@progbits
; Kernel info:
; codeLenInByte = 0
; TotalNumSgprs: 4
; NumVgprs: 0
; ScratchSize: 0
; MemoryBound: 0
; FloatMode: 240
; IeeeMode: 1
; LDSByteSize: 0 bytes/workgroup (compile time only)
; SGPRBlocks: 0
; VGPRBlocks: 0
; NumSGPRsForWavesPerEU: 4
; NumVGPRsForWavesPerEU: 1
; Occupancy: 10
; WaveLimiterHint : 0
; COMPUTE_PGM_RSRC2:SCRATCH_EN: 0
; COMPUTE_PGM_RSRC2:USER_SGPR: 6
; COMPUTE_PGM_RSRC2:TRAP_HANDLER: 0
; COMPUTE_PGM_RSRC2:TGID_X_EN: 1
; COMPUTE_PGM_RSRC2:TGID_Y_EN: 0
; COMPUTE_PGM_RSRC2:TGID_Z_EN: 0
; COMPUTE_PGM_RSRC2:TIDIG_COMP_CNT: 0
	.section	.text._ZN7rocprim17ROCPRIM_400000_NS6detail17trampoline_kernelINS0_14default_configENS1_32segmented_reduce_config_selectorIfEEZNS1_21segmented_reduce_implIS3_PKfPfPKlfN6hipcub16HIPCUB_304000_NS6detail27convert_result_type_wrapperIS8_S9_N2at6native12_GLOBAL__N_110CustomProdEEEEE10hipError_tPvRmT0_T1_jT2_SQ_T4_T3_P12ihipStream_tbEUlT_E_NS1_11comp_targetILNS1_3genE0ELNS1_11target_archE4294967295ELNS1_3gpuE0ELNS1_3repE0EEENS1_30default_config_static_selectorELNS0_4arch9wavefront6targetE1EEEvSP_,"axG",@progbits,_ZN7rocprim17ROCPRIM_400000_NS6detail17trampoline_kernelINS0_14default_configENS1_32segmented_reduce_config_selectorIfEEZNS1_21segmented_reduce_implIS3_PKfPfPKlfN6hipcub16HIPCUB_304000_NS6detail27convert_result_type_wrapperIS8_S9_N2at6native12_GLOBAL__N_110CustomProdEEEEE10hipError_tPvRmT0_T1_jT2_SQ_T4_T3_P12ihipStream_tbEUlT_E_NS1_11comp_targetILNS1_3genE0ELNS1_11target_archE4294967295ELNS1_3gpuE0ELNS1_3repE0EEENS1_30default_config_static_selectorELNS0_4arch9wavefront6targetE1EEEvSP_,comdat
	.globl	_ZN7rocprim17ROCPRIM_400000_NS6detail17trampoline_kernelINS0_14default_configENS1_32segmented_reduce_config_selectorIfEEZNS1_21segmented_reduce_implIS3_PKfPfPKlfN6hipcub16HIPCUB_304000_NS6detail27convert_result_type_wrapperIS8_S9_N2at6native12_GLOBAL__N_110CustomProdEEEEE10hipError_tPvRmT0_T1_jT2_SQ_T4_T3_P12ihipStream_tbEUlT_E_NS1_11comp_targetILNS1_3genE0ELNS1_11target_archE4294967295ELNS1_3gpuE0ELNS1_3repE0EEENS1_30default_config_static_selectorELNS0_4arch9wavefront6targetE1EEEvSP_ ; -- Begin function _ZN7rocprim17ROCPRIM_400000_NS6detail17trampoline_kernelINS0_14default_configENS1_32segmented_reduce_config_selectorIfEEZNS1_21segmented_reduce_implIS3_PKfPfPKlfN6hipcub16HIPCUB_304000_NS6detail27convert_result_type_wrapperIS8_S9_N2at6native12_GLOBAL__N_110CustomProdEEEEE10hipError_tPvRmT0_T1_jT2_SQ_T4_T3_P12ihipStream_tbEUlT_E_NS1_11comp_targetILNS1_3genE0ELNS1_11target_archE4294967295ELNS1_3gpuE0ELNS1_3repE0EEENS1_30default_config_static_selectorELNS0_4arch9wavefront6targetE1EEEvSP_
	.p2align	8
	.type	_ZN7rocprim17ROCPRIM_400000_NS6detail17trampoline_kernelINS0_14default_configENS1_32segmented_reduce_config_selectorIfEEZNS1_21segmented_reduce_implIS3_PKfPfPKlfN6hipcub16HIPCUB_304000_NS6detail27convert_result_type_wrapperIS8_S9_N2at6native12_GLOBAL__N_110CustomProdEEEEE10hipError_tPvRmT0_T1_jT2_SQ_T4_T3_P12ihipStream_tbEUlT_E_NS1_11comp_targetILNS1_3genE0ELNS1_11target_archE4294967295ELNS1_3gpuE0ELNS1_3repE0EEENS1_30default_config_static_selectorELNS0_4arch9wavefront6targetE1EEEvSP_,@function
_ZN7rocprim17ROCPRIM_400000_NS6detail17trampoline_kernelINS0_14default_configENS1_32segmented_reduce_config_selectorIfEEZNS1_21segmented_reduce_implIS3_PKfPfPKlfN6hipcub16HIPCUB_304000_NS6detail27convert_result_type_wrapperIS8_S9_N2at6native12_GLOBAL__N_110CustomProdEEEEE10hipError_tPvRmT0_T1_jT2_SQ_T4_T3_P12ihipStream_tbEUlT_E_NS1_11comp_targetILNS1_3genE0ELNS1_11target_archE4294967295ELNS1_3gpuE0ELNS1_3repE0EEENS1_30default_config_static_selectorELNS0_4arch9wavefront6targetE1EEEvSP_: ; @_ZN7rocprim17ROCPRIM_400000_NS6detail17trampoline_kernelINS0_14default_configENS1_32segmented_reduce_config_selectorIfEEZNS1_21segmented_reduce_implIS3_PKfPfPKlfN6hipcub16HIPCUB_304000_NS6detail27convert_result_type_wrapperIS8_S9_N2at6native12_GLOBAL__N_110CustomProdEEEEE10hipError_tPvRmT0_T1_jT2_SQ_T4_T3_P12ihipStream_tbEUlT_E_NS1_11comp_targetILNS1_3genE0ELNS1_11target_archE4294967295ELNS1_3gpuE0ELNS1_3repE0EEENS1_30default_config_static_selectorELNS0_4arch9wavefront6targetE1EEEvSP_
; %bb.0:
	.section	.rodata,"a",@progbits
	.p2align	6, 0x0
	.amdhsa_kernel _ZN7rocprim17ROCPRIM_400000_NS6detail17trampoline_kernelINS0_14default_configENS1_32segmented_reduce_config_selectorIfEEZNS1_21segmented_reduce_implIS3_PKfPfPKlfN6hipcub16HIPCUB_304000_NS6detail27convert_result_type_wrapperIS8_S9_N2at6native12_GLOBAL__N_110CustomProdEEEEE10hipError_tPvRmT0_T1_jT2_SQ_T4_T3_P12ihipStream_tbEUlT_E_NS1_11comp_targetILNS1_3genE0ELNS1_11target_archE4294967295ELNS1_3gpuE0ELNS1_3repE0EEENS1_30default_config_static_selectorELNS0_4arch9wavefront6targetE1EEEvSP_
		.amdhsa_group_segment_fixed_size 0
		.amdhsa_private_segment_fixed_size 0
		.amdhsa_kernarg_size 48
		.amdhsa_user_sgpr_count 6
		.amdhsa_user_sgpr_private_segment_buffer 1
		.amdhsa_user_sgpr_dispatch_ptr 0
		.amdhsa_user_sgpr_queue_ptr 0
		.amdhsa_user_sgpr_kernarg_segment_ptr 1
		.amdhsa_user_sgpr_dispatch_id 0
		.amdhsa_user_sgpr_flat_scratch_init 0
		.amdhsa_user_sgpr_private_segment_size 0
		.amdhsa_uses_dynamic_stack 0
		.amdhsa_system_sgpr_private_segment_wavefront_offset 0
		.amdhsa_system_sgpr_workgroup_id_x 1
		.amdhsa_system_sgpr_workgroup_id_y 0
		.amdhsa_system_sgpr_workgroup_id_z 0
		.amdhsa_system_sgpr_workgroup_info 0
		.amdhsa_system_vgpr_workitem_id 0
		.amdhsa_next_free_vgpr 1
		.amdhsa_next_free_sgpr 0
		.amdhsa_reserve_vcc 0
		.amdhsa_reserve_flat_scratch 0
		.amdhsa_float_round_mode_32 0
		.amdhsa_float_round_mode_16_64 0
		.amdhsa_float_denorm_mode_32 3
		.amdhsa_float_denorm_mode_16_64 3
		.amdhsa_dx10_clamp 1
		.amdhsa_ieee_mode 1
		.amdhsa_fp16_overflow 0
		.amdhsa_exception_fp_ieee_invalid_op 0
		.amdhsa_exception_fp_denorm_src 0
		.amdhsa_exception_fp_ieee_div_zero 0
		.amdhsa_exception_fp_ieee_overflow 0
		.amdhsa_exception_fp_ieee_underflow 0
		.amdhsa_exception_fp_ieee_inexact 0
		.amdhsa_exception_int_div_zero 0
	.end_amdhsa_kernel
	.section	.text._ZN7rocprim17ROCPRIM_400000_NS6detail17trampoline_kernelINS0_14default_configENS1_32segmented_reduce_config_selectorIfEEZNS1_21segmented_reduce_implIS3_PKfPfPKlfN6hipcub16HIPCUB_304000_NS6detail27convert_result_type_wrapperIS8_S9_N2at6native12_GLOBAL__N_110CustomProdEEEEE10hipError_tPvRmT0_T1_jT2_SQ_T4_T3_P12ihipStream_tbEUlT_E_NS1_11comp_targetILNS1_3genE0ELNS1_11target_archE4294967295ELNS1_3gpuE0ELNS1_3repE0EEENS1_30default_config_static_selectorELNS0_4arch9wavefront6targetE1EEEvSP_,"axG",@progbits,_ZN7rocprim17ROCPRIM_400000_NS6detail17trampoline_kernelINS0_14default_configENS1_32segmented_reduce_config_selectorIfEEZNS1_21segmented_reduce_implIS3_PKfPfPKlfN6hipcub16HIPCUB_304000_NS6detail27convert_result_type_wrapperIS8_S9_N2at6native12_GLOBAL__N_110CustomProdEEEEE10hipError_tPvRmT0_T1_jT2_SQ_T4_T3_P12ihipStream_tbEUlT_E_NS1_11comp_targetILNS1_3genE0ELNS1_11target_archE4294967295ELNS1_3gpuE0ELNS1_3repE0EEENS1_30default_config_static_selectorELNS0_4arch9wavefront6targetE1EEEvSP_,comdat
.Lfunc_end204:
	.size	_ZN7rocprim17ROCPRIM_400000_NS6detail17trampoline_kernelINS0_14default_configENS1_32segmented_reduce_config_selectorIfEEZNS1_21segmented_reduce_implIS3_PKfPfPKlfN6hipcub16HIPCUB_304000_NS6detail27convert_result_type_wrapperIS8_S9_N2at6native12_GLOBAL__N_110CustomProdEEEEE10hipError_tPvRmT0_T1_jT2_SQ_T4_T3_P12ihipStream_tbEUlT_E_NS1_11comp_targetILNS1_3genE0ELNS1_11target_archE4294967295ELNS1_3gpuE0ELNS1_3repE0EEENS1_30default_config_static_selectorELNS0_4arch9wavefront6targetE1EEEvSP_, .Lfunc_end204-_ZN7rocprim17ROCPRIM_400000_NS6detail17trampoline_kernelINS0_14default_configENS1_32segmented_reduce_config_selectorIfEEZNS1_21segmented_reduce_implIS3_PKfPfPKlfN6hipcub16HIPCUB_304000_NS6detail27convert_result_type_wrapperIS8_S9_N2at6native12_GLOBAL__N_110CustomProdEEEEE10hipError_tPvRmT0_T1_jT2_SQ_T4_T3_P12ihipStream_tbEUlT_E_NS1_11comp_targetILNS1_3genE0ELNS1_11target_archE4294967295ELNS1_3gpuE0ELNS1_3repE0EEENS1_30default_config_static_selectorELNS0_4arch9wavefront6targetE1EEEvSP_
                                        ; -- End function
	.set _ZN7rocprim17ROCPRIM_400000_NS6detail17trampoline_kernelINS0_14default_configENS1_32segmented_reduce_config_selectorIfEEZNS1_21segmented_reduce_implIS3_PKfPfPKlfN6hipcub16HIPCUB_304000_NS6detail27convert_result_type_wrapperIS8_S9_N2at6native12_GLOBAL__N_110CustomProdEEEEE10hipError_tPvRmT0_T1_jT2_SQ_T4_T3_P12ihipStream_tbEUlT_E_NS1_11comp_targetILNS1_3genE0ELNS1_11target_archE4294967295ELNS1_3gpuE0ELNS1_3repE0EEENS1_30default_config_static_selectorELNS0_4arch9wavefront6targetE1EEEvSP_.num_vgpr, 0
	.set _ZN7rocprim17ROCPRIM_400000_NS6detail17trampoline_kernelINS0_14default_configENS1_32segmented_reduce_config_selectorIfEEZNS1_21segmented_reduce_implIS3_PKfPfPKlfN6hipcub16HIPCUB_304000_NS6detail27convert_result_type_wrapperIS8_S9_N2at6native12_GLOBAL__N_110CustomProdEEEEE10hipError_tPvRmT0_T1_jT2_SQ_T4_T3_P12ihipStream_tbEUlT_E_NS1_11comp_targetILNS1_3genE0ELNS1_11target_archE4294967295ELNS1_3gpuE0ELNS1_3repE0EEENS1_30default_config_static_selectorELNS0_4arch9wavefront6targetE1EEEvSP_.num_agpr, 0
	.set _ZN7rocprim17ROCPRIM_400000_NS6detail17trampoline_kernelINS0_14default_configENS1_32segmented_reduce_config_selectorIfEEZNS1_21segmented_reduce_implIS3_PKfPfPKlfN6hipcub16HIPCUB_304000_NS6detail27convert_result_type_wrapperIS8_S9_N2at6native12_GLOBAL__N_110CustomProdEEEEE10hipError_tPvRmT0_T1_jT2_SQ_T4_T3_P12ihipStream_tbEUlT_E_NS1_11comp_targetILNS1_3genE0ELNS1_11target_archE4294967295ELNS1_3gpuE0ELNS1_3repE0EEENS1_30default_config_static_selectorELNS0_4arch9wavefront6targetE1EEEvSP_.numbered_sgpr, 0
	.set _ZN7rocprim17ROCPRIM_400000_NS6detail17trampoline_kernelINS0_14default_configENS1_32segmented_reduce_config_selectorIfEEZNS1_21segmented_reduce_implIS3_PKfPfPKlfN6hipcub16HIPCUB_304000_NS6detail27convert_result_type_wrapperIS8_S9_N2at6native12_GLOBAL__N_110CustomProdEEEEE10hipError_tPvRmT0_T1_jT2_SQ_T4_T3_P12ihipStream_tbEUlT_E_NS1_11comp_targetILNS1_3genE0ELNS1_11target_archE4294967295ELNS1_3gpuE0ELNS1_3repE0EEENS1_30default_config_static_selectorELNS0_4arch9wavefront6targetE1EEEvSP_.num_named_barrier, 0
	.set _ZN7rocprim17ROCPRIM_400000_NS6detail17trampoline_kernelINS0_14default_configENS1_32segmented_reduce_config_selectorIfEEZNS1_21segmented_reduce_implIS3_PKfPfPKlfN6hipcub16HIPCUB_304000_NS6detail27convert_result_type_wrapperIS8_S9_N2at6native12_GLOBAL__N_110CustomProdEEEEE10hipError_tPvRmT0_T1_jT2_SQ_T4_T3_P12ihipStream_tbEUlT_E_NS1_11comp_targetILNS1_3genE0ELNS1_11target_archE4294967295ELNS1_3gpuE0ELNS1_3repE0EEENS1_30default_config_static_selectorELNS0_4arch9wavefront6targetE1EEEvSP_.private_seg_size, 0
	.set _ZN7rocprim17ROCPRIM_400000_NS6detail17trampoline_kernelINS0_14default_configENS1_32segmented_reduce_config_selectorIfEEZNS1_21segmented_reduce_implIS3_PKfPfPKlfN6hipcub16HIPCUB_304000_NS6detail27convert_result_type_wrapperIS8_S9_N2at6native12_GLOBAL__N_110CustomProdEEEEE10hipError_tPvRmT0_T1_jT2_SQ_T4_T3_P12ihipStream_tbEUlT_E_NS1_11comp_targetILNS1_3genE0ELNS1_11target_archE4294967295ELNS1_3gpuE0ELNS1_3repE0EEENS1_30default_config_static_selectorELNS0_4arch9wavefront6targetE1EEEvSP_.uses_vcc, 0
	.set _ZN7rocprim17ROCPRIM_400000_NS6detail17trampoline_kernelINS0_14default_configENS1_32segmented_reduce_config_selectorIfEEZNS1_21segmented_reduce_implIS3_PKfPfPKlfN6hipcub16HIPCUB_304000_NS6detail27convert_result_type_wrapperIS8_S9_N2at6native12_GLOBAL__N_110CustomProdEEEEE10hipError_tPvRmT0_T1_jT2_SQ_T4_T3_P12ihipStream_tbEUlT_E_NS1_11comp_targetILNS1_3genE0ELNS1_11target_archE4294967295ELNS1_3gpuE0ELNS1_3repE0EEENS1_30default_config_static_selectorELNS0_4arch9wavefront6targetE1EEEvSP_.uses_flat_scratch, 0
	.set _ZN7rocprim17ROCPRIM_400000_NS6detail17trampoline_kernelINS0_14default_configENS1_32segmented_reduce_config_selectorIfEEZNS1_21segmented_reduce_implIS3_PKfPfPKlfN6hipcub16HIPCUB_304000_NS6detail27convert_result_type_wrapperIS8_S9_N2at6native12_GLOBAL__N_110CustomProdEEEEE10hipError_tPvRmT0_T1_jT2_SQ_T4_T3_P12ihipStream_tbEUlT_E_NS1_11comp_targetILNS1_3genE0ELNS1_11target_archE4294967295ELNS1_3gpuE0ELNS1_3repE0EEENS1_30default_config_static_selectorELNS0_4arch9wavefront6targetE1EEEvSP_.has_dyn_sized_stack, 0
	.set _ZN7rocprim17ROCPRIM_400000_NS6detail17trampoline_kernelINS0_14default_configENS1_32segmented_reduce_config_selectorIfEEZNS1_21segmented_reduce_implIS3_PKfPfPKlfN6hipcub16HIPCUB_304000_NS6detail27convert_result_type_wrapperIS8_S9_N2at6native12_GLOBAL__N_110CustomProdEEEEE10hipError_tPvRmT0_T1_jT2_SQ_T4_T3_P12ihipStream_tbEUlT_E_NS1_11comp_targetILNS1_3genE0ELNS1_11target_archE4294967295ELNS1_3gpuE0ELNS1_3repE0EEENS1_30default_config_static_selectorELNS0_4arch9wavefront6targetE1EEEvSP_.has_recursion, 0
	.set _ZN7rocprim17ROCPRIM_400000_NS6detail17trampoline_kernelINS0_14default_configENS1_32segmented_reduce_config_selectorIfEEZNS1_21segmented_reduce_implIS3_PKfPfPKlfN6hipcub16HIPCUB_304000_NS6detail27convert_result_type_wrapperIS8_S9_N2at6native12_GLOBAL__N_110CustomProdEEEEE10hipError_tPvRmT0_T1_jT2_SQ_T4_T3_P12ihipStream_tbEUlT_E_NS1_11comp_targetILNS1_3genE0ELNS1_11target_archE4294967295ELNS1_3gpuE0ELNS1_3repE0EEENS1_30default_config_static_selectorELNS0_4arch9wavefront6targetE1EEEvSP_.has_indirect_call, 0
	.section	.AMDGPU.csdata,"",@progbits
; Kernel info:
; codeLenInByte = 0
; TotalNumSgprs: 4
; NumVgprs: 0
; ScratchSize: 0
; MemoryBound: 0
; FloatMode: 240
; IeeeMode: 1
; LDSByteSize: 0 bytes/workgroup (compile time only)
; SGPRBlocks: 0
; VGPRBlocks: 0
; NumSGPRsForWavesPerEU: 4
; NumVGPRsForWavesPerEU: 1
; Occupancy: 10
; WaveLimiterHint : 0
; COMPUTE_PGM_RSRC2:SCRATCH_EN: 0
; COMPUTE_PGM_RSRC2:USER_SGPR: 6
; COMPUTE_PGM_RSRC2:TRAP_HANDLER: 0
; COMPUTE_PGM_RSRC2:TGID_X_EN: 1
; COMPUTE_PGM_RSRC2:TGID_Y_EN: 0
; COMPUTE_PGM_RSRC2:TGID_Z_EN: 0
; COMPUTE_PGM_RSRC2:TIDIG_COMP_CNT: 0
	.section	.text._ZN7rocprim17ROCPRIM_400000_NS6detail17trampoline_kernelINS0_14default_configENS1_32segmented_reduce_config_selectorIfEEZNS1_21segmented_reduce_implIS3_PKfPfPKlfN6hipcub16HIPCUB_304000_NS6detail27convert_result_type_wrapperIS8_S9_N2at6native12_GLOBAL__N_110CustomProdEEEEE10hipError_tPvRmT0_T1_jT2_SQ_T4_T3_P12ihipStream_tbEUlT_E_NS1_11comp_targetILNS1_3genE5ELNS1_11target_archE942ELNS1_3gpuE9ELNS1_3repE0EEENS1_30default_config_static_selectorELNS0_4arch9wavefront6targetE1EEEvSP_,"axG",@progbits,_ZN7rocprim17ROCPRIM_400000_NS6detail17trampoline_kernelINS0_14default_configENS1_32segmented_reduce_config_selectorIfEEZNS1_21segmented_reduce_implIS3_PKfPfPKlfN6hipcub16HIPCUB_304000_NS6detail27convert_result_type_wrapperIS8_S9_N2at6native12_GLOBAL__N_110CustomProdEEEEE10hipError_tPvRmT0_T1_jT2_SQ_T4_T3_P12ihipStream_tbEUlT_E_NS1_11comp_targetILNS1_3genE5ELNS1_11target_archE942ELNS1_3gpuE9ELNS1_3repE0EEENS1_30default_config_static_selectorELNS0_4arch9wavefront6targetE1EEEvSP_,comdat
	.globl	_ZN7rocprim17ROCPRIM_400000_NS6detail17trampoline_kernelINS0_14default_configENS1_32segmented_reduce_config_selectorIfEEZNS1_21segmented_reduce_implIS3_PKfPfPKlfN6hipcub16HIPCUB_304000_NS6detail27convert_result_type_wrapperIS8_S9_N2at6native12_GLOBAL__N_110CustomProdEEEEE10hipError_tPvRmT0_T1_jT2_SQ_T4_T3_P12ihipStream_tbEUlT_E_NS1_11comp_targetILNS1_3genE5ELNS1_11target_archE942ELNS1_3gpuE9ELNS1_3repE0EEENS1_30default_config_static_selectorELNS0_4arch9wavefront6targetE1EEEvSP_ ; -- Begin function _ZN7rocprim17ROCPRIM_400000_NS6detail17trampoline_kernelINS0_14default_configENS1_32segmented_reduce_config_selectorIfEEZNS1_21segmented_reduce_implIS3_PKfPfPKlfN6hipcub16HIPCUB_304000_NS6detail27convert_result_type_wrapperIS8_S9_N2at6native12_GLOBAL__N_110CustomProdEEEEE10hipError_tPvRmT0_T1_jT2_SQ_T4_T3_P12ihipStream_tbEUlT_E_NS1_11comp_targetILNS1_3genE5ELNS1_11target_archE942ELNS1_3gpuE9ELNS1_3repE0EEENS1_30default_config_static_selectorELNS0_4arch9wavefront6targetE1EEEvSP_
	.p2align	8
	.type	_ZN7rocprim17ROCPRIM_400000_NS6detail17trampoline_kernelINS0_14default_configENS1_32segmented_reduce_config_selectorIfEEZNS1_21segmented_reduce_implIS3_PKfPfPKlfN6hipcub16HIPCUB_304000_NS6detail27convert_result_type_wrapperIS8_S9_N2at6native12_GLOBAL__N_110CustomProdEEEEE10hipError_tPvRmT0_T1_jT2_SQ_T4_T3_P12ihipStream_tbEUlT_E_NS1_11comp_targetILNS1_3genE5ELNS1_11target_archE942ELNS1_3gpuE9ELNS1_3repE0EEENS1_30default_config_static_selectorELNS0_4arch9wavefront6targetE1EEEvSP_,@function
_ZN7rocprim17ROCPRIM_400000_NS6detail17trampoline_kernelINS0_14default_configENS1_32segmented_reduce_config_selectorIfEEZNS1_21segmented_reduce_implIS3_PKfPfPKlfN6hipcub16HIPCUB_304000_NS6detail27convert_result_type_wrapperIS8_S9_N2at6native12_GLOBAL__N_110CustomProdEEEEE10hipError_tPvRmT0_T1_jT2_SQ_T4_T3_P12ihipStream_tbEUlT_E_NS1_11comp_targetILNS1_3genE5ELNS1_11target_archE942ELNS1_3gpuE9ELNS1_3repE0EEENS1_30default_config_static_selectorELNS0_4arch9wavefront6targetE1EEEvSP_: ; @_ZN7rocprim17ROCPRIM_400000_NS6detail17trampoline_kernelINS0_14default_configENS1_32segmented_reduce_config_selectorIfEEZNS1_21segmented_reduce_implIS3_PKfPfPKlfN6hipcub16HIPCUB_304000_NS6detail27convert_result_type_wrapperIS8_S9_N2at6native12_GLOBAL__N_110CustomProdEEEEE10hipError_tPvRmT0_T1_jT2_SQ_T4_T3_P12ihipStream_tbEUlT_E_NS1_11comp_targetILNS1_3genE5ELNS1_11target_archE942ELNS1_3gpuE9ELNS1_3repE0EEENS1_30default_config_static_selectorELNS0_4arch9wavefront6targetE1EEEvSP_
; %bb.0:
	.section	.rodata,"a",@progbits
	.p2align	6, 0x0
	.amdhsa_kernel _ZN7rocprim17ROCPRIM_400000_NS6detail17trampoline_kernelINS0_14default_configENS1_32segmented_reduce_config_selectorIfEEZNS1_21segmented_reduce_implIS3_PKfPfPKlfN6hipcub16HIPCUB_304000_NS6detail27convert_result_type_wrapperIS8_S9_N2at6native12_GLOBAL__N_110CustomProdEEEEE10hipError_tPvRmT0_T1_jT2_SQ_T4_T3_P12ihipStream_tbEUlT_E_NS1_11comp_targetILNS1_3genE5ELNS1_11target_archE942ELNS1_3gpuE9ELNS1_3repE0EEENS1_30default_config_static_selectorELNS0_4arch9wavefront6targetE1EEEvSP_
		.amdhsa_group_segment_fixed_size 0
		.amdhsa_private_segment_fixed_size 0
		.amdhsa_kernarg_size 48
		.amdhsa_user_sgpr_count 6
		.amdhsa_user_sgpr_private_segment_buffer 1
		.amdhsa_user_sgpr_dispatch_ptr 0
		.amdhsa_user_sgpr_queue_ptr 0
		.amdhsa_user_sgpr_kernarg_segment_ptr 1
		.amdhsa_user_sgpr_dispatch_id 0
		.amdhsa_user_sgpr_flat_scratch_init 0
		.amdhsa_user_sgpr_private_segment_size 0
		.amdhsa_uses_dynamic_stack 0
		.amdhsa_system_sgpr_private_segment_wavefront_offset 0
		.amdhsa_system_sgpr_workgroup_id_x 1
		.amdhsa_system_sgpr_workgroup_id_y 0
		.amdhsa_system_sgpr_workgroup_id_z 0
		.amdhsa_system_sgpr_workgroup_info 0
		.amdhsa_system_vgpr_workitem_id 0
		.amdhsa_next_free_vgpr 1
		.amdhsa_next_free_sgpr 0
		.amdhsa_reserve_vcc 0
		.amdhsa_reserve_flat_scratch 0
		.amdhsa_float_round_mode_32 0
		.amdhsa_float_round_mode_16_64 0
		.amdhsa_float_denorm_mode_32 3
		.amdhsa_float_denorm_mode_16_64 3
		.amdhsa_dx10_clamp 1
		.amdhsa_ieee_mode 1
		.amdhsa_fp16_overflow 0
		.amdhsa_exception_fp_ieee_invalid_op 0
		.amdhsa_exception_fp_denorm_src 0
		.amdhsa_exception_fp_ieee_div_zero 0
		.amdhsa_exception_fp_ieee_overflow 0
		.amdhsa_exception_fp_ieee_underflow 0
		.amdhsa_exception_fp_ieee_inexact 0
		.amdhsa_exception_int_div_zero 0
	.end_amdhsa_kernel
	.section	.text._ZN7rocprim17ROCPRIM_400000_NS6detail17trampoline_kernelINS0_14default_configENS1_32segmented_reduce_config_selectorIfEEZNS1_21segmented_reduce_implIS3_PKfPfPKlfN6hipcub16HIPCUB_304000_NS6detail27convert_result_type_wrapperIS8_S9_N2at6native12_GLOBAL__N_110CustomProdEEEEE10hipError_tPvRmT0_T1_jT2_SQ_T4_T3_P12ihipStream_tbEUlT_E_NS1_11comp_targetILNS1_3genE5ELNS1_11target_archE942ELNS1_3gpuE9ELNS1_3repE0EEENS1_30default_config_static_selectorELNS0_4arch9wavefront6targetE1EEEvSP_,"axG",@progbits,_ZN7rocprim17ROCPRIM_400000_NS6detail17trampoline_kernelINS0_14default_configENS1_32segmented_reduce_config_selectorIfEEZNS1_21segmented_reduce_implIS3_PKfPfPKlfN6hipcub16HIPCUB_304000_NS6detail27convert_result_type_wrapperIS8_S9_N2at6native12_GLOBAL__N_110CustomProdEEEEE10hipError_tPvRmT0_T1_jT2_SQ_T4_T3_P12ihipStream_tbEUlT_E_NS1_11comp_targetILNS1_3genE5ELNS1_11target_archE942ELNS1_3gpuE9ELNS1_3repE0EEENS1_30default_config_static_selectorELNS0_4arch9wavefront6targetE1EEEvSP_,comdat
.Lfunc_end205:
	.size	_ZN7rocprim17ROCPRIM_400000_NS6detail17trampoline_kernelINS0_14default_configENS1_32segmented_reduce_config_selectorIfEEZNS1_21segmented_reduce_implIS3_PKfPfPKlfN6hipcub16HIPCUB_304000_NS6detail27convert_result_type_wrapperIS8_S9_N2at6native12_GLOBAL__N_110CustomProdEEEEE10hipError_tPvRmT0_T1_jT2_SQ_T4_T3_P12ihipStream_tbEUlT_E_NS1_11comp_targetILNS1_3genE5ELNS1_11target_archE942ELNS1_3gpuE9ELNS1_3repE0EEENS1_30default_config_static_selectorELNS0_4arch9wavefront6targetE1EEEvSP_, .Lfunc_end205-_ZN7rocprim17ROCPRIM_400000_NS6detail17trampoline_kernelINS0_14default_configENS1_32segmented_reduce_config_selectorIfEEZNS1_21segmented_reduce_implIS3_PKfPfPKlfN6hipcub16HIPCUB_304000_NS6detail27convert_result_type_wrapperIS8_S9_N2at6native12_GLOBAL__N_110CustomProdEEEEE10hipError_tPvRmT0_T1_jT2_SQ_T4_T3_P12ihipStream_tbEUlT_E_NS1_11comp_targetILNS1_3genE5ELNS1_11target_archE942ELNS1_3gpuE9ELNS1_3repE0EEENS1_30default_config_static_selectorELNS0_4arch9wavefront6targetE1EEEvSP_
                                        ; -- End function
	.set _ZN7rocprim17ROCPRIM_400000_NS6detail17trampoline_kernelINS0_14default_configENS1_32segmented_reduce_config_selectorIfEEZNS1_21segmented_reduce_implIS3_PKfPfPKlfN6hipcub16HIPCUB_304000_NS6detail27convert_result_type_wrapperIS8_S9_N2at6native12_GLOBAL__N_110CustomProdEEEEE10hipError_tPvRmT0_T1_jT2_SQ_T4_T3_P12ihipStream_tbEUlT_E_NS1_11comp_targetILNS1_3genE5ELNS1_11target_archE942ELNS1_3gpuE9ELNS1_3repE0EEENS1_30default_config_static_selectorELNS0_4arch9wavefront6targetE1EEEvSP_.num_vgpr, 0
	.set _ZN7rocprim17ROCPRIM_400000_NS6detail17trampoline_kernelINS0_14default_configENS1_32segmented_reduce_config_selectorIfEEZNS1_21segmented_reduce_implIS3_PKfPfPKlfN6hipcub16HIPCUB_304000_NS6detail27convert_result_type_wrapperIS8_S9_N2at6native12_GLOBAL__N_110CustomProdEEEEE10hipError_tPvRmT0_T1_jT2_SQ_T4_T3_P12ihipStream_tbEUlT_E_NS1_11comp_targetILNS1_3genE5ELNS1_11target_archE942ELNS1_3gpuE9ELNS1_3repE0EEENS1_30default_config_static_selectorELNS0_4arch9wavefront6targetE1EEEvSP_.num_agpr, 0
	.set _ZN7rocprim17ROCPRIM_400000_NS6detail17trampoline_kernelINS0_14default_configENS1_32segmented_reduce_config_selectorIfEEZNS1_21segmented_reduce_implIS3_PKfPfPKlfN6hipcub16HIPCUB_304000_NS6detail27convert_result_type_wrapperIS8_S9_N2at6native12_GLOBAL__N_110CustomProdEEEEE10hipError_tPvRmT0_T1_jT2_SQ_T4_T3_P12ihipStream_tbEUlT_E_NS1_11comp_targetILNS1_3genE5ELNS1_11target_archE942ELNS1_3gpuE9ELNS1_3repE0EEENS1_30default_config_static_selectorELNS0_4arch9wavefront6targetE1EEEvSP_.numbered_sgpr, 0
	.set _ZN7rocprim17ROCPRIM_400000_NS6detail17trampoline_kernelINS0_14default_configENS1_32segmented_reduce_config_selectorIfEEZNS1_21segmented_reduce_implIS3_PKfPfPKlfN6hipcub16HIPCUB_304000_NS6detail27convert_result_type_wrapperIS8_S9_N2at6native12_GLOBAL__N_110CustomProdEEEEE10hipError_tPvRmT0_T1_jT2_SQ_T4_T3_P12ihipStream_tbEUlT_E_NS1_11comp_targetILNS1_3genE5ELNS1_11target_archE942ELNS1_3gpuE9ELNS1_3repE0EEENS1_30default_config_static_selectorELNS0_4arch9wavefront6targetE1EEEvSP_.num_named_barrier, 0
	.set _ZN7rocprim17ROCPRIM_400000_NS6detail17trampoline_kernelINS0_14default_configENS1_32segmented_reduce_config_selectorIfEEZNS1_21segmented_reduce_implIS3_PKfPfPKlfN6hipcub16HIPCUB_304000_NS6detail27convert_result_type_wrapperIS8_S9_N2at6native12_GLOBAL__N_110CustomProdEEEEE10hipError_tPvRmT0_T1_jT2_SQ_T4_T3_P12ihipStream_tbEUlT_E_NS1_11comp_targetILNS1_3genE5ELNS1_11target_archE942ELNS1_3gpuE9ELNS1_3repE0EEENS1_30default_config_static_selectorELNS0_4arch9wavefront6targetE1EEEvSP_.private_seg_size, 0
	.set _ZN7rocprim17ROCPRIM_400000_NS6detail17trampoline_kernelINS0_14default_configENS1_32segmented_reduce_config_selectorIfEEZNS1_21segmented_reduce_implIS3_PKfPfPKlfN6hipcub16HIPCUB_304000_NS6detail27convert_result_type_wrapperIS8_S9_N2at6native12_GLOBAL__N_110CustomProdEEEEE10hipError_tPvRmT0_T1_jT2_SQ_T4_T3_P12ihipStream_tbEUlT_E_NS1_11comp_targetILNS1_3genE5ELNS1_11target_archE942ELNS1_3gpuE9ELNS1_3repE0EEENS1_30default_config_static_selectorELNS0_4arch9wavefront6targetE1EEEvSP_.uses_vcc, 0
	.set _ZN7rocprim17ROCPRIM_400000_NS6detail17trampoline_kernelINS0_14default_configENS1_32segmented_reduce_config_selectorIfEEZNS1_21segmented_reduce_implIS3_PKfPfPKlfN6hipcub16HIPCUB_304000_NS6detail27convert_result_type_wrapperIS8_S9_N2at6native12_GLOBAL__N_110CustomProdEEEEE10hipError_tPvRmT0_T1_jT2_SQ_T4_T3_P12ihipStream_tbEUlT_E_NS1_11comp_targetILNS1_3genE5ELNS1_11target_archE942ELNS1_3gpuE9ELNS1_3repE0EEENS1_30default_config_static_selectorELNS0_4arch9wavefront6targetE1EEEvSP_.uses_flat_scratch, 0
	.set _ZN7rocprim17ROCPRIM_400000_NS6detail17trampoline_kernelINS0_14default_configENS1_32segmented_reduce_config_selectorIfEEZNS1_21segmented_reduce_implIS3_PKfPfPKlfN6hipcub16HIPCUB_304000_NS6detail27convert_result_type_wrapperIS8_S9_N2at6native12_GLOBAL__N_110CustomProdEEEEE10hipError_tPvRmT0_T1_jT2_SQ_T4_T3_P12ihipStream_tbEUlT_E_NS1_11comp_targetILNS1_3genE5ELNS1_11target_archE942ELNS1_3gpuE9ELNS1_3repE0EEENS1_30default_config_static_selectorELNS0_4arch9wavefront6targetE1EEEvSP_.has_dyn_sized_stack, 0
	.set _ZN7rocprim17ROCPRIM_400000_NS6detail17trampoline_kernelINS0_14default_configENS1_32segmented_reduce_config_selectorIfEEZNS1_21segmented_reduce_implIS3_PKfPfPKlfN6hipcub16HIPCUB_304000_NS6detail27convert_result_type_wrapperIS8_S9_N2at6native12_GLOBAL__N_110CustomProdEEEEE10hipError_tPvRmT0_T1_jT2_SQ_T4_T3_P12ihipStream_tbEUlT_E_NS1_11comp_targetILNS1_3genE5ELNS1_11target_archE942ELNS1_3gpuE9ELNS1_3repE0EEENS1_30default_config_static_selectorELNS0_4arch9wavefront6targetE1EEEvSP_.has_recursion, 0
	.set _ZN7rocprim17ROCPRIM_400000_NS6detail17trampoline_kernelINS0_14default_configENS1_32segmented_reduce_config_selectorIfEEZNS1_21segmented_reduce_implIS3_PKfPfPKlfN6hipcub16HIPCUB_304000_NS6detail27convert_result_type_wrapperIS8_S9_N2at6native12_GLOBAL__N_110CustomProdEEEEE10hipError_tPvRmT0_T1_jT2_SQ_T4_T3_P12ihipStream_tbEUlT_E_NS1_11comp_targetILNS1_3genE5ELNS1_11target_archE942ELNS1_3gpuE9ELNS1_3repE0EEENS1_30default_config_static_selectorELNS0_4arch9wavefront6targetE1EEEvSP_.has_indirect_call, 0
	.section	.AMDGPU.csdata,"",@progbits
; Kernel info:
; codeLenInByte = 0
; TotalNumSgprs: 4
; NumVgprs: 0
; ScratchSize: 0
; MemoryBound: 0
; FloatMode: 240
; IeeeMode: 1
; LDSByteSize: 0 bytes/workgroup (compile time only)
; SGPRBlocks: 0
; VGPRBlocks: 0
; NumSGPRsForWavesPerEU: 4
; NumVGPRsForWavesPerEU: 1
; Occupancy: 10
; WaveLimiterHint : 0
; COMPUTE_PGM_RSRC2:SCRATCH_EN: 0
; COMPUTE_PGM_RSRC2:USER_SGPR: 6
; COMPUTE_PGM_RSRC2:TRAP_HANDLER: 0
; COMPUTE_PGM_RSRC2:TGID_X_EN: 1
; COMPUTE_PGM_RSRC2:TGID_Y_EN: 0
; COMPUTE_PGM_RSRC2:TGID_Z_EN: 0
; COMPUTE_PGM_RSRC2:TIDIG_COMP_CNT: 0
	.section	.text._ZN7rocprim17ROCPRIM_400000_NS6detail17trampoline_kernelINS0_14default_configENS1_32segmented_reduce_config_selectorIfEEZNS1_21segmented_reduce_implIS3_PKfPfPKlfN6hipcub16HIPCUB_304000_NS6detail27convert_result_type_wrapperIS8_S9_N2at6native12_GLOBAL__N_110CustomProdEEEEE10hipError_tPvRmT0_T1_jT2_SQ_T4_T3_P12ihipStream_tbEUlT_E_NS1_11comp_targetILNS1_3genE10ELNS1_11target_archE1201ELNS1_3gpuE5ELNS1_3repE0EEENS1_30default_config_static_selectorELNS0_4arch9wavefront6targetE1EEEvSP_,"axG",@progbits,_ZN7rocprim17ROCPRIM_400000_NS6detail17trampoline_kernelINS0_14default_configENS1_32segmented_reduce_config_selectorIfEEZNS1_21segmented_reduce_implIS3_PKfPfPKlfN6hipcub16HIPCUB_304000_NS6detail27convert_result_type_wrapperIS8_S9_N2at6native12_GLOBAL__N_110CustomProdEEEEE10hipError_tPvRmT0_T1_jT2_SQ_T4_T3_P12ihipStream_tbEUlT_E_NS1_11comp_targetILNS1_3genE10ELNS1_11target_archE1201ELNS1_3gpuE5ELNS1_3repE0EEENS1_30default_config_static_selectorELNS0_4arch9wavefront6targetE1EEEvSP_,comdat
	.globl	_ZN7rocprim17ROCPRIM_400000_NS6detail17trampoline_kernelINS0_14default_configENS1_32segmented_reduce_config_selectorIfEEZNS1_21segmented_reduce_implIS3_PKfPfPKlfN6hipcub16HIPCUB_304000_NS6detail27convert_result_type_wrapperIS8_S9_N2at6native12_GLOBAL__N_110CustomProdEEEEE10hipError_tPvRmT0_T1_jT2_SQ_T4_T3_P12ihipStream_tbEUlT_E_NS1_11comp_targetILNS1_3genE10ELNS1_11target_archE1201ELNS1_3gpuE5ELNS1_3repE0EEENS1_30default_config_static_selectorELNS0_4arch9wavefront6targetE1EEEvSP_ ; -- Begin function _ZN7rocprim17ROCPRIM_400000_NS6detail17trampoline_kernelINS0_14default_configENS1_32segmented_reduce_config_selectorIfEEZNS1_21segmented_reduce_implIS3_PKfPfPKlfN6hipcub16HIPCUB_304000_NS6detail27convert_result_type_wrapperIS8_S9_N2at6native12_GLOBAL__N_110CustomProdEEEEE10hipError_tPvRmT0_T1_jT2_SQ_T4_T3_P12ihipStream_tbEUlT_E_NS1_11comp_targetILNS1_3genE10ELNS1_11target_archE1201ELNS1_3gpuE5ELNS1_3repE0EEENS1_30default_config_static_selectorELNS0_4arch9wavefront6targetE1EEEvSP_
	.p2align	8
	.type	_ZN7rocprim17ROCPRIM_400000_NS6detail17trampoline_kernelINS0_14default_configENS1_32segmented_reduce_config_selectorIfEEZNS1_21segmented_reduce_implIS3_PKfPfPKlfN6hipcub16HIPCUB_304000_NS6detail27convert_result_type_wrapperIS8_S9_N2at6native12_GLOBAL__N_110CustomProdEEEEE10hipError_tPvRmT0_T1_jT2_SQ_T4_T3_P12ihipStream_tbEUlT_E_NS1_11comp_targetILNS1_3genE10ELNS1_11target_archE1201ELNS1_3gpuE5ELNS1_3repE0EEENS1_30default_config_static_selectorELNS0_4arch9wavefront6targetE1EEEvSP_,@function
_ZN7rocprim17ROCPRIM_400000_NS6detail17trampoline_kernelINS0_14default_configENS1_32segmented_reduce_config_selectorIfEEZNS1_21segmented_reduce_implIS3_PKfPfPKlfN6hipcub16HIPCUB_304000_NS6detail27convert_result_type_wrapperIS8_S9_N2at6native12_GLOBAL__N_110CustomProdEEEEE10hipError_tPvRmT0_T1_jT2_SQ_T4_T3_P12ihipStream_tbEUlT_E_NS1_11comp_targetILNS1_3genE10ELNS1_11target_archE1201ELNS1_3gpuE5ELNS1_3repE0EEENS1_30default_config_static_selectorELNS0_4arch9wavefront6targetE1EEEvSP_: ; @_ZN7rocprim17ROCPRIM_400000_NS6detail17trampoline_kernelINS0_14default_configENS1_32segmented_reduce_config_selectorIfEEZNS1_21segmented_reduce_implIS3_PKfPfPKlfN6hipcub16HIPCUB_304000_NS6detail27convert_result_type_wrapperIS8_S9_N2at6native12_GLOBAL__N_110CustomProdEEEEE10hipError_tPvRmT0_T1_jT2_SQ_T4_T3_P12ihipStream_tbEUlT_E_NS1_11comp_targetILNS1_3genE10ELNS1_11target_archE1201ELNS1_3gpuE5ELNS1_3repE0EEENS1_30default_config_static_selectorELNS0_4arch9wavefront6targetE1EEEvSP_
; %bb.0:
	.section	.rodata,"a",@progbits
	.p2align	6, 0x0
	.amdhsa_kernel _ZN7rocprim17ROCPRIM_400000_NS6detail17trampoline_kernelINS0_14default_configENS1_32segmented_reduce_config_selectorIfEEZNS1_21segmented_reduce_implIS3_PKfPfPKlfN6hipcub16HIPCUB_304000_NS6detail27convert_result_type_wrapperIS8_S9_N2at6native12_GLOBAL__N_110CustomProdEEEEE10hipError_tPvRmT0_T1_jT2_SQ_T4_T3_P12ihipStream_tbEUlT_E_NS1_11comp_targetILNS1_3genE10ELNS1_11target_archE1201ELNS1_3gpuE5ELNS1_3repE0EEENS1_30default_config_static_selectorELNS0_4arch9wavefront6targetE1EEEvSP_
		.amdhsa_group_segment_fixed_size 0
		.amdhsa_private_segment_fixed_size 0
		.amdhsa_kernarg_size 48
		.amdhsa_user_sgpr_count 6
		.amdhsa_user_sgpr_private_segment_buffer 1
		.amdhsa_user_sgpr_dispatch_ptr 0
		.amdhsa_user_sgpr_queue_ptr 0
		.amdhsa_user_sgpr_kernarg_segment_ptr 1
		.amdhsa_user_sgpr_dispatch_id 0
		.amdhsa_user_sgpr_flat_scratch_init 0
		.amdhsa_user_sgpr_private_segment_size 0
		.amdhsa_uses_dynamic_stack 0
		.amdhsa_system_sgpr_private_segment_wavefront_offset 0
		.amdhsa_system_sgpr_workgroup_id_x 1
		.amdhsa_system_sgpr_workgroup_id_y 0
		.amdhsa_system_sgpr_workgroup_id_z 0
		.amdhsa_system_sgpr_workgroup_info 0
		.amdhsa_system_vgpr_workitem_id 0
		.amdhsa_next_free_vgpr 1
		.amdhsa_next_free_sgpr 0
		.amdhsa_reserve_vcc 0
		.amdhsa_reserve_flat_scratch 0
		.amdhsa_float_round_mode_32 0
		.amdhsa_float_round_mode_16_64 0
		.amdhsa_float_denorm_mode_32 3
		.amdhsa_float_denorm_mode_16_64 3
		.amdhsa_dx10_clamp 1
		.amdhsa_ieee_mode 1
		.amdhsa_fp16_overflow 0
		.amdhsa_exception_fp_ieee_invalid_op 0
		.amdhsa_exception_fp_denorm_src 0
		.amdhsa_exception_fp_ieee_div_zero 0
		.amdhsa_exception_fp_ieee_overflow 0
		.amdhsa_exception_fp_ieee_underflow 0
		.amdhsa_exception_fp_ieee_inexact 0
		.amdhsa_exception_int_div_zero 0
	.end_amdhsa_kernel
	.section	.text._ZN7rocprim17ROCPRIM_400000_NS6detail17trampoline_kernelINS0_14default_configENS1_32segmented_reduce_config_selectorIfEEZNS1_21segmented_reduce_implIS3_PKfPfPKlfN6hipcub16HIPCUB_304000_NS6detail27convert_result_type_wrapperIS8_S9_N2at6native12_GLOBAL__N_110CustomProdEEEEE10hipError_tPvRmT0_T1_jT2_SQ_T4_T3_P12ihipStream_tbEUlT_E_NS1_11comp_targetILNS1_3genE10ELNS1_11target_archE1201ELNS1_3gpuE5ELNS1_3repE0EEENS1_30default_config_static_selectorELNS0_4arch9wavefront6targetE1EEEvSP_,"axG",@progbits,_ZN7rocprim17ROCPRIM_400000_NS6detail17trampoline_kernelINS0_14default_configENS1_32segmented_reduce_config_selectorIfEEZNS1_21segmented_reduce_implIS3_PKfPfPKlfN6hipcub16HIPCUB_304000_NS6detail27convert_result_type_wrapperIS8_S9_N2at6native12_GLOBAL__N_110CustomProdEEEEE10hipError_tPvRmT0_T1_jT2_SQ_T4_T3_P12ihipStream_tbEUlT_E_NS1_11comp_targetILNS1_3genE10ELNS1_11target_archE1201ELNS1_3gpuE5ELNS1_3repE0EEENS1_30default_config_static_selectorELNS0_4arch9wavefront6targetE1EEEvSP_,comdat
.Lfunc_end206:
	.size	_ZN7rocprim17ROCPRIM_400000_NS6detail17trampoline_kernelINS0_14default_configENS1_32segmented_reduce_config_selectorIfEEZNS1_21segmented_reduce_implIS3_PKfPfPKlfN6hipcub16HIPCUB_304000_NS6detail27convert_result_type_wrapperIS8_S9_N2at6native12_GLOBAL__N_110CustomProdEEEEE10hipError_tPvRmT0_T1_jT2_SQ_T4_T3_P12ihipStream_tbEUlT_E_NS1_11comp_targetILNS1_3genE10ELNS1_11target_archE1201ELNS1_3gpuE5ELNS1_3repE0EEENS1_30default_config_static_selectorELNS0_4arch9wavefront6targetE1EEEvSP_, .Lfunc_end206-_ZN7rocprim17ROCPRIM_400000_NS6detail17trampoline_kernelINS0_14default_configENS1_32segmented_reduce_config_selectorIfEEZNS1_21segmented_reduce_implIS3_PKfPfPKlfN6hipcub16HIPCUB_304000_NS6detail27convert_result_type_wrapperIS8_S9_N2at6native12_GLOBAL__N_110CustomProdEEEEE10hipError_tPvRmT0_T1_jT2_SQ_T4_T3_P12ihipStream_tbEUlT_E_NS1_11comp_targetILNS1_3genE10ELNS1_11target_archE1201ELNS1_3gpuE5ELNS1_3repE0EEENS1_30default_config_static_selectorELNS0_4arch9wavefront6targetE1EEEvSP_
                                        ; -- End function
	.set _ZN7rocprim17ROCPRIM_400000_NS6detail17trampoline_kernelINS0_14default_configENS1_32segmented_reduce_config_selectorIfEEZNS1_21segmented_reduce_implIS3_PKfPfPKlfN6hipcub16HIPCUB_304000_NS6detail27convert_result_type_wrapperIS8_S9_N2at6native12_GLOBAL__N_110CustomProdEEEEE10hipError_tPvRmT0_T1_jT2_SQ_T4_T3_P12ihipStream_tbEUlT_E_NS1_11comp_targetILNS1_3genE10ELNS1_11target_archE1201ELNS1_3gpuE5ELNS1_3repE0EEENS1_30default_config_static_selectorELNS0_4arch9wavefront6targetE1EEEvSP_.num_vgpr, 0
	.set _ZN7rocprim17ROCPRIM_400000_NS6detail17trampoline_kernelINS0_14default_configENS1_32segmented_reduce_config_selectorIfEEZNS1_21segmented_reduce_implIS3_PKfPfPKlfN6hipcub16HIPCUB_304000_NS6detail27convert_result_type_wrapperIS8_S9_N2at6native12_GLOBAL__N_110CustomProdEEEEE10hipError_tPvRmT0_T1_jT2_SQ_T4_T3_P12ihipStream_tbEUlT_E_NS1_11comp_targetILNS1_3genE10ELNS1_11target_archE1201ELNS1_3gpuE5ELNS1_3repE0EEENS1_30default_config_static_selectorELNS0_4arch9wavefront6targetE1EEEvSP_.num_agpr, 0
	.set _ZN7rocprim17ROCPRIM_400000_NS6detail17trampoline_kernelINS0_14default_configENS1_32segmented_reduce_config_selectorIfEEZNS1_21segmented_reduce_implIS3_PKfPfPKlfN6hipcub16HIPCUB_304000_NS6detail27convert_result_type_wrapperIS8_S9_N2at6native12_GLOBAL__N_110CustomProdEEEEE10hipError_tPvRmT0_T1_jT2_SQ_T4_T3_P12ihipStream_tbEUlT_E_NS1_11comp_targetILNS1_3genE10ELNS1_11target_archE1201ELNS1_3gpuE5ELNS1_3repE0EEENS1_30default_config_static_selectorELNS0_4arch9wavefront6targetE1EEEvSP_.numbered_sgpr, 0
	.set _ZN7rocprim17ROCPRIM_400000_NS6detail17trampoline_kernelINS0_14default_configENS1_32segmented_reduce_config_selectorIfEEZNS1_21segmented_reduce_implIS3_PKfPfPKlfN6hipcub16HIPCUB_304000_NS6detail27convert_result_type_wrapperIS8_S9_N2at6native12_GLOBAL__N_110CustomProdEEEEE10hipError_tPvRmT0_T1_jT2_SQ_T4_T3_P12ihipStream_tbEUlT_E_NS1_11comp_targetILNS1_3genE10ELNS1_11target_archE1201ELNS1_3gpuE5ELNS1_3repE0EEENS1_30default_config_static_selectorELNS0_4arch9wavefront6targetE1EEEvSP_.num_named_barrier, 0
	.set _ZN7rocprim17ROCPRIM_400000_NS6detail17trampoline_kernelINS0_14default_configENS1_32segmented_reduce_config_selectorIfEEZNS1_21segmented_reduce_implIS3_PKfPfPKlfN6hipcub16HIPCUB_304000_NS6detail27convert_result_type_wrapperIS8_S9_N2at6native12_GLOBAL__N_110CustomProdEEEEE10hipError_tPvRmT0_T1_jT2_SQ_T4_T3_P12ihipStream_tbEUlT_E_NS1_11comp_targetILNS1_3genE10ELNS1_11target_archE1201ELNS1_3gpuE5ELNS1_3repE0EEENS1_30default_config_static_selectorELNS0_4arch9wavefront6targetE1EEEvSP_.private_seg_size, 0
	.set _ZN7rocprim17ROCPRIM_400000_NS6detail17trampoline_kernelINS0_14default_configENS1_32segmented_reduce_config_selectorIfEEZNS1_21segmented_reduce_implIS3_PKfPfPKlfN6hipcub16HIPCUB_304000_NS6detail27convert_result_type_wrapperIS8_S9_N2at6native12_GLOBAL__N_110CustomProdEEEEE10hipError_tPvRmT0_T1_jT2_SQ_T4_T3_P12ihipStream_tbEUlT_E_NS1_11comp_targetILNS1_3genE10ELNS1_11target_archE1201ELNS1_3gpuE5ELNS1_3repE0EEENS1_30default_config_static_selectorELNS0_4arch9wavefront6targetE1EEEvSP_.uses_vcc, 0
	.set _ZN7rocprim17ROCPRIM_400000_NS6detail17trampoline_kernelINS0_14default_configENS1_32segmented_reduce_config_selectorIfEEZNS1_21segmented_reduce_implIS3_PKfPfPKlfN6hipcub16HIPCUB_304000_NS6detail27convert_result_type_wrapperIS8_S9_N2at6native12_GLOBAL__N_110CustomProdEEEEE10hipError_tPvRmT0_T1_jT2_SQ_T4_T3_P12ihipStream_tbEUlT_E_NS1_11comp_targetILNS1_3genE10ELNS1_11target_archE1201ELNS1_3gpuE5ELNS1_3repE0EEENS1_30default_config_static_selectorELNS0_4arch9wavefront6targetE1EEEvSP_.uses_flat_scratch, 0
	.set _ZN7rocprim17ROCPRIM_400000_NS6detail17trampoline_kernelINS0_14default_configENS1_32segmented_reduce_config_selectorIfEEZNS1_21segmented_reduce_implIS3_PKfPfPKlfN6hipcub16HIPCUB_304000_NS6detail27convert_result_type_wrapperIS8_S9_N2at6native12_GLOBAL__N_110CustomProdEEEEE10hipError_tPvRmT0_T1_jT2_SQ_T4_T3_P12ihipStream_tbEUlT_E_NS1_11comp_targetILNS1_3genE10ELNS1_11target_archE1201ELNS1_3gpuE5ELNS1_3repE0EEENS1_30default_config_static_selectorELNS0_4arch9wavefront6targetE1EEEvSP_.has_dyn_sized_stack, 0
	.set _ZN7rocprim17ROCPRIM_400000_NS6detail17trampoline_kernelINS0_14default_configENS1_32segmented_reduce_config_selectorIfEEZNS1_21segmented_reduce_implIS3_PKfPfPKlfN6hipcub16HIPCUB_304000_NS6detail27convert_result_type_wrapperIS8_S9_N2at6native12_GLOBAL__N_110CustomProdEEEEE10hipError_tPvRmT0_T1_jT2_SQ_T4_T3_P12ihipStream_tbEUlT_E_NS1_11comp_targetILNS1_3genE10ELNS1_11target_archE1201ELNS1_3gpuE5ELNS1_3repE0EEENS1_30default_config_static_selectorELNS0_4arch9wavefront6targetE1EEEvSP_.has_recursion, 0
	.set _ZN7rocprim17ROCPRIM_400000_NS6detail17trampoline_kernelINS0_14default_configENS1_32segmented_reduce_config_selectorIfEEZNS1_21segmented_reduce_implIS3_PKfPfPKlfN6hipcub16HIPCUB_304000_NS6detail27convert_result_type_wrapperIS8_S9_N2at6native12_GLOBAL__N_110CustomProdEEEEE10hipError_tPvRmT0_T1_jT2_SQ_T4_T3_P12ihipStream_tbEUlT_E_NS1_11comp_targetILNS1_3genE10ELNS1_11target_archE1201ELNS1_3gpuE5ELNS1_3repE0EEENS1_30default_config_static_selectorELNS0_4arch9wavefront6targetE1EEEvSP_.has_indirect_call, 0
	.section	.AMDGPU.csdata,"",@progbits
; Kernel info:
; codeLenInByte = 0
; TotalNumSgprs: 4
; NumVgprs: 0
; ScratchSize: 0
; MemoryBound: 0
; FloatMode: 240
; IeeeMode: 1
; LDSByteSize: 0 bytes/workgroup (compile time only)
; SGPRBlocks: 0
; VGPRBlocks: 0
; NumSGPRsForWavesPerEU: 4
; NumVGPRsForWavesPerEU: 1
; Occupancy: 10
; WaveLimiterHint : 0
; COMPUTE_PGM_RSRC2:SCRATCH_EN: 0
; COMPUTE_PGM_RSRC2:USER_SGPR: 6
; COMPUTE_PGM_RSRC2:TRAP_HANDLER: 0
; COMPUTE_PGM_RSRC2:TGID_X_EN: 1
; COMPUTE_PGM_RSRC2:TGID_Y_EN: 0
; COMPUTE_PGM_RSRC2:TGID_Z_EN: 0
; COMPUTE_PGM_RSRC2:TIDIG_COMP_CNT: 0
	.section	.text._ZN7rocprim17ROCPRIM_400000_NS6detail17trampoline_kernelINS0_14default_configENS1_32segmented_reduce_config_selectorIfEEZNS1_21segmented_reduce_implIS3_PKfPfPKlfN6hipcub16HIPCUB_304000_NS6detail27convert_result_type_wrapperIS8_S9_N2at6native12_GLOBAL__N_110CustomProdEEEEE10hipError_tPvRmT0_T1_jT2_SQ_T4_T3_P12ihipStream_tbEUlT_E_NS1_11comp_targetILNS1_3genE4ELNS1_11target_archE910ELNS1_3gpuE8ELNS1_3repE0EEENS1_30default_config_static_selectorELNS0_4arch9wavefront6targetE1EEEvSP_,"axG",@progbits,_ZN7rocprim17ROCPRIM_400000_NS6detail17trampoline_kernelINS0_14default_configENS1_32segmented_reduce_config_selectorIfEEZNS1_21segmented_reduce_implIS3_PKfPfPKlfN6hipcub16HIPCUB_304000_NS6detail27convert_result_type_wrapperIS8_S9_N2at6native12_GLOBAL__N_110CustomProdEEEEE10hipError_tPvRmT0_T1_jT2_SQ_T4_T3_P12ihipStream_tbEUlT_E_NS1_11comp_targetILNS1_3genE4ELNS1_11target_archE910ELNS1_3gpuE8ELNS1_3repE0EEENS1_30default_config_static_selectorELNS0_4arch9wavefront6targetE1EEEvSP_,comdat
	.globl	_ZN7rocprim17ROCPRIM_400000_NS6detail17trampoline_kernelINS0_14default_configENS1_32segmented_reduce_config_selectorIfEEZNS1_21segmented_reduce_implIS3_PKfPfPKlfN6hipcub16HIPCUB_304000_NS6detail27convert_result_type_wrapperIS8_S9_N2at6native12_GLOBAL__N_110CustomProdEEEEE10hipError_tPvRmT0_T1_jT2_SQ_T4_T3_P12ihipStream_tbEUlT_E_NS1_11comp_targetILNS1_3genE4ELNS1_11target_archE910ELNS1_3gpuE8ELNS1_3repE0EEENS1_30default_config_static_selectorELNS0_4arch9wavefront6targetE1EEEvSP_ ; -- Begin function _ZN7rocprim17ROCPRIM_400000_NS6detail17trampoline_kernelINS0_14default_configENS1_32segmented_reduce_config_selectorIfEEZNS1_21segmented_reduce_implIS3_PKfPfPKlfN6hipcub16HIPCUB_304000_NS6detail27convert_result_type_wrapperIS8_S9_N2at6native12_GLOBAL__N_110CustomProdEEEEE10hipError_tPvRmT0_T1_jT2_SQ_T4_T3_P12ihipStream_tbEUlT_E_NS1_11comp_targetILNS1_3genE4ELNS1_11target_archE910ELNS1_3gpuE8ELNS1_3repE0EEENS1_30default_config_static_selectorELNS0_4arch9wavefront6targetE1EEEvSP_
	.p2align	8
	.type	_ZN7rocprim17ROCPRIM_400000_NS6detail17trampoline_kernelINS0_14default_configENS1_32segmented_reduce_config_selectorIfEEZNS1_21segmented_reduce_implIS3_PKfPfPKlfN6hipcub16HIPCUB_304000_NS6detail27convert_result_type_wrapperIS8_S9_N2at6native12_GLOBAL__N_110CustomProdEEEEE10hipError_tPvRmT0_T1_jT2_SQ_T4_T3_P12ihipStream_tbEUlT_E_NS1_11comp_targetILNS1_3genE4ELNS1_11target_archE910ELNS1_3gpuE8ELNS1_3repE0EEENS1_30default_config_static_selectorELNS0_4arch9wavefront6targetE1EEEvSP_,@function
_ZN7rocprim17ROCPRIM_400000_NS6detail17trampoline_kernelINS0_14default_configENS1_32segmented_reduce_config_selectorIfEEZNS1_21segmented_reduce_implIS3_PKfPfPKlfN6hipcub16HIPCUB_304000_NS6detail27convert_result_type_wrapperIS8_S9_N2at6native12_GLOBAL__N_110CustomProdEEEEE10hipError_tPvRmT0_T1_jT2_SQ_T4_T3_P12ihipStream_tbEUlT_E_NS1_11comp_targetILNS1_3genE4ELNS1_11target_archE910ELNS1_3gpuE8ELNS1_3repE0EEENS1_30default_config_static_selectorELNS0_4arch9wavefront6targetE1EEEvSP_: ; @_ZN7rocprim17ROCPRIM_400000_NS6detail17trampoline_kernelINS0_14default_configENS1_32segmented_reduce_config_selectorIfEEZNS1_21segmented_reduce_implIS3_PKfPfPKlfN6hipcub16HIPCUB_304000_NS6detail27convert_result_type_wrapperIS8_S9_N2at6native12_GLOBAL__N_110CustomProdEEEEE10hipError_tPvRmT0_T1_jT2_SQ_T4_T3_P12ihipStream_tbEUlT_E_NS1_11comp_targetILNS1_3genE4ELNS1_11target_archE910ELNS1_3gpuE8ELNS1_3repE0EEENS1_30default_config_static_selectorELNS0_4arch9wavefront6targetE1EEEvSP_
; %bb.0:
	.section	.rodata,"a",@progbits
	.p2align	6, 0x0
	.amdhsa_kernel _ZN7rocprim17ROCPRIM_400000_NS6detail17trampoline_kernelINS0_14default_configENS1_32segmented_reduce_config_selectorIfEEZNS1_21segmented_reduce_implIS3_PKfPfPKlfN6hipcub16HIPCUB_304000_NS6detail27convert_result_type_wrapperIS8_S9_N2at6native12_GLOBAL__N_110CustomProdEEEEE10hipError_tPvRmT0_T1_jT2_SQ_T4_T3_P12ihipStream_tbEUlT_E_NS1_11comp_targetILNS1_3genE4ELNS1_11target_archE910ELNS1_3gpuE8ELNS1_3repE0EEENS1_30default_config_static_selectorELNS0_4arch9wavefront6targetE1EEEvSP_
		.amdhsa_group_segment_fixed_size 0
		.amdhsa_private_segment_fixed_size 0
		.amdhsa_kernarg_size 48
		.amdhsa_user_sgpr_count 6
		.amdhsa_user_sgpr_private_segment_buffer 1
		.amdhsa_user_sgpr_dispatch_ptr 0
		.amdhsa_user_sgpr_queue_ptr 0
		.amdhsa_user_sgpr_kernarg_segment_ptr 1
		.amdhsa_user_sgpr_dispatch_id 0
		.amdhsa_user_sgpr_flat_scratch_init 0
		.amdhsa_user_sgpr_private_segment_size 0
		.amdhsa_uses_dynamic_stack 0
		.amdhsa_system_sgpr_private_segment_wavefront_offset 0
		.amdhsa_system_sgpr_workgroup_id_x 1
		.amdhsa_system_sgpr_workgroup_id_y 0
		.amdhsa_system_sgpr_workgroup_id_z 0
		.amdhsa_system_sgpr_workgroup_info 0
		.amdhsa_system_vgpr_workitem_id 0
		.amdhsa_next_free_vgpr 1
		.amdhsa_next_free_sgpr 0
		.amdhsa_reserve_vcc 0
		.amdhsa_reserve_flat_scratch 0
		.amdhsa_float_round_mode_32 0
		.amdhsa_float_round_mode_16_64 0
		.amdhsa_float_denorm_mode_32 3
		.amdhsa_float_denorm_mode_16_64 3
		.amdhsa_dx10_clamp 1
		.amdhsa_ieee_mode 1
		.amdhsa_fp16_overflow 0
		.amdhsa_exception_fp_ieee_invalid_op 0
		.amdhsa_exception_fp_denorm_src 0
		.amdhsa_exception_fp_ieee_div_zero 0
		.amdhsa_exception_fp_ieee_overflow 0
		.amdhsa_exception_fp_ieee_underflow 0
		.amdhsa_exception_fp_ieee_inexact 0
		.amdhsa_exception_int_div_zero 0
	.end_amdhsa_kernel
	.section	.text._ZN7rocprim17ROCPRIM_400000_NS6detail17trampoline_kernelINS0_14default_configENS1_32segmented_reduce_config_selectorIfEEZNS1_21segmented_reduce_implIS3_PKfPfPKlfN6hipcub16HIPCUB_304000_NS6detail27convert_result_type_wrapperIS8_S9_N2at6native12_GLOBAL__N_110CustomProdEEEEE10hipError_tPvRmT0_T1_jT2_SQ_T4_T3_P12ihipStream_tbEUlT_E_NS1_11comp_targetILNS1_3genE4ELNS1_11target_archE910ELNS1_3gpuE8ELNS1_3repE0EEENS1_30default_config_static_selectorELNS0_4arch9wavefront6targetE1EEEvSP_,"axG",@progbits,_ZN7rocprim17ROCPRIM_400000_NS6detail17trampoline_kernelINS0_14default_configENS1_32segmented_reduce_config_selectorIfEEZNS1_21segmented_reduce_implIS3_PKfPfPKlfN6hipcub16HIPCUB_304000_NS6detail27convert_result_type_wrapperIS8_S9_N2at6native12_GLOBAL__N_110CustomProdEEEEE10hipError_tPvRmT0_T1_jT2_SQ_T4_T3_P12ihipStream_tbEUlT_E_NS1_11comp_targetILNS1_3genE4ELNS1_11target_archE910ELNS1_3gpuE8ELNS1_3repE0EEENS1_30default_config_static_selectorELNS0_4arch9wavefront6targetE1EEEvSP_,comdat
.Lfunc_end207:
	.size	_ZN7rocprim17ROCPRIM_400000_NS6detail17trampoline_kernelINS0_14default_configENS1_32segmented_reduce_config_selectorIfEEZNS1_21segmented_reduce_implIS3_PKfPfPKlfN6hipcub16HIPCUB_304000_NS6detail27convert_result_type_wrapperIS8_S9_N2at6native12_GLOBAL__N_110CustomProdEEEEE10hipError_tPvRmT0_T1_jT2_SQ_T4_T3_P12ihipStream_tbEUlT_E_NS1_11comp_targetILNS1_3genE4ELNS1_11target_archE910ELNS1_3gpuE8ELNS1_3repE0EEENS1_30default_config_static_selectorELNS0_4arch9wavefront6targetE1EEEvSP_, .Lfunc_end207-_ZN7rocprim17ROCPRIM_400000_NS6detail17trampoline_kernelINS0_14default_configENS1_32segmented_reduce_config_selectorIfEEZNS1_21segmented_reduce_implIS3_PKfPfPKlfN6hipcub16HIPCUB_304000_NS6detail27convert_result_type_wrapperIS8_S9_N2at6native12_GLOBAL__N_110CustomProdEEEEE10hipError_tPvRmT0_T1_jT2_SQ_T4_T3_P12ihipStream_tbEUlT_E_NS1_11comp_targetILNS1_3genE4ELNS1_11target_archE910ELNS1_3gpuE8ELNS1_3repE0EEENS1_30default_config_static_selectorELNS0_4arch9wavefront6targetE1EEEvSP_
                                        ; -- End function
	.set _ZN7rocprim17ROCPRIM_400000_NS6detail17trampoline_kernelINS0_14default_configENS1_32segmented_reduce_config_selectorIfEEZNS1_21segmented_reduce_implIS3_PKfPfPKlfN6hipcub16HIPCUB_304000_NS6detail27convert_result_type_wrapperIS8_S9_N2at6native12_GLOBAL__N_110CustomProdEEEEE10hipError_tPvRmT0_T1_jT2_SQ_T4_T3_P12ihipStream_tbEUlT_E_NS1_11comp_targetILNS1_3genE4ELNS1_11target_archE910ELNS1_3gpuE8ELNS1_3repE0EEENS1_30default_config_static_selectorELNS0_4arch9wavefront6targetE1EEEvSP_.num_vgpr, 0
	.set _ZN7rocprim17ROCPRIM_400000_NS6detail17trampoline_kernelINS0_14default_configENS1_32segmented_reduce_config_selectorIfEEZNS1_21segmented_reduce_implIS3_PKfPfPKlfN6hipcub16HIPCUB_304000_NS6detail27convert_result_type_wrapperIS8_S9_N2at6native12_GLOBAL__N_110CustomProdEEEEE10hipError_tPvRmT0_T1_jT2_SQ_T4_T3_P12ihipStream_tbEUlT_E_NS1_11comp_targetILNS1_3genE4ELNS1_11target_archE910ELNS1_3gpuE8ELNS1_3repE0EEENS1_30default_config_static_selectorELNS0_4arch9wavefront6targetE1EEEvSP_.num_agpr, 0
	.set _ZN7rocprim17ROCPRIM_400000_NS6detail17trampoline_kernelINS0_14default_configENS1_32segmented_reduce_config_selectorIfEEZNS1_21segmented_reduce_implIS3_PKfPfPKlfN6hipcub16HIPCUB_304000_NS6detail27convert_result_type_wrapperIS8_S9_N2at6native12_GLOBAL__N_110CustomProdEEEEE10hipError_tPvRmT0_T1_jT2_SQ_T4_T3_P12ihipStream_tbEUlT_E_NS1_11comp_targetILNS1_3genE4ELNS1_11target_archE910ELNS1_3gpuE8ELNS1_3repE0EEENS1_30default_config_static_selectorELNS0_4arch9wavefront6targetE1EEEvSP_.numbered_sgpr, 0
	.set _ZN7rocprim17ROCPRIM_400000_NS6detail17trampoline_kernelINS0_14default_configENS1_32segmented_reduce_config_selectorIfEEZNS1_21segmented_reduce_implIS3_PKfPfPKlfN6hipcub16HIPCUB_304000_NS6detail27convert_result_type_wrapperIS8_S9_N2at6native12_GLOBAL__N_110CustomProdEEEEE10hipError_tPvRmT0_T1_jT2_SQ_T4_T3_P12ihipStream_tbEUlT_E_NS1_11comp_targetILNS1_3genE4ELNS1_11target_archE910ELNS1_3gpuE8ELNS1_3repE0EEENS1_30default_config_static_selectorELNS0_4arch9wavefront6targetE1EEEvSP_.num_named_barrier, 0
	.set _ZN7rocprim17ROCPRIM_400000_NS6detail17trampoline_kernelINS0_14default_configENS1_32segmented_reduce_config_selectorIfEEZNS1_21segmented_reduce_implIS3_PKfPfPKlfN6hipcub16HIPCUB_304000_NS6detail27convert_result_type_wrapperIS8_S9_N2at6native12_GLOBAL__N_110CustomProdEEEEE10hipError_tPvRmT0_T1_jT2_SQ_T4_T3_P12ihipStream_tbEUlT_E_NS1_11comp_targetILNS1_3genE4ELNS1_11target_archE910ELNS1_3gpuE8ELNS1_3repE0EEENS1_30default_config_static_selectorELNS0_4arch9wavefront6targetE1EEEvSP_.private_seg_size, 0
	.set _ZN7rocprim17ROCPRIM_400000_NS6detail17trampoline_kernelINS0_14default_configENS1_32segmented_reduce_config_selectorIfEEZNS1_21segmented_reduce_implIS3_PKfPfPKlfN6hipcub16HIPCUB_304000_NS6detail27convert_result_type_wrapperIS8_S9_N2at6native12_GLOBAL__N_110CustomProdEEEEE10hipError_tPvRmT0_T1_jT2_SQ_T4_T3_P12ihipStream_tbEUlT_E_NS1_11comp_targetILNS1_3genE4ELNS1_11target_archE910ELNS1_3gpuE8ELNS1_3repE0EEENS1_30default_config_static_selectorELNS0_4arch9wavefront6targetE1EEEvSP_.uses_vcc, 0
	.set _ZN7rocprim17ROCPRIM_400000_NS6detail17trampoline_kernelINS0_14default_configENS1_32segmented_reduce_config_selectorIfEEZNS1_21segmented_reduce_implIS3_PKfPfPKlfN6hipcub16HIPCUB_304000_NS6detail27convert_result_type_wrapperIS8_S9_N2at6native12_GLOBAL__N_110CustomProdEEEEE10hipError_tPvRmT0_T1_jT2_SQ_T4_T3_P12ihipStream_tbEUlT_E_NS1_11comp_targetILNS1_3genE4ELNS1_11target_archE910ELNS1_3gpuE8ELNS1_3repE0EEENS1_30default_config_static_selectorELNS0_4arch9wavefront6targetE1EEEvSP_.uses_flat_scratch, 0
	.set _ZN7rocprim17ROCPRIM_400000_NS6detail17trampoline_kernelINS0_14default_configENS1_32segmented_reduce_config_selectorIfEEZNS1_21segmented_reduce_implIS3_PKfPfPKlfN6hipcub16HIPCUB_304000_NS6detail27convert_result_type_wrapperIS8_S9_N2at6native12_GLOBAL__N_110CustomProdEEEEE10hipError_tPvRmT0_T1_jT2_SQ_T4_T3_P12ihipStream_tbEUlT_E_NS1_11comp_targetILNS1_3genE4ELNS1_11target_archE910ELNS1_3gpuE8ELNS1_3repE0EEENS1_30default_config_static_selectorELNS0_4arch9wavefront6targetE1EEEvSP_.has_dyn_sized_stack, 0
	.set _ZN7rocprim17ROCPRIM_400000_NS6detail17trampoline_kernelINS0_14default_configENS1_32segmented_reduce_config_selectorIfEEZNS1_21segmented_reduce_implIS3_PKfPfPKlfN6hipcub16HIPCUB_304000_NS6detail27convert_result_type_wrapperIS8_S9_N2at6native12_GLOBAL__N_110CustomProdEEEEE10hipError_tPvRmT0_T1_jT2_SQ_T4_T3_P12ihipStream_tbEUlT_E_NS1_11comp_targetILNS1_3genE4ELNS1_11target_archE910ELNS1_3gpuE8ELNS1_3repE0EEENS1_30default_config_static_selectorELNS0_4arch9wavefront6targetE1EEEvSP_.has_recursion, 0
	.set _ZN7rocprim17ROCPRIM_400000_NS6detail17trampoline_kernelINS0_14default_configENS1_32segmented_reduce_config_selectorIfEEZNS1_21segmented_reduce_implIS3_PKfPfPKlfN6hipcub16HIPCUB_304000_NS6detail27convert_result_type_wrapperIS8_S9_N2at6native12_GLOBAL__N_110CustomProdEEEEE10hipError_tPvRmT0_T1_jT2_SQ_T4_T3_P12ihipStream_tbEUlT_E_NS1_11comp_targetILNS1_3genE4ELNS1_11target_archE910ELNS1_3gpuE8ELNS1_3repE0EEENS1_30default_config_static_selectorELNS0_4arch9wavefront6targetE1EEEvSP_.has_indirect_call, 0
	.section	.AMDGPU.csdata,"",@progbits
; Kernel info:
; codeLenInByte = 0
; TotalNumSgprs: 4
; NumVgprs: 0
; ScratchSize: 0
; MemoryBound: 0
; FloatMode: 240
; IeeeMode: 1
; LDSByteSize: 0 bytes/workgroup (compile time only)
; SGPRBlocks: 0
; VGPRBlocks: 0
; NumSGPRsForWavesPerEU: 4
; NumVGPRsForWavesPerEU: 1
; Occupancy: 10
; WaveLimiterHint : 0
; COMPUTE_PGM_RSRC2:SCRATCH_EN: 0
; COMPUTE_PGM_RSRC2:USER_SGPR: 6
; COMPUTE_PGM_RSRC2:TRAP_HANDLER: 0
; COMPUTE_PGM_RSRC2:TGID_X_EN: 1
; COMPUTE_PGM_RSRC2:TGID_Y_EN: 0
; COMPUTE_PGM_RSRC2:TGID_Z_EN: 0
; COMPUTE_PGM_RSRC2:TIDIG_COMP_CNT: 0
	.section	.text._ZN7rocprim17ROCPRIM_400000_NS6detail17trampoline_kernelINS0_14default_configENS1_32segmented_reduce_config_selectorIfEEZNS1_21segmented_reduce_implIS3_PKfPfPKlfN6hipcub16HIPCUB_304000_NS6detail27convert_result_type_wrapperIS8_S9_N2at6native12_GLOBAL__N_110CustomProdEEEEE10hipError_tPvRmT0_T1_jT2_SQ_T4_T3_P12ihipStream_tbEUlT_E_NS1_11comp_targetILNS1_3genE3ELNS1_11target_archE908ELNS1_3gpuE7ELNS1_3repE0EEENS1_30default_config_static_selectorELNS0_4arch9wavefront6targetE1EEEvSP_,"axG",@progbits,_ZN7rocprim17ROCPRIM_400000_NS6detail17trampoline_kernelINS0_14default_configENS1_32segmented_reduce_config_selectorIfEEZNS1_21segmented_reduce_implIS3_PKfPfPKlfN6hipcub16HIPCUB_304000_NS6detail27convert_result_type_wrapperIS8_S9_N2at6native12_GLOBAL__N_110CustomProdEEEEE10hipError_tPvRmT0_T1_jT2_SQ_T4_T3_P12ihipStream_tbEUlT_E_NS1_11comp_targetILNS1_3genE3ELNS1_11target_archE908ELNS1_3gpuE7ELNS1_3repE0EEENS1_30default_config_static_selectorELNS0_4arch9wavefront6targetE1EEEvSP_,comdat
	.globl	_ZN7rocprim17ROCPRIM_400000_NS6detail17trampoline_kernelINS0_14default_configENS1_32segmented_reduce_config_selectorIfEEZNS1_21segmented_reduce_implIS3_PKfPfPKlfN6hipcub16HIPCUB_304000_NS6detail27convert_result_type_wrapperIS8_S9_N2at6native12_GLOBAL__N_110CustomProdEEEEE10hipError_tPvRmT0_T1_jT2_SQ_T4_T3_P12ihipStream_tbEUlT_E_NS1_11comp_targetILNS1_3genE3ELNS1_11target_archE908ELNS1_3gpuE7ELNS1_3repE0EEENS1_30default_config_static_selectorELNS0_4arch9wavefront6targetE1EEEvSP_ ; -- Begin function _ZN7rocprim17ROCPRIM_400000_NS6detail17trampoline_kernelINS0_14default_configENS1_32segmented_reduce_config_selectorIfEEZNS1_21segmented_reduce_implIS3_PKfPfPKlfN6hipcub16HIPCUB_304000_NS6detail27convert_result_type_wrapperIS8_S9_N2at6native12_GLOBAL__N_110CustomProdEEEEE10hipError_tPvRmT0_T1_jT2_SQ_T4_T3_P12ihipStream_tbEUlT_E_NS1_11comp_targetILNS1_3genE3ELNS1_11target_archE908ELNS1_3gpuE7ELNS1_3repE0EEENS1_30default_config_static_selectorELNS0_4arch9wavefront6targetE1EEEvSP_
	.p2align	8
	.type	_ZN7rocprim17ROCPRIM_400000_NS6detail17trampoline_kernelINS0_14default_configENS1_32segmented_reduce_config_selectorIfEEZNS1_21segmented_reduce_implIS3_PKfPfPKlfN6hipcub16HIPCUB_304000_NS6detail27convert_result_type_wrapperIS8_S9_N2at6native12_GLOBAL__N_110CustomProdEEEEE10hipError_tPvRmT0_T1_jT2_SQ_T4_T3_P12ihipStream_tbEUlT_E_NS1_11comp_targetILNS1_3genE3ELNS1_11target_archE908ELNS1_3gpuE7ELNS1_3repE0EEENS1_30default_config_static_selectorELNS0_4arch9wavefront6targetE1EEEvSP_,@function
_ZN7rocprim17ROCPRIM_400000_NS6detail17trampoline_kernelINS0_14default_configENS1_32segmented_reduce_config_selectorIfEEZNS1_21segmented_reduce_implIS3_PKfPfPKlfN6hipcub16HIPCUB_304000_NS6detail27convert_result_type_wrapperIS8_S9_N2at6native12_GLOBAL__N_110CustomProdEEEEE10hipError_tPvRmT0_T1_jT2_SQ_T4_T3_P12ihipStream_tbEUlT_E_NS1_11comp_targetILNS1_3genE3ELNS1_11target_archE908ELNS1_3gpuE7ELNS1_3repE0EEENS1_30default_config_static_selectorELNS0_4arch9wavefront6targetE1EEEvSP_: ; @_ZN7rocprim17ROCPRIM_400000_NS6detail17trampoline_kernelINS0_14default_configENS1_32segmented_reduce_config_selectorIfEEZNS1_21segmented_reduce_implIS3_PKfPfPKlfN6hipcub16HIPCUB_304000_NS6detail27convert_result_type_wrapperIS8_S9_N2at6native12_GLOBAL__N_110CustomProdEEEEE10hipError_tPvRmT0_T1_jT2_SQ_T4_T3_P12ihipStream_tbEUlT_E_NS1_11comp_targetILNS1_3genE3ELNS1_11target_archE908ELNS1_3gpuE7ELNS1_3repE0EEENS1_30default_config_static_selectorELNS0_4arch9wavefront6targetE1EEEvSP_
; %bb.0:
	.section	.rodata,"a",@progbits
	.p2align	6, 0x0
	.amdhsa_kernel _ZN7rocprim17ROCPRIM_400000_NS6detail17trampoline_kernelINS0_14default_configENS1_32segmented_reduce_config_selectorIfEEZNS1_21segmented_reduce_implIS3_PKfPfPKlfN6hipcub16HIPCUB_304000_NS6detail27convert_result_type_wrapperIS8_S9_N2at6native12_GLOBAL__N_110CustomProdEEEEE10hipError_tPvRmT0_T1_jT2_SQ_T4_T3_P12ihipStream_tbEUlT_E_NS1_11comp_targetILNS1_3genE3ELNS1_11target_archE908ELNS1_3gpuE7ELNS1_3repE0EEENS1_30default_config_static_selectorELNS0_4arch9wavefront6targetE1EEEvSP_
		.amdhsa_group_segment_fixed_size 0
		.amdhsa_private_segment_fixed_size 0
		.amdhsa_kernarg_size 48
		.amdhsa_user_sgpr_count 6
		.amdhsa_user_sgpr_private_segment_buffer 1
		.amdhsa_user_sgpr_dispatch_ptr 0
		.amdhsa_user_sgpr_queue_ptr 0
		.amdhsa_user_sgpr_kernarg_segment_ptr 1
		.amdhsa_user_sgpr_dispatch_id 0
		.amdhsa_user_sgpr_flat_scratch_init 0
		.amdhsa_user_sgpr_private_segment_size 0
		.amdhsa_uses_dynamic_stack 0
		.amdhsa_system_sgpr_private_segment_wavefront_offset 0
		.amdhsa_system_sgpr_workgroup_id_x 1
		.amdhsa_system_sgpr_workgroup_id_y 0
		.amdhsa_system_sgpr_workgroup_id_z 0
		.amdhsa_system_sgpr_workgroup_info 0
		.amdhsa_system_vgpr_workitem_id 0
		.amdhsa_next_free_vgpr 1
		.amdhsa_next_free_sgpr 0
		.amdhsa_reserve_vcc 0
		.amdhsa_reserve_flat_scratch 0
		.amdhsa_float_round_mode_32 0
		.amdhsa_float_round_mode_16_64 0
		.amdhsa_float_denorm_mode_32 3
		.amdhsa_float_denorm_mode_16_64 3
		.amdhsa_dx10_clamp 1
		.amdhsa_ieee_mode 1
		.amdhsa_fp16_overflow 0
		.amdhsa_exception_fp_ieee_invalid_op 0
		.amdhsa_exception_fp_denorm_src 0
		.amdhsa_exception_fp_ieee_div_zero 0
		.amdhsa_exception_fp_ieee_overflow 0
		.amdhsa_exception_fp_ieee_underflow 0
		.amdhsa_exception_fp_ieee_inexact 0
		.amdhsa_exception_int_div_zero 0
	.end_amdhsa_kernel
	.section	.text._ZN7rocprim17ROCPRIM_400000_NS6detail17trampoline_kernelINS0_14default_configENS1_32segmented_reduce_config_selectorIfEEZNS1_21segmented_reduce_implIS3_PKfPfPKlfN6hipcub16HIPCUB_304000_NS6detail27convert_result_type_wrapperIS8_S9_N2at6native12_GLOBAL__N_110CustomProdEEEEE10hipError_tPvRmT0_T1_jT2_SQ_T4_T3_P12ihipStream_tbEUlT_E_NS1_11comp_targetILNS1_3genE3ELNS1_11target_archE908ELNS1_3gpuE7ELNS1_3repE0EEENS1_30default_config_static_selectorELNS0_4arch9wavefront6targetE1EEEvSP_,"axG",@progbits,_ZN7rocprim17ROCPRIM_400000_NS6detail17trampoline_kernelINS0_14default_configENS1_32segmented_reduce_config_selectorIfEEZNS1_21segmented_reduce_implIS3_PKfPfPKlfN6hipcub16HIPCUB_304000_NS6detail27convert_result_type_wrapperIS8_S9_N2at6native12_GLOBAL__N_110CustomProdEEEEE10hipError_tPvRmT0_T1_jT2_SQ_T4_T3_P12ihipStream_tbEUlT_E_NS1_11comp_targetILNS1_3genE3ELNS1_11target_archE908ELNS1_3gpuE7ELNS1_3repE0EEENS1_30default_config_static_selectorELNS0_4arch9wavefront6targetE1EEEvSP_,comdat
.Lfunc_end208:
	.size	_ZN7rocprim17ROCPRIM_400000_NS6detail17trampoline_kernelINS0_14default_configENS1_32segmented_reduce_config_selectorIfEEZNS1_21segmented_reduce_implIS3_PKfPfPKlfN6hipcub16HIPCUB_304000_NS6detail27convert_result_type_wrapperIS8_S9_N2at6native12_GLOBAL__N_110CustomProdEEEEE10hipError_tPvRmT0_T1_jT2_SQ_T4_T3_P12ihipStream_tbEUlT_E_NS1_11comp_targetILNS1_3genE3ELNS1_11target_archE908ELNS1_3gpuE7ELNS1_3repE0EEENS1_30default_config_static_selectorELNS0_4arch9wavefront6targetE1EEEvSP_, .Lfunc_end208-_ZN7rocprim17ROCPRIM_400000_NS6detail17trampoline_kernelINS0_14default_configENS1_32segmented_reduce_config_selectorIfEEZNS1_21segmented_reduce_implIS3_PKfPfPKlfN6hipcub16HIPCUB_304000_NS6detail27convert_result_type_wrapperIS8_S9_N2at6native12_GLOBAL__N_110CustomProdEEEEE10hipError_tPvRmT0_T1_jT2_SQ_T4_T3_P12ihipStream_tbEUlT_E_NS1_11comp_targetILNS1_3genE3ELNS1_11target_archE908ELNS1_3gpuE7ELNS1_3repE0EEENS1_30default_config_static_selectorELNS0_4arch9wavefront6targetE1EEEvSP_
                                        ; -- End function
	.set _ZN7rocprim17ROCPRIM_400000_NS6detail17trampoline_kernelINS0_14default_configENS1_32segmented_reduce_config_selectorIfEEZNS1_21segmented_reduce_implIS3_PKfPfPKlfN6hipcub16HIPCUB_304000_NS6detail27convert_result_type_wrapperIS8_S9_N2at6native12_GLOBAL__N_110CustomProdEEEEE10hipError_tPvRmT0_T1_jT2_SQ_T4_T3_P12ihipStream_tbEUlT_E_NS1_11comp_targetILNS1_3genE3ELNS1_11target_archE908ELNS1_3gpuE7ELNS1_3repE0EEENS1_30default_config_static_selectorELNS0_4arch9wavefront6targetE1EEEvSP_.num_vgpr, 0
	.set _ZN7rocprim17ROCPRIM_400000_NS6detail17trampoline_kernelINS0_14default_configENS1_32segmented_reduce_config_selectorIfEEZNS1_21segmented_reduce_implIS3_PKfPfPKlfN6hipcub16HIPCUB_304000_NS6detail27convert_result_type_wrapperIS8_S9_N2at6native12_GLOBAL__N_110CustomProdEEEEE10hipError_tPvRmT0_T1_jT2_SQ_T4_T3_P12ihipStream_tbEUlT_E_NS1_11comp_targetILNS1_3genE3ELNS1_11target_archE908ELNS1_3gpuE7ELNS1_3repE0EEENS1_30default_config_static_selectorELNS0_4arch9wavefront6targetE1EEEvSP_.num_agpr, 0
	.set _ZN7rocprim17ROCPRIM_400000_NS6detail17trampoline_kernelINS0_14default_configENS1_32segmented_reduce_config_selectorIfEEZNS1_21segmented_reduce_implIS3_PKfPfPKlfN6hipcub16HIPCUB_304000_NS6detail27convert_result_type_wrapperIS8_S9_N2at6native12_GLOBAL__N_110CustomProdEEEEE10hipError_tPvRmT0_T1_jT2_SQ_T4_T3_P12ihipStream_tbEUlT_E_NS1_11comp_targetILNS1_3genE3ELNS1_11target_archE908ELNS1_3gpuE7ELNS1_3repE0EEENS1_30default_config_static_selectorELNS0_4arch9wavefront6targetE1EEEvSP_.numbered_sgpr, 0
	.set _ZN7rocprim17ROCPRIM_400000_NS6detail17trampoline_kernelINS0_14default_configENS1_32segmented_reduce_config_selectorIfEEZNS1_21segmented_reduce_implIS3_PKfPfPKlfN6hipcub16HIPCUB_304000_NS6detail27convert_result_type_wrapperIS8_S9_N2at6native12_GLOBAL__N_110CustomProdEEEEE10hipError_tPvRmT0_T1_jT2_SQ_T4_T3_P12ihipStream_tbEUlT_E_NS1_11comp_targetILNS1_3genE3ELNS1_11target_archE908ELNS1_3gpuE7ELNS1_3repE0EEENS1_30default_config_static_selectorELNS0_4arch9wavefront6targetE1EEEvSP_.num_named_barrier, 0
	.set _ZN7rocprim17ROCPRIM_400000_NS6detail17trampoline_kernelINS0_14default_configENS1_32segmented_reduce_config_selectorIfEEZNS1_21segmented_reduce_implIS3_PKfPfPKlfN6hipcub16HIPCUB_304000_NS6detail27convert_result_type_wrapperIS8_S9_N2at6native12_GLOBAL__N_110CustomProdEEEEE10hipError_tPvRmT0_T1_jT2_SQ_T4_T3_P12ihipStream_tbEUlT_E_NS1_11comp_targetILNS1_3genE3ELNS1_11target_archE908ELNS1_3gpuE7ELNS1_3repE0EEENS1_30default_config_static_selectorELNS0_4arch9wavefront6targetE1EEEvSP_.private_seg_size, 0
	.set _ZN7rocprim17ROCPRIM_400000_NS6detail17trampoline_kernelINS0_14default_configENS1_32segmented_reduce_config_selectorIfEEZNS1_21segmented_reduce_implIS3_PKfPfPKlfN6hipcub16HIPCUB_304000_NS6detail27convert_result_type_wrapperIS8_S9_N2at6native12_GLOBAL__N_110CustomProdEEEEE10hipError_tPvRmT0_T1_jT2_SQ_T4_T3_P12ihipStream_tbEUlT_E_NS1_11comp_targetILNS1_3genE3ELNS1_11target_archE908ELNS1_3gpuE7ELNS1_3repE0EEENS1_30default_config_static_selectorELNS0_4arch9wavefront6targetE1EEEvSP_.uses_vcc, 0
	.set _ZN7rocprim17ROCPRIM_400000_NS6detail17trampoline_kernelINS0_14default_configENS1_32segmented_reduce_config_selectorIfEEZNS1_21segmented_reduce_implIS3_PKfPfPKlfN6hipcub16HIPCUB_304000_NS6detail27convert_result_type_wrapperIS8_S9_N2at6native12_GLOBAL__N_110CustomProdEEEEE10hipError_tPvRmT0_T1_jT2_SQ_T4_T3_P12ihipStream_tbEUlT_E_NS1_11comp_targetILNS1_3genE3ELNS1_11target_archE908ELNS1_3gpuE7ELNS1_3repE0EEENS1_30default_config_static_selectorELNS0_4arch9wavefront6targetE1EEEvSP_.uses_flat_scratch, 0
	.set _ZN7rocprim17ROCPRIM_400000_NS6detail17trampoline_kernelINS0_14default_configENS1_32segmented_reduce_config_selectorIfEEZNS1_21segmented_reduce_implIS3_PKfPfPKlfN6hipcub16HIPCUB_304000_NS6detail27convert_result_type_wrapperIS8_S9_N2at6native12_GLOBAL__N_110CustomProdEEEEE10hipError_tPvRmT0_T1_jT2_SQ_T4_T3_P12ihipStream_tbEUlT_E_NS1_11comp_targetILNS1_3genE3ELNS1_11target_archE908ELNS1_3gpuE7ELNS1_3repE0EEENS1_30default_config_static_selectorELNS0_4arch9wavefront6targetE1EEEvSP_.has_dyn_sized_stack, 0
	.set _ZN7rocprim17ROCPRIM_400000_NS6detail17trampoline_kernelINS0_14default_configENS1_32segmented_reduce_config_selectorIfEEZNS1_21segmented_reduce_implIS3_PKfPfPKlfN6hipcub16HIPCUB_304000_NS6detail27convert_result_type_wrapperIS8_S9_N2at6native12_GLOBAL__N_110CustomProdEEEEE10hipError_tPvRmT0_T1_jT2_SQ_T4_T3_P12ihipStream_tbEUlT_E_NS1_11comp_targetILNS1_3genE3ELNS1_11target_archE908ELNS1_3gpuE7ELNS1_3repE0EEENS1_30default_config_static_selectorELNS0_4arch9wavefront6targetE1EEEvSP_.has_recursion, 0
	.set _ZN7rocprim17ROCPRIM_400000_NS6detail17trampoline_kernelINS0_14default_configENS1_32segmented_reduce_config_selectorIfEEZNS1_21segmented_reduce_implIS3_PKfPfPKlfN6hipcub16HIPCUB_304000_NS6detail27convert_result_type_wrapperIS8_S9_N2at6native12_GLOBAL__N_110CustomProdEEEEE10hipError_tPvRmT0_T1_jT2_SQ_T4_T3_P12ihipStream_tbEUlT_E_NS1_11comp_targetILNS1_3genE3ELNS1_11target_archE908ELNS1_3gpuE7ELNS1_3repE0EEENS1_30default_config_static_selectorELNS0_4arch9wavefront6targetE1EEEvSP_.has_indirect_call, 0
	.section	.AMDGPU.csdata,"",@progbits
; Kernel info:
; codeLenInByte = 0
; TotalNumSgprs: 4
; NumVgprs: 0
; ScratchSize: 0
; MemoryBound: 0
; FloatMode: 240
; IeeeMode: 1
; LDSByteSize: 0 bytes/workgroup (compile time only)
; SGPRBlocks: 0
; VGPRBlocks: 0
; NumSGPRsForWavesPerEU: 4
; NumVGPRsForWavesPerEU: 1
; Occupancy: 10
; WaveLimiterHint : 0
; COMPUTE_PGM_RSRC2:SCRATCH_EN: 0
; COMPUTE_PGM_RSRC2:USER_SGPR: 6
; COMPUTE_PGM_RSRC2:TRAP_HANDLER: 0
; COMPUTE_PGM_RSRC2:TGID_X_EN: 1
; COMPUTE_PGM_RSRC2:TGID_Y_EN: 0
; COMPUTE_PGM_RSRC2:TGID_Z_EN: 0
; COMPUTE_PGM_RSRC2:TIDIG_COMP_CNT: 0
	.section	.text._ZN7rocprim17ROCPRIM_400000_NS6detail17trampoline_kernelINS0_14default_configENS1_32segmented_reduce_config_selectorIfEEZNS1_21segmented_reduce_implIS3_PKfPfPKlfN6hipcub16HIPCUB_304000_NS6detail27convert_result_type_wrapperIS8_S9_N2at6native12_GLOBAL__N_110CustomProdEEEEE10hipError_tPvRmT0_T1_jT2_SQ_T4_T3_P12ihipStream_tbEUlT_E_NS1_11comp_targetILNS1_3genE2ELNS1_11target_archE906ELNS1_3gpuE6ELNS1_3repE0EEENS1_30default_config_static_selectorELNS0_4arch9wavefront6targetE1EEEvSP_,"axG",@progbits,_ZN7rocprim17ROCPRIM_400000_NS6detail17trampoline_kernelINS0_14default_configENS1_32segmented_reduce_config_selectorIfEEZNS1_21segmented_reduce_implIS3_PKfPfPKlfN6hipcub16HIPCUB_304000_NS6detail27convert_result_type_wrapperIS8_S9_N2at6native12_GLOBAL__N_110CustomProdEEEEE10hipError_tPvRmT0_T1_jT2_SQ_T4_T3_P12ihipStream_tbEUlT_E_NS1_11comp_targetILNS1_3genE2ELNS1_11target_archE906ELNS1_3gpuE6ELNS1_3repE0EEENS1_30default_config_static_selectorELNS0_4arch9wavefront6targetE1EEEvSP_,comdat
	.globl	_ZN7rocprim17ROCPRIM_400000_NS6detail17trampoline_kernelINS0_14default_configENS1_32segmented_reduce_config_selectorIfEEZNS1_21segmented_reduce_implIS3_PKfPfPKlfN6hipcub16HIPCUB_304000_NS6detail27convert_result_type_wrapperIS8_S9_N2at6native12_GLOBAL__N_110CustomProdEEEEE10hipError_tPvRmT0_T1_jT2_SQ_T4_T3_P12ihipStream_tbEUlT_E_NS1_11comp_targetILNS1_3genE2ELNS1_11target_archE906ELNS1_3gpuE6ELNS1_3repE0EEENS1_30default_config_static_selectorELNS0_4arch9wavefront6targetE1EEEvSP_ ; -- Begin function _ZN7rocprim17ROCPRIM_400000_NS6detail17trampoline_kernelINS0_14default_configENS1_32segmented_reduce_config_selectorIfEEZNS1_21segmented_reduce_implIS3_PKfPfPKlfN6hipcub16HIPCUB_304000_NS6detail27convert_result_type_wrapperIS8_S9_N2at6native12_GLOBAL__N_110CustomProdEEEEE10hipError_tPvRmT0_T1_jT2_SQ_T4_T3_P12ihipStream_tbEUlT_E_NS1_11comp_targetILNS1_3genE2ELNS1_11target_archE906ELNS1_3gpuE6ELNS1_3repE0EEENS1_30default_config_static_selectorELNS0_4arch9wavefront6targetE1EEEvSP_
	.p2align	8
	.type	_ZN7rocprim17ROCPRIM_400000_NS6detail17trampoline_kernelINS0_14default_configENS1_32segmented_reduce_config_selectorIfEEZNS1_21segmented_reduce_implIS3_PKfPfPKlfN6hipcub16HIPCUB_304000_NS6detail27convert_result_type_wrapperIS8_S9_N2at6native12_GLOBAL__N_110CustomProdEEEEE10hipError_tPvRmT0_T1_jT2_SQ_T4_T3_P12ihipStream_tbEUlT_E_NS1_11comp_targetILNS1_3genE2ELNS1_11target_archE906ELNS1_3gpuE6ELNS1_3repE0EEENS1_30default_config_static_selectorELNS0_4arch9wavefront6targetE1EEEvSP_,@function
_ZN7rocprim17ROCPRIM_400000_NS6detail17trampoline_kernelINS0_14default_configENS1_32segmented_reduce_config_selectorIfEEZNS1_21segmented_reduce_implIS3_PKfPfPKlfN6hipcub16HIPCUB_304000_NS6detail27convert_result_type_wrapperIS8_S9_N2at6native12_GLOBAL__N_110CustomProdEEEEE10hipError_tPvRmT0_T1_jT2_SQ_T4_T3_P12ihipStream_tbEUlT_E_NS1_11comp_targetILNS1_3genE2ELNS1_11target_archE906ELNS1_3gpuE6ELNS1_3repE0EEENS1_30default_config_static_selectorELNS0_4arch9wavefront6targetE1EEEvSP_: ; @_ZN7rocprim17ROCPRIM_400000_NS6detail17trampoline_kernelINS0_14default_configENS1_32segmented_reduce_config_selectorIfEEZNS1_21segmented_reduce_implIS3_PKfPfPKlfN6hipcub16HIPCUB_304000_NS6detail27convert_result_type_wrapperIS8_S9_N2at6native12_GLOBAL__N_110CustomProdEEEEE10hipError_tPvRmT0_T1_jT2_SQ_T4_T3_P12ihipStream_tbEUlT_E_NS1_11comp_targetILNS1_3genE2ELNS1_11target_archE906ELNS1_3gpuE6ELNS1_3repE0EEENS1_30default_config_static_selectorELNS0_4arch9wavefront6targetE1EEEvSP_
; %bb.0:
	s_load_dwordx8 s[36:43], s[4:5], 0x0
	s_load_dwordx2 s[0:1], s[4:5], 0x20
	s_load_dword s33, s[4:5], 0x2c
	s_mov_b32 s7, 0
	s_waitcnt lgkmcnt(0)
	s_lshl_b64 s[2:3], s[40:41], 3
	s_add_u32 s4, s42, s2
	s_addc_u32 s5, s43, s3
	s_add_u32 s8, s0, s2
	s_addc_u32 s9, s1, s3
	s_lshl_b64 s[0:1], s[6:7], 3
	s_add_u32 s2, s4, s0
	s_addc_u32 s3, s5, s1
	s_load_dwordx2 s[44:45], s[2:3], 0x0
	s_add_u32 s0, s8, s0
	s_addc_u32 s1, s9, s1
	s_load_dwordx2 s[42:43], s[0:1], 0x0
	v_cmp_eq_u32_e64 s[0:1], 0, v0
	s_waitcnt lgkmcnt(0)
	v_mov_b32_e32 v1, s44
	v_mov_b32_e32 v2, s45
	v_cmp_gt_i64_e32 vcc, s[42:43], v[1:2]
	s_cbranch_vccnz .LBB209_3
; %bb.1:
	s_and_b64 s[34:35], s[0:1], exec
	s_cbranch_execz .LBB209_4
; %bb.2:
	v_mov_b32_e32 v1, s33
	s_and_saveexec_b64 s[0:1], s[34:35]
	s_cbranch_execnz .LBB209_67
	s_branch .LBB209_68
.LBB209_3:
	s_mov_b64 s[34:35], 0
.LBB209_4:
	s_add_u32 s2, s44, 0x1000
	v_mov_b32_e32 v1, s42
	s_addc_u32 s3, s45, 0
	v_mov_b32_e32 v2, s43
	v_cmp_le_i64_e32 vcc, s[2:3], v[1:2]
	s_cbranch_vccz .LBB209_45
; %bb.5:
	s_lshl_b64 s[0:1], s[44:45], 2
	s_add_u32 s4, s36, s0
	s_addc_u32 s5, s37, s1
	v_lshlrev_b32_e32 v20, 2, v0
	v_mov_b32_e32 v1, s5
	v_add_co_u32_e32 v11, vcc, s4, v20
	v_addc_co_u32_e32 v12, vcc, 0, v1, vcc
	v_add_co_u32_e32 v1, vcc, 0x1000, v11
	v_addc_co_u32_e32 v2, vcc, 0, v12, vcc
	global_load_dword v6, v20, s[4:5]
	global_load_dword v5, v20, s[4:5] offset:1024
	global_load_dword v4, v20, s[4:5] offset:2048
	global_load_dword v3, v20, s[4:5] offset:3072
	global_load_dword v10, v[1:2], off
	global_load_dword v9, v[1:2], off offset:1024
	global_load_dword v8, v[1:2], off offset:2048
	;; [unrolled: 1-line block ×3, first 2 shown]
	v_add_co_u32_e32 v1, vcc, 0x2000, v11
	v_addc_co_u32_e32 v2, vcc, 0, v12, vcc
	v_add_co_u32_e32 v21, vcc, 0x3000, v11
	v_addc_co_u32_e32 v22, vcc, 0, v12, vcc
	global_load_dword v15, v[1:2], off
	global_load_dword v14, v[1:2], off offset:1024
	global_load_dword v13, v[1:2], off offset:2048
	;; [unrolled: 1-line block ×3, first 2 shown]
	global_load_dword v16, v[21:22], off
	global_load_dword v18, v[21:22], off offset:1024
	global_load_dword v17, v[21:22], off offset:2048
	global_load_dword v19, v[21:22], off offset:3072
	v_mov_b32_e32 v1, s42
	s_add_u32 s4, s44, 0x2000
	v_mov_b32_e32 v2, s43
	s_addc_u32 s5, s45, 0
	v_cmp_ge_i64_e32 vcc, s[4:5], v[1:2]
	s_and_b64 vcc, exec, vcc
	s_waitcnt vmcnt(14)
	v_mul_f32_e32 v1, v6, v5
	s_waitcnt vmcnt(13)
	v_mul_f32_e32 v1, v1, v4
	;; [unrolled: 2-line block ×15, first 2 shown]
	s_cbranch_vccnz .LBB209_8
; %bb.6:
	s_add_u32 s0, s36, s0
	s_addc_u32 s1, s37, s1
	v_mov_b32_e32 v1, s1
	v_add_co_u32_e32 v2, vcc, s0, v20
	v_addc_co_u32_e32 v3, vcc, 0, v1, vcc
	v_add_co_u32_e32 v1, vcc, 0x4000, v2
	v_addc_co_u32_e32 v2, vcc, 0, v3, vcc
.LBB209_7:                              ; =>This Inner Loop Header: Depth=1
	global_load_dword v6, v[1:2], off
	global_load_dword v5, v[1:2], off offset:1024
	global_load_dword v4, v[1:2], off offset:2048
	;; [unrolled: 1-line block ×3, first 2 shown]
	v_add_co_u32_e32 v16, vcc, 0x1000, v1
	v_addc_co_u32_e32 v17, vcc, 0, v2, vcc
	v_add_co_u32_e32 v21, vcc, 0x2000, v1
	v_addc_co_u32_e32 v22, vcc, 0, v2, vcc
	s_mov_b64 s[0:1], s[2:3]
	v_add_co_u32_e32 v23, vcc, 0x3000, v1
	s_add_u32 s2, s0, 0x1000
	global_load_dword v10, v[16:17], off
	global_load_dword v9, v[16:17], off offset:1024
	global_load_dword v8, v[16:17], off offset:2048
	;; [unrolled: 1-line block ×3, first 2 shown]
	global_load_dword v15, v[21:22], off
	global_load_dword v14, v[21:22], off offset:1024
	global_load_dword v13, v[21:22], off offset:2048
	;; [unrolled: 1-line block ×3, first 2 shown]
	v_addc_co_u32_e32 v24, vcc, 0, v2, vcc
	s_addc_u32 s3, s1, 0
	global_load_dword v16, v[23:24], off
	v_mov_b32_e32 v18, s42
	s_add_u32 s0, s0, 0x2000
	v_mov_b32_e32 v19, s43
	s_addc_u32 s1, s1, 0
	v_cmp_lt_i64_e64 s[0:1], s[0:1], v[18:19]
	global_load_dword v18, v[23:24], off offset:1024
	global_load_dword v17, v[23:24], off offset:2048
	global_load_dword v19, v[23:24], off offset:3072
	v_add_co_u32_e32 v1, vcc, 0x4000, v1
	v_addc_co_u32_e32 v2, vcc, 0, v2, vcc
	s_and_b64 vcc, exec, s[0:1]
	s_waitcnt vmcnt(15)
	v_mul_f32_e32 v11, v11, v6
	s_waitcnt vmcnt(14)
	v_mul_f32_e32 v11, v11, v5
	;; [unrolled: 2-line block ×16, first 2 shown]
	s_cbranch_vccnz .LBB209_7
.LBB209_8:
	s_sub_i32 s48, s42, s2
	s_lshl_b64 s[0:1], s[2:3], 2
	s_add_u32 s46, s36, s0
	s_addc_u32 s47, s37, s1
	v_cmp_gt_u32_e32 vcc, s48, v0
	s_and_saveexec_b64 s[0:1], vcc
	s_cbranch_execz .LBB209_10
; %bb.9:
	global_load_dword v6, v20, s[46:47]
.LBB209_10:
	s_or_b64 exec, exec, s[0:1]
	v_or_b32_e32 v1, 0x100, v0
	v_cmp_gt_u32_e64 s[0:1], s48, v1
	s_and_saveexec_b64 s[2:3], s[0:1]
	s_cbranch_execz .LBB209_12
; %bb.11:
	global_load_dword v5, v20, s[46:47] offset:1024
.LBB209_12:
	s_or_b64 exec, exec, s[2:3]
	v_or_b32_e32 v1, 0x200, v0
	v_cmp_gt_u32_e64 s[2:3], s48, v1
	s_and_saveexec_b64 s[4:5], s[2:3]
	s_cbranch_execz .LBB209_14
; %bb.13:
	global_load_dword v4, v20, s[46:47] offset:2048
.LBB209_14:
	;; [unrolled: 8-line block ×3, first 2 shown]
	s_or_b64 exec, exec, s[8:9]
	v_or_b32_e32 v1, 0x400, v0
	v_cmp_gt_u32_e64 s[8:9], s48, v1
	s_and_saveexec_b64 s[10:11], s[8:9]
	s_cbranch_execz .LBB209_18
; %bb.17:
	v_lshlrev_b32_e32 v1, 2, v1
	global_load_dword v10, v1, s[46:47]
.LBB209_18:
	s_or_b64 exec, exec, s[10:11]
	v_or_b32_e32 v1, 0x500, v0
	v_cmp_gt_u32_e64 s[10:11], s48, v1
	s_and_saveexec_b64 s[12:13], s[10:11]
	s_cbranch_execz .LBB209_20
; %bb.19:
	v_lshlrev_b32_e32 v1, 2, v1
	global_load_dword v9, v1, s[46:47]
.LBB209_20:
	s_or_b64 exec, exec, s[12:13]
	v_or_b32_e32 v1, 0x600, v0
	v_cmp_gt_u32_e64 s[12:13], s48, v1
	s_and_saveexec_b64 s[14:15], s[12:13]
	s_cbranch_execz .LBB209_22
; %bb.21:
	v_lshlrev_b32_e32 v1, 2, v1
	global_load_dword v8, v1, s[46:47]
.LBB209_22:
	s_or_b64 exec, exec, s[14:15]
	v_or_b32_e32 v1, 0x700, v0
	v_cmp_gt_u32_e64 s[14:15], s48, v1
	s_and_saveexec_b64 s[16:17], s[14:15]
	s_cbranch_execz .LBB209_24
; %bb.23:
	v_lshlrev_b32_e32 v1, 2, v1
	global_load_dword v7, v1, s[46:47]
.LBB209_24:
	s_or_b64 exec, exec, s[16:17]
	v_or_b32_e32 v1, 0x800, v0
	v_cmp_gt_u32_e64 s[16:17], s48, v1
	s_and_saveexec_b64 s[18:19], s[16:17]
	s_cbranch_execz .LBB209_26
; %bb.25:
	v_lshlrev_b32_e32 v1, 2, v1
	global_load_dword v15, v1, s[46:47]
.LBB209_26:
	s_or_b64 exec, exec, s[18:19]
	v_or_b32_e32 v1, 0x900, v0
	v_cmp_gt_u32_e64 s[18:19], s48, v1
	s_and_saveexec_b64 s[20:21], s[18:19]
	s_cbranch_execz .LBB209_28
; %bb.27:
	v_lshlrev_b32_e32 v1, 2, v1
	global_load_dword v14, v1, s[46:47]
.LBB209_28:
	s_or_b64 exec, exec, s[20:21]
	v_or_b32_e32 v1, 0xa00, v0
	v_cmp_gt_u32_e64 s[20:21], s48, v1
	s_and_saveexec_b64 s[22:23], s[20:21]
	s_cbranch_execz .LBB209_30
; %bb.29:
	v_lshlrev_b32_e32 v1, 2, v1
	global_load_dword v13, v1, s[46:47]
.LBB209_30:
	s_or_b64 exec, exec, s[22:23]
	v_or_b32_e32 v1, 0xb00, v0
	v_cmp_gt_u32_e64 s[22:23], s48, v1
	s_and_saveexec_b64 s[24:25], s[22:23]
	s_cbranch_execz .LBB209_32
; %bb.31:
	v_lshlrev_b32_e32 v1, 2, v1
	global_load_dword v12, v1, s[46:47]
.LBB209_32:
	s_or_b64 exec, exec, s[24:25]
	v_or_b32_e32 v1, 0xc00, v0
	v_cmp_gt_u32_e64 s[24:25], s48, v1
	s_and_saveexec_b64 s[26:27], s[24:25]
	s_cbranch_execz .LBB209_34
; %bb.33:
	v_lshlrev_b32_e32 v1, 2, v1
	global_load_dword v16, v1, s[46:47]
.LBB209_34:
	s_or_b64 exec, exec, s[26:27]
	v_or_b32_e32 v1, 0xd00, v0
	v_cmp_gt_u32_e64 s[26:27], s48, v1
	s_and_saveexec_b64 s[28:29], s[26:27]
	s_cbranch_execz .LBB209_36
; %bb.35:
	v_lshlrev_b32_e32 v1, 2, v1
	global_load_dword v18, v1, s[46:47]
.LBB209_36:
	s_or_b64 exec, exec, s[28:29]
	v_or_b32_e32 v1, 0xe00, v0
	v_cmp_gt_u32_e64 s[28:29], s48, v1
	s_and_saveexec_b64 s[30:31], s[28:29]
	s_cbranch_execz .LBB209_38
; %bb.37:
	v_lshlrev_b32_e32 v1, 2, v1
	global_load_dword v17, v1, s[46:47]
.LBB209_38:
	s_or_b64 exec, exec, s[30:31]
	v_or_b32_e32 v1, 0xf00, v0
	v_cmp_gt_u32_e64 s[30:31], s48, v1
	s_and_saveexec_b64 s[48:49], s[30:31]
	s_cbranch_execz .LBB209_40
; %bb.39:
	v_lshlrev_b32_e32 v1, 2, v1
	global_load_dword v19, v1, s[46:47]
.LBB209_40:
	s_or_b64 exec, exec, s[48:49]
	s_waitcnt vmcnt(0)
	v_mul_f32_e32 v1, v11, v6
	v_cndmask_b32_e32 v1, v11, v1, vcc
	v_mul_f32_e32 v2, v5, v1
	v_cndmask_b32_e64 v1, v1, v2, s[0:1]
	v_mul_f32_e32 v2, v4, v1
	v_cndmask_b32_e64 v1, v1, v2, s[2:3]
	v_mul_f32_e32 v2, v3, v1
	v_cndmask_b32_e64 v1, v1, v2, s[4:5]
	v_mul_f32_e32 v2, v10, v1
	v_cndmask_b32_e64 v1, v1, v2, s[8:9]
	v_mul_f32_e32 v2, v9, v1
	v_cndmask_b32_e64 v1, v1, v2, s[10:11]
	v_mul_f32_e32 v2, v8, v1
	v_cndmask_b32_e64 v1, v1, v2, s[12:13]
	v_mul_f32_e32 v2, v7, v1
	v_cndmask_b32_e64 v1, v1, v2, s[14:15]
	v_mul_f32_e32 v2, v15, v1
	v_cndmask_b32_e64 v1, v1, v2, s[16:17]
	v_mul_f32_e32 v2, v14, v1
	v_cndmask_b32_e64 v1, v1, v2, s[18:19]
	v_mul_f32_e32 v2, v13, v1
	v_cndmask_b32_e64 v1, v1, v2, s[20:21]
	v_mul_f32_e32 v2, v12, v1
	v_cndmask_b32_e64 v1, v1, v2, s[22:23]
	v_mul_f32_e32 v2, v16, v1
	v_cndmask_b32_e64 v1, v1, v2, s[24:25]
	v_mul_f32_e32 v2, v18, v1
	v_cndmask_b32_e64 v1, v1, v2, s[26:27]
	v_mul_f32_e32 v2, v17, v1
	v_cndmask_b32_e64 v1, v1, v2, s[28:29]
	v_mul_f32_e32 v2, v19, v1
	v_cndmask_b32_e64 v2, v1, v2, s[30:31]
	v_mbcnt_lo_u32_b32 v1, -1, 0
	v_mbcnt_hi_u32_b32 v1, -1, v1
	v_mul_f32_dpp v2, v2, v2 quad_perm:[1,0,3,2] row_mask:0xf bank_mask:0xf bound_ctrl:1
	v_cmp_eq_u32_e32 vcc, 0, v1
	s_nop 0
	v_mul_f32_dpp v2, v2, v2 quad_perm:[2,3,0,1] row_mask:0xf bank_mask:0xf bound_ctrl:1
	s_nop 1
	v_mul_f32_dpp v2, v2, v2 row_ror:4 row_mask:0xf bank_mask:0xf bound_ctrl:1
	s_nop 1
	v_mul_f32_dpp v2, v2, v2 row_ror:8 row_mask:0xf bank_mask:0xf bound_ctrl:1
	s_nop 1
	v_mul_f32_dpp v2, v2, v2 row_bcast:15 row_mask:0xf bank_mask:0xf bound_ctrl:1
	s_nop 1
	v_mul_f32_dpp v3, v2, v2 row_bcast:31 row_mask:0xf bank_mask:0xf bound_ctrl:1
	v_lshlrev_b32_e32 v2, 2, v1
	v_or_b32_e32 v4, 0xfc, v2
	ds_bpermute_b32 v3, v4, v3
	s_and_saveexec_b64 s[0:1], vcc
	s_cbranch_execz .LBB209_42
; %bb.41:
	v_lshrrev_b32_e32 v4, 4, v0
	v_and_b32_e32 v4, 12, v4
	s_waitcnt lgkmcnt(0)
	ds_write_b32 v4, v3
.LBB209_42:
	s_or_b64 exec, exec, s[0:1]
	v_cmp_gt_u32_e32 vcc, 64, v0
	s_waitcnt lgkmcnt(0)
	s_barrier
	s_and_saveexec_b64 s[0:1], vcc
	s_cbranch_execz .LBB209_44
; %bb.43:
	v_and_b32_e32 v3, 3, v1
	v_lshlrev_b32_e32 v4, 2, v3
	ds_read_b32 v4, v4
	v_cmp_ne_u32_e32 vcc, 3, v3
	v_addc_co_u32_e32 v1, vcc, 0, v1, vcc
	v_lshlrev_b32_e32 v1, 2, v1
	s_waitcnt lgkmcnt(0)
	ds_bpermute_b32 v1, v1, v4
	v_or_b32_e32 v2, 8, v2
	s_waitcnt lgkmcnt(0)
	v_mul_f32_e32 v1, v4, v1
	ds_bpermute_b32 v2, v2, v1
	s_waitcnt lgkmcnt(0)
	v_mul_f32_e32 v3, v1, v2
.LBB209_44:
	s_or_b64 exec, exec, s[0:1]
	s_branch .LBB209_64
.LBB209_45:
                                        ; implicit-def: $vgpr3
	s_cbranch_execz .LBB209_64
; %bb.46:
	s_sub_i32 s10, s42, s44
	v_cmp_gt_u32_e32 vcc, s10, v0
                                        ; implicit-def: $vgpr5
	s_and_saveexec_b64 s[2:3], vcc
	s_cbranch_execz .LBB209_52
; %bb.47:
	v_mov_b32_e32 v1, s45
	v_add_co_u32_e32 v6, vcc, s44, v0
	v_addc_co_u32_e32 v7, vcc, 0, v1, vcc
	v_lshlrev_b64 v[2:3], 2, v[6:7]
	v_mov_b32_e32 v1, s37
	v_add_co_u32_e64 v4, s[0:1], s36, v2
	v_addc_co_u32_e64 v5, vcc, v1, v3, s[0:1]
	global_load_dword v5, v[4:5], off
	v_add_co_u32_e32 v1, vcc, 0x100, v6
	v_addc_co_u32_e32 v2, vcc, 0, v7, vcc
	v_cmp_gt_i64_e32 vcc, s[42:43], v[1:2]
	s_and_saveexec_b64 s[4:5], vcc
	s_cbranch_execz .LBB209_51
; %bb.48:
	v_mov_b32_e32 v6, s37
	v_addc_co_u32_e64 v6, vcc, v6, v3, s[0:1]
	v_add_co_u32_e32 v3, vcc, 0x400, v4
	v_addc_co_u32_e32 v4, vcc, 0, v6, vcc
	s_mov_b64 s[8:9], 0
.LBB209_49:                             ; =>This Inner Loop Header: Depth=1
	global_load_dword v6, v[3:4], off
	v_add_co_u32_e32 v1, vcc, 0x100, v1
	v_addc_co_u32_e32 v2, vcc, 0, v2, vcc
	v_cmp_le_i64_e64 s[0:1], s[42:43], v[1:2]
	v_add_co_u32_e32 v3, vcc, 0x400, v3
	v_addc_co_u32_e32 v4, vcc, 0, v4, vcc
	s_or_b64 s[8:9], s[0:1], s[8:9]
	s_waitcnt vmcnt(0)
	v_mul_f32_e32 v5, v5, v6
	s_andn2_b64 exec, exec, s[8:9]
	s_cbranch_execnz .LBB209_49
; %bb.50:
	s_or_b64 exec, exec, s[8:9]
.LBB209_51:
	s_or_b64 exec, exec, s[4:5]
.LBB209_52:
	s_or_b64 exec, exec, s[2:3]
	v_mbcnt_lo_u32_b32 v1, -1, 0
	v_mbcnt_hi_u32_b32 v2, -1, v1
	s_cmpk_lt_u32 s10, 0x100
	v_lshlrev_b32_e32 v1, 2, v2
	v_cmp_eq_u32_e32 vcc, 0, v2
	s_cbranch_scc0 .LBB209_58
; %bb.53:
	v_and_b32_e32 v3, 63, v2
	v_cmp_ne_u32_e64 s[0:1], 63, v3
	v_addc_co_u32_e64 v4, s[0:1], 0, v2, s[0:1]
	v_lshlrev_b32_e32 v4, 2, v4
	s_waitcnt vmcnt(0)
	ds_bpermute_b32 v4, v4, v5
	v_and_b32_e32 v6, 0xc0, v0
	v_sub_u32_e64 v6, s10, v6 clamp
	v_add_u32_e32 v7, 1, v3
	v_cmp_gt_u32_e64 s[2:3], 62, v3
	s_waitcnt lgkmcnt(0)
	v_mul_f32_e32 v4, v5, v4
	v_cmp_lt_u32_e64 s[0:1], v7, v6
	v_cndmask_b32_e64 v7, 0, 2, s[2:3]
	v_cndmask_b32_e64 v4, v5, v4, s[0:1]
	v_add_lshl_u32 v7, v7, v2, 2
	ds_bpermute_b32 v7, v7, v4
	v_add_u32_e32 v8, 2, v3
	v_cmp_lt_u32_e64 s[2:3], v8, v6
	v_add_u32_e32 v8, 4, v3
	s_waitcnt lgkmcnt(0)
	v_mul_f32_e32 v7, v4, v7
	v_cndmask_b32_e64 v4, v4, v7, s[2:3]
	v_cmp_gt_u32_e64 s[2:3], 60, v3
	v_cndmask_b32_e64 v7, 0, 4, s[2:3]
	v_add_lshl_u32 v7, v7, v2, 2
	ds_bpermute_b32 v7, v7, v4
	v_cmp_lt_u32_e64 s[2:3], v8, v6
	v_add_u32_e32 v8, 8, v3
	s_waitcnt lgkmcnt(0)
	v_mul_f32_e32 v7, v4, v7
	v_cndmask_b32_e64 v4, v4, v7, s[2:3]
	v_cmp_gt_u32_e64 s[2:3], 56, v3
	v_cndmask_b32_e64 v7, 0, 8, s[2:3]
	v_add_lshl_u32 v7, v7, v2, 2
	ds_bpermute_b32 v7, v7, v4
	v_cmp_lt_u32_e64 s[2:3], v8, v6
	v_add_u32_e32 v8, 16, v3
	s_waitcnt lgkmcnt(0)
	v_mul_f32_e32 v7, v4, v7
	v_cndmask_b32_e64 v4, v4, v7, s[2:3]
	v_cmp_gt_u32_e64 s[2:3], 48, v3
	v_cndmask_b32_e64 v7, 0, 16, s[2:3]
	v_add_lshl_u32 v7, v7, v2, 2
	ds_bpermute_b32 v7, v7, v4
	v_cmp_lt_u32_e64 s[2:3], v8, v6
	v_add_u32_e32 v3, 32, v3
	s_waitcnt lgkmcnt(0)
	v_mul_f32_e32 v7, v4, v7
	v_cndmask_b32_e64 v4, v4, v7, s[2:3]
	v_or_b32_e32 v7, 0x80, v1
	ds_bpermute_b32 v7, v7, v4
	v_cmp_lt_u32_e64 s[2:3], v3, v6
	s_waitcnt lgkmcnt(0)
	v_mul_f32_e32 v7, v4, v7
	v_cndmask_b32_e64 v3, v4, v7, s[2:3]
	v_cndmask_b32_e64 v3, v5, v3, s[0:1]
	s_and_saveexec_b64 s[0:1], vcc
; %bb.54:
	v_lshrrev_b32_e32 v4, 4, v0
	v_and_b32_e32 v4, 12, v4
	ds_write_b32 v4, v3
; %bb.55:
	s_or_b64 exec, exec, s[0:1]
	v_cmp_gt_u32_e32 vcc, 4, v0
	s_waitcnt lgkmcnt(0)
	s_barrier
	s_and_saveexec_b64 s[2:3], vcc
	s_cbranch_execz .LBB209_57
; %bb.56:
	ds_read_b32 v3, v1
	v_and_b32_e32 v4, 3, v2
	v_cmp_ne_u32_e32 vcc, 3, v4
	v_addc_co_u32_e32 v6, vcc, 0, v2, vcc
	v_lshlrev_b32_e32 v6, 2, v6
	s_waitcnt lgkmcnt(0)
	ds_bpermute_b32 v6, v6, v3
	s_add_i32 s10, s10, 63
	s_lshr_b32 s0, s10, 6
	v_add_u32_e32 v7, 1, v4
	v_cmp_gt_u32_e32 vcc, s0, v7
	s_waitcnt lgkmcnt(0)
	v_mul_f32_e32 v6, v3, v6
	v_cndmask_b32_e32 v6, v3, v6, vcc
	v_or_b32_e32 v7, 8, v1
	ds_bpermute_b32 v7, v7, v6
	v_add_u32_e32 v4, 2, v4
	v_cmp_gt_u32_e64 s[0:1], s0, v4
	s_waitcnt lgkmcnt(0)
	v_mul_f32_e32 v7, v6, v7
	v_cndmask_b32_e64 v4, v6, v7, s[0:1]
	v_cndmask_b32_e32 v3, v3, v4, vcc
.LBB209_57:
	s_or_b64 exec, exec, s[2:3]
	s_branch .LBB209_64
.LBB209_58:
                                        ; implicit-def: $vgpr3
	s_cbranch_execz .LBB209_64
; %bb.59:
	s_waitcnt vmcnt(0)
	v_mul_f32_dpp v3, v5, v5 quad_perm:[1,0,3,2] row_mask:0xf bank_mask:0xf bound_ctrl:1
	v_or_b32_e32 v4, 0xfc, v1
	v_cmp_eq_u32_e32 vcc, 0, v2
	v_mul_f32_dpp v3, v3, v3 quad_perm:[2,3,0,1] row_mask:0xf bank_mask:0xf bound_ctrl:1
	s_nop 1
	v_mul_f32_dpp v3, v3, v3 row_ror:4 row_mask:0xf bank_mask:0xf bound_ctrl:1
	s_nop 1
	v_mul_f32_dpp v3, v3, v3 row_ror:8 row_mask:0xf bank_mask:0xf bound_ctrl:1
	s_nop 1
	v_mul_f32_dpp v3, v3, v3 row_bcast:15 row_mask:0xf bank_mask:0xf bound_ctrl:1
	s_nop 1
	v_mul_f32_dpp v3, v3, v3 row_bcast:31 row_mask:0xf bank_mask:0xf bound_ctrl:1
	ds_bpermute_b32 v3, v4, v3
	s_and_saveexec_b64 s[0:1], vcc
	s_cbranch_execz .LBB209_61
; %bb.60:
	v_lshrrev_b32_e32 v4, 4, v0
	v_and_b32_e32 v4, 12, v4
	s_waitcnt lgkmcnt(0)
	ds_write_b32 v4, v3
.LBB209_61:
	s_or_b64 exec, exec, s[0:1]
	v_cmp_gt_u32_e32 vcc, 64, v0
	s_waitcnt lgkmcnt(0)
	s_barrier
	s_and_saveexec_b64 s[0:1], vcc
	s_cbranch_execz .LBB209_63
; %bb.62:
	v_and_b32_e32 v3, 3, v2
	v_lshlrev_b32_e32 v4, 2, v3
	ds_read_b32 v4, v4
	v_cmp_ne_u32_e32 vcc, 3, v3
	v_addc_co_u32_e32 v2, vcc, 0, v2, vcc
	v_lshlrev_b32_e32 v2, 2, v2
	s_waitcnt lgkmcnt(0)
	ds_bpermute_b32 v2, v2, v4
	v_or_b32_e32 v1, 8, v1
	s_waitcnt lgkmcnt(0)
	v_mul_f32_e32 v2, v4, v2
	ds_bpermute_b32 v1, v1, v2
	s_waitcnt lgkmcnt(0)
	v_mul_f32_e32 v3, v2, v1
.LBB209_63:
	s_or_b64 exec, exec, s[0:1]
.LBB209_64:
	v_cmp_eq_u32_e32 vcc, 0, v0
                                        ; implicit-def: $vgpr1
	s_and_saveexec_b64 s[0:1], vcc
; %bb.65:
	v_mul_f32_e32 v1, s33, v3
	s_or_b64 s[34:35], s[34:35], exec
; %bb.66:
	s_or_b64 exec, exec, s[0:1]
	s_and_saveexec_b64 s[0:1], s[34:35]
	s_cbranch_execz .LBB209_68
.LBB209_67:
	s_lshl_b64 s[0:1], s[40:41], 2
	s_add_u32 s2, s38, s0
	s_addc_u32 s3, s39, s1
	s_lshl_b64 s[0:1], s[6:7], 2
	s_add_u32 s0, s2, s0
	s_addc_u32 s1, s3, s1
	v_mov_b32_e32 v0, 0
	global_store_dword v0, v1, s[0:1]
.LBB209_68:
	s_endpgm
	.section	.rodata,"a",@progbits
	.p2align	6, 0x0
	.amdhsa_kernel _ZN7rocprim17ROCPRIM_400000_NS6detail17trampoline_kernelINS0_14default_configENS1_32segmented_reduce_config_selectorIfEEZNS1_21segmented_reduce_implIS3_PKfPfPKlfN6hipcub16HIPCUB_304000_NS6detail27convert_result_type_wrapperIS8_S9_N2at6native12_GLOBAL__N_110CustomProdEEEEE10hipError_tPvRmT0_T1_jT2_SQ_T4_T3_P12ihipStream_tbEUlT_E_NS1_11comp_targetILNS1_3genE2ELNS1_11target_archE906ELNS1_3gpuE6ELNS1_3repE0EEENS1_30default_config_static_selectorELNS0_4arch9wavefront6targetE1EEEvSP_
		.amdhsa_group_segment_fixed_size 16
		.amdhsa_private_segment_fixed_size 0
		.amdhsa_kernarg_size 48
		.amdhsa_user_sgpr_count 6
		.amdhsa_user_sgpr_private_segment_buffer 1
		.amdhsa_user_sgpr_dispatch_ptr 0
		.amdhsa_user_sgpr_queue_ptr 0
		.amdhsa_user_sgpr_kernarg_segment_ptr 1
		.amdhsa_user_sgpr_dispatch_id 0
		.amdhsa_user_sgpr_flat_scratch_init 0
		.amdhsa_user_sgpr_private_segment_size 0
		.amdhsa_uses_dynamic_stack 0
		.amdhsa_system_sgpr_private_segment_wavefront_offset 0
		.amdhsa_system_sgpr_workgroup_id_x 1
		.amdhsa_system_sgpr_workgroup_id_y 0
		.amdhsa_system_sgpr_workgroup_id_z 0
		.amdhsa_system_sgpr_workgroup_info 0
		.amdhsa_system_vgpr_workitem_id 0
		.amdhsa_next_free_vgpr 25
		.amdhsa_next_free_sgpr 50
		.amdhsa_reserve_vcc 1
		.amdhsa_reserve_flat_scratch 0
		.amdhsa_float_round_mode_32 0
		.amdhsa_float_round_mode_16_64 0
		.amdhsa_float_denorm_mode_32 3
		.amdhsa_float_denorm_mode_16_64 3
		.amdhsa_dx10_clamp 1
		.amdhsa_ieee_mode 1
		.amdhsa_fp16_overflow 0
		.amdhsa_exception_fp_ieee_invalid_op 0
		.amdhsa_exception_fp_denorm_src 0
		.amdhsa_exception_fp_ieee_div_zero 0
		.amdhsa_exception_fp_ieee_overflow 0
		.amdhsa_exception_fp_ieee_underflow 0
		.amdhsa_exception_fp_ieee_inexact 0
		.amdhsa_exception_int_div_zero 0
	.end_amdhsa_kernel
	.section	.text._ZN7rocprim17ROCPRIM_400000_NS6detail17trampoline_kernelINS0_14default_configENS1_32segmented_reduce_config_selectorIfEEZNS1_21segmented_reduce_implIS3_PKfPfPKlfN6hipcub16HIPCUB_304000_NS6detail27convert_result_type_wrapperIS8_S9_N2at6native12_GLOBAL__N_110CustomProdEEEEE10hipError_tPvRmT0_T1_jT2_SQ_T4_T3_P12ihipStream_tbEUlT_E_NS1_11comp_targetILNS1_3genE2ELNS1_11target_archE906ELNS1_3gpuE6ELNS1_3repE0EEENS1_30default_config_static_selectorELNS0_4arch9wavefront6targetE1EEEvSP_,"axG",@progbits,_ZN7rocprim17ROCPRIM_400000_NS6detail17trampoline_kernelINS0_14default_configENS1_32segmented_reduce_config_selectorIfEEZNS1_21segmented_reduce_implIS3_PKfPfPKlfN6hipcub16HIPCUB_304000_NS6detail27convert_result_type_wrapperIS8_S9_N2at6native12_GLOBAL__N_110CustomProdEEEEE10hipError_tPvRmT0_T1_jT2_SQ_T4_T3_P12ihipStream_tbEUlT_E_NS1_11comp_targetILNS1_3genE2ELNS1_11target_archE906ELNS1_3gpuE6ELNS1_3repE0EEENS1_30default_config_static_selectorELNS0_4arch9wavefront6targetE1EEEvSP_,comdat
.Lfunc_end209:
	.size	_ZN7rocprim17ROCPRIM_400000_NS6detail17trampoline_kernelINS0_14default_configENS1_32segmented_reduce_config_selectorIfEEZNS1_21segmented_reduce_implIS3_PKfPfPKlfN6hipcub16HIPCUB_304000_NS6detail27convert_result_type_wrapperIS8_S9_N2at6native12_GLOBAL__N_110CustomProdEEEEE10hipError_tPvRmT0_T1_jT2_SQ_T4_T3_P12ihipStream_tbEUlT_E_NS1_11comp_targetILNS1_3genE2ELNS1_11target_archE906ELNS1_3gpuE6ELNS1_3repE0EEENS1_30default_config_static_selectorELNS0_4arch9wavefront6targetE1EEEvSP_, .Lfunc_end209-_ZN7rocprim17ROCPRIM_400000_NS6detail17trampoline_kernelINS0_14default_configENS1_32segmented_reduce_config_selectorIfEEZNS1_21segmented_reduce_implIS3_PKfPfPKlfN6hipcub16HIPCUB_304000_NS6detail27convert_result_type_wrapperIS8_S9_N2at6native12_GLOBAL__N_110CustomProdEEEEE10hipError_tPvRmT0_T1_jT2_SQ_T4_T3_P12ihipStream_tbEUlT_E_NS1_11comp_targetILNS1_3genE2ELNS1_11target_archE906ELNS1_3gpuE6ELNS1_3repE0EEENS1_30default_config_static_selectorELNS0_4arch9wavefront6targetE1EEEvSP_
                                        ; -- End function
	.set _ZN7rocprim17ROCPRIM_400000_NS6detail17trampoline_kernelINS0_14default_configENS1_32segmented_reduce_config_selectorIfEEZNS1_21segmented_reduce_implIS3_PKfPfPKlfN6hipcub16HIPCUB_304000_NS6detail27convert_result_type_wrapperIS8_S9_N2at6native12_GLOBAL__N_110CustomProdEEEEE10hipError_tPvRmT0_T1_jT2_SQ_T4_T3_P12ihipStream_tbEUlT_E_NS1_11comp_targetILNS1_3genE2ELNS1_11target_archE906ELNS1_3gpuE6ELNS1_3repE0EEENS1_30default_config_static_selectorELNS0_4arch9wavefront6targetE1EEEvSP_.num_vgpr, 25
	.set _ZN7rocprim17ROCPRIM_400000_NS6detail17trampoline_kernelINS0_14default_configENS1_32segmented_reduce_config_selectorIfEEZNS1_21segmented_reduce_implIS3_PKfPfPKlfN6hipcub16HIPCUB_304000_NS6detail27convert_result_type_wrapperIS8_S9_N2at6native12_GLOBAL__N_110CustomProdEEEEE10hipError_tPvRmT0_T1_jT2_SQ_T4_T3_P12ihipStream_tbEUlT_E_NS1_11comp_targetILNS1_3genE2ELNS1_11target_archE906ELNS1_3gpuE6ELNS1_3repE0EEENS1_30default_config_static_selectorELNS0_4arch9wavefront6targetE1EEEvSP_.num_agpr, 0
	.set _ZN7rocprim17ROCPRIM_400000_NS6detail17trampoline_kernelINS0_14default_configENS1_32segmented_reduce_config_selectorIfEEZNS1_21segmented_reduce_implIS3_PKfPfPKlfN6hipcub16HIPCUB_304000_NS6detail27convert_result_type_wrapperIS8_S9_N2at6native12_GLOBAL__N_110CustomProdEEEEE10hipError_tPvRmT0_T1_jT2_SQ_T4_T3_P12ihipStream_tbEUlT_E_NS1_11comp_targetILNS1_3genE2ELNS1_11target_archE906ELNS1_3gpuE6ELNS1_3repE0EEENS1_30default_config_static_selectorELNS0_4arch9wavefront6targetE1EEEvSP_.numbered_sgpr, 50
	.set _ZN7rocprim17ROCPRIM_400000_NS6detail17trampoline_kernelINS0_14default_configENS1_32segmented_reduce_config_selectorIfEEZNS1_21segmented_reduce_implIS3_PKfPfPKlfN6hipcub16HIPCUB_304000_NS6detail27convert_result_type_wrapperIS8_S9_N2at6native12_GLOBAL__N_110CustomProdEEEEE10hipError_tPvRmT0_T1_jT2_SQ_T4_T3_P12ihipStream_tbEUlT_E_NS1_11comp_targetILNS1_3genE2ELNS1_11target_archE906ELNS1_3gpuE6ELNS1_3repE0EEENS1_30default_config_static_selectorELNS0_4arch9wavefront6targetE1EEEvSP_.num_named_barrier, 0
	.set _ZN7rocprim17ROCPRIM_400000_NS6detail17trampoline_kernelINS0_14default_configENS1_32segmented_reduce_config_selectorIfEEZNS1_21segmented_reduce_implIS3_PKfPfPKlfN6hipcub16HIPCUB_304000_NS6detail27convert_result_type_wrapperIS8_S9_N2at6native12_GLOBAL__N_110CustomProdEEEEE10hipError_tPvRmT0_T1_jT2_SQ_T4_T3_P12ihipStream_tbEUlT_E_NS1_11comp_targetILNS1_3genE2ELNS1_11target_archE906ELNS1_3gpuE6ELNS1_3repE0EEENS1_30default_config_static_selectorELNS0_4arch9wavefront6targetE1EEEvSP_.private_seg_size, 0
	.set _ZN7rocprim17ROCPRIM_400000_NS6detail17trampoline_kernelINS0_14default_configENS1_32segmented_reduce_config_selectorIfEEZNS1_21segmented_reduce_implIS3_PKfPfPKlfN6hipcub16HIPCUB_304000_NS6detail27convert_result_type_wrapperIS8_S9_N2at6native12_GLOBAL__N_110CustomProdEEEEE10hipError_tPvRmT0_T1_jT2_SQ_T4_T3_P12ihipStream_tbEUlT_E_NS1_11comp_targetILNS1_3genE2ELNS1_11target_archE906ELNS1_3gpuE6ELNS1_3repE0EEENS1_30default_config_static_selectorELNS0_4arch9wavefront6targetE1EEEvSP_.uses_vcc, 1
	.set _ZN7rocprim17ROCPRIM_400000_NS6detail17trampoline_kernelINS0_14default_configENS1_32segmented_reduce_config_selectorIfEEZNS1_21segmented_reduce_implIS3_PKfPfPKlfN6hipcub16HIPCUB_304000_NS6detail27convert_result_type_wrapperIS8_S9_N2at6native12_GLOBAL__N_110CustomProdEEEEE10hipError_tPvRmT0_T1_jT2_SQ_T4_T3_P12ihipStream_tbEUlT_E_NS1_11comp_targetILNS1_3genE2ELNS1_11target_archE906ELNS1_3gpuE6ELNS1_3repE0EEENS1_30default_config_static_selectorELNS0_4arch9wavefront6targetE1EEEvSP_.uses_flat_scratch, 0
	.set _ZN7rocprim17ROCPRIM_400000_NS6detail17trampoline_kernelINS0_14default_configENS1_32segmented_reduce_config_selectorIfEEZNS1_21segmented_reduce_implIS3_PKfPfPKlfN6hipcub16HIPCUB_304000_NS6detail27convert_result_type_wrapperIS8_S9_N2at6native12_GLOBAL__N_110CustomProdEEEEE10hipError_tPvRmT0_T1_jT2_SQ_T4_T3_P12ihipStream_tbEUlT_E_NS1_11comp_targetILNS1_3genE2ELNS1_11target_archE906ELNS1_3gpuE6ELNS1_3repE0EEENS1_30default_config_static_selectorELNS0_4arch9wavefront6targetE1EEEvSP_.has_dyn_sized_stack, 0
	.set _ZN7rocprim17ROCPRIM_400000_NS6detail17trampoline_kernelINS0_14default_configENS1_32segmented_reduce_config_selectorIfEEZNS1_21segmented_reduce_implIS3_PKfPfPKlfN6hipcub16HIPCUB_304000_NS6detail27convert_result_type_wrapperIS8_S9_N2at6native12_GLOBAL__N_110CustomProdEEEEE10hipError_tPvRmT0_T1_jT2_SQ_T4_T3_P12ihipStream_tbEUlT_E_NS1_11comp_targetILNS1_3genE2ELNS1_11target_archE906ELNS1_3gpuE6ELNS1_3repE0EEENS1_30default_config_static_selectorELNS0_4arch9wavefront6targetE1EEEvSP_.has_recursion, 0
	.set _ZN7rocprim17ROCPRIM_400000_NS6detail17trampoline_kernelINS0_14default_configENS1_32segmented_reduce_config_selectorIfEEZNS1_21segmented_reduce_implIS3_PKfPfPKlfN6hipcub16HIPCUB_304000_NS6detail27convert_result_type_wrapperIS8_S9_N2at6native12_GLOBAL__N_110CustomProdEEEEE10hipError_tPvRmT0_T1_jT2_SQ_T4_T3_P12ihipStream_tbEUlT_E_NS1_11comp_targetILNS1_3genE2ELNS1_11target_archE906ELNS1_3gpuE6ELNS1_3repE0EEENS1_30default_config_static_selectorELNS0_4arch9wavefront6targetE1EEEvSP_.has_indirect_call, 0
	.section	.AMDGPU.csdata,"",@progbits
; Kernel info:
; codeLenInByte = 3000
; TotalNumSgprs: 54
; NumVgprs: 25
; ScratchSize: 0
; MemoryBound: 0
; FloatMode: 240
; IeeeMode: 1
; LDSByteSize: 16 bytes/workgroup (compile time only)
; SGPRBlocks: 6
; VGPRBlocks: 6
; NumSGPRsForWavesPerEU: 54
; NumVGPRsForWavesPerEU: 25
; Occupancy: 9
; WaveLimiterHint : 1
; COMPUTE_PGM_RSRC2:SCRATCH_EN: 0
; COMPUTE_PGM_RSRC2:USER_SGPR: 6
; COMPUTE_PGM_RSRC2:TRAP_HANDLER: 0
; COMPUTE_PGM_RSRC2:TGID_X_EN: 1
; COMPUTE_PGM_RSRC2:TGID_Y_EN: 0
; COMPUTE_PGM_RSRC2:TGID_Z_EN: 0
; COMPUTE_PGM_RSRC2:TIDIG_COMP_CNT: 0
	.section	.text._ZN7rocprim17ROCPRIM_400000_NS6detail17trampoline_kernelINS0_14default_configENS1_32segmented_reduce_config_selectorIfEEZNS1_21segmented_reduce_implIS3_PKfPfPKlfN6hipcub16HIPCUB_304000_NS6detail27convert_result_type_wrapperIS8_S9_N2at6native12_GLOBAL__N_110CustomProdEEEEE10hipError_tPvRmT0_T1_jT2_SQ_T4_T3_P12ihipStream_tbEUlT_E_NS1_11comp_targetILNS1_3genE9ELNS1_11target_archE1100ELNS1_3gpuE3ELNS1_3repE0EEENS1_30default_config_static_selectorELNS0_4arch9wavefront6targetE1EEEvSP_,"axG",@progbits,_ZN7rocprim17ROCPRIM_400000_NS6detail17trampoline_kernelINS0_14default_configENS1_32segmented_reduce_config_selectorIfEEZNS1_21segmented_reduce_implIS3_PKfPfPKlfN6hipcub16HIPCUB_304000_NS6detail27convert_result_type_wrapperIS8_S9_N2at6native12_GLOBAL__N_110CustomProdEEEEE10hipError_tPvRmT0_T1_jT2_SQ_T4_T3_P12ihipStream_tbEUlT_E_NS1_11comp_targetILNS1_3genE9ELNS1_11target_archE1100ELNS1_3gpuE3ELNS1_3repE0EEENS1_30default_config_static_selectorELNS0_4arch9wavefront6targetE1EEEvSP_,comdat
	.globl	_ZN7rocprim17ROCPRIM_400000_NS6detail17trampoline_kernelINS0_14default_configENS1_32segmented_reduce_config_selectorIfEEZNS1_21segmented_reduce_implIS3_PKfPfPKlfN6hipcub16HIPCUB_304000_NS6detail27convert_result_type_wrapperIS8_S9_N2at6native12_GLOBAL__N_110CustomProdEEEEE10hipError_tPvRmT0_T1_jT2_SQ_T4_T3_P12ihipStream_tbEUlT_E_NS1_11comp_targetILNS1_3genE9ELNS1_11target_archE1100ELNS1_3gpuE3ELNS1_3repE0EEENS1_30default_config_static_selectorELNS0_4arch9wavefront6targetE1EEEvSP_ ; -- Begin function _ZN7rocprim17ROCPRIM_400000_NS6detail17trampoline_kernelINS0_14default_configENS1_32segmented_reduce_config_selectorIfEEZNS1_21segmented_reduce_implIS3_PKfPfPKlfN6hipcub16HIPCUB_304000_NS6detail27convert_result_type_wrapperIS8_S9_N2at6native12_GLOBAL__N_110CustomProdEEEEE10hipError_tPvRmT0_T1_jT2_SQ_T4_T3_P12ihipStream_tbEUlT_E_NS1_11comp_targetILNS1_3genE9ELNS1_11target_archE1100ELNS1_3gpuE3ELNS1_3repE0EEENS1_30default_config_static_selectorELNS0_4arch9wavefront6targetE1EEEvSP_
	.p2align	8
	.type	_ZN7rocprim17ROCPRIM_400000_NS6detail17trampoline_kernelINS0_14default_configENS1_32segmented_reduce_config_selectorIfEEZNS1_21segmented_reduce_implIS3_PKfPfPKlfN6hipcub16HIPCUB_304000_NS6detail27convert_result_type_wrapperIS8_S9_N2at6native12_GLOBAL__N_110CustomProdEEEEE10hipError_tPvRmT0_T1_jT2_SQ_T4_T3_P12ihipStream_tbEUlT_E_NS1_11comp_targetILNS1_3genE9ELNS1_11target_archE1100ELNS1_3gpuE3ELNS1_3repE0EEENS1_30default_config_static_selectorELNS0_4arch9wavefront6targetE1EEEvSP_,@function
_ZN7rocprim17ROCPRIM_400000_NS6detail17trampoline_kernelINS0_14default_configENS1_32segmented_reduce_config_selectorIfEEZNS1_21segmented_reduce_implIS3_PKfPfPKlfN6hipcub16HIPCUB_304000_NS6detail27convert_result_type_wrapperIS8_S9_N2at6native12_GLOBAL__N_110CustomProdEEEEE10hipError_tPvRmT0_T1_jT2_SQ_T4_T3_P12ihipStream_tbEUlT_E_NS1_11comp_targetILNS1_3genE9ELNS1_11target_archE1100ELNS1_3gpuE3ELNS1_3repE0EEENS1_30default_config_static_selectorELNS0_4arch9wavefront6targetE1EEEvSP_: ; @_ZN7rocprim17ROCPRIM_400000_NS6detail17trampoline_kernelINS0_14default_configENS1_32segmented_reduce_config_selectorIfEEZNS1_21segmented_reduce_implIS3_PKfPfPKlfN6hipcub16HIPCUB_304000_NS6detail27convert_result_type_wrapperIS8_S9_N2at6native12_GLOBAL__N_110CustomProdEEEEE10hipError_tPvRmT0_T1_jT2_SQ_T4_T3_P12ihipStream_tbEUlT_E_NS1_11comp_targetILNS1_3genE9ELNS1_11target_archE1100ELNS1_3gpuE3ELNS1_3repE0EEENS1_30default_config_static_selectorELNS0_4arch9wavefront6targetE1EEEvSP_
; %bb.0:
	.section	.rodata,"a",@progbits
	.p2align	6, 0x0
	.amdhsa_kernel _ZN7rocprim17ROCPRIM_400000_NS6detail17trampoline_kernelINS0_14default_configENS1_32segmented_reduce_config_selectorIfEEZNS1_21segmented_reduce_implIS3_PKfPfPKlfN6hipcub16HIPCUB_304000_NS6detail27convert_result_type_wrapperIS8_S9_N2at6native12_GLOBAL__N_110CustomProdEEEEE10hipError_tPvRmT0_T1_jT2_SQ_T4_T3_P12ihipStream_tbEUlT_E_NS1_11comp_targetILNS1_3genE9ELNS1_11target_archE1100ELNS1_3gpuE3ELNS1_3repE0EEENS1_30default_config_static_selectorELNS0_4arch9wavefront6targetE1EEEvSP_
		.amdhsa_group_segment_fixed_size 0
		.amdhsa_private_segment_fixed_size 0
		.amdhsa_kernarg_size 48
		.amdhsa_user_sgpr_count 6
		.amdhsa_user_sgpr_private_segment_buffer 1
		.amdhsa_user_sgpr_dispatch_ptr 0
		.amdhsa_user_sgpr_queue_ptr 0
		.amdhsa_user_sgpr_kernarg_segment_ptr 1
		.amdhsa_user_sgpr_dispatch_id 0
		.amdhsa_user_sgpr_flat_scratch_init 0
		.amdhsa_user_sgpr_private_segment_size 0
		.amdhsa_uses_dynamic_stack 0
		.amdhsa_system_sgpr_private_segment_wavefront_offset 0
		.amdhsa_system_sgpr_workgroup_id_x 1
		.amdhsa_system_sgpr_workgroup_id_y 0
		.amdhsa_system_sgpr_workgroup_id_z 0
		.amdhsa_system_sgpr_workgroup_info 0
		.amdhsa_system_vgpr_workitem_id 0
		.amdhsa_next_free_vgpr 1
		.amdhsa_next_free_sgpr 0
		.amdhsa_reserve_vcc 0
		.amdhsa_reserve_flat_scratch 0
		.amdhsa_float_round_mode_32 0
		.amdhsa_float_round_mode_16_64 0
		.amdhsa_float_denorm_mode_32 3
		.amdhsa_float_denorm_mode_16_64 3
		.amdhsa_dx10_clamp 1
		.amdhsa_ieee_mode 1
		.amdhsa_fp16_overflow 0
		.amdhsa_exception_fp_ieee_invalid_op 0
		.amdhsa_exception_fp_denorm_src 0
		.amdhsa_exception_fp_ieee_div_zero 0
		.amdhsa_exception_fp_ieee_overflow 0
		.amdhsa_exception_fp_ieee_underflow 0
		.amdhsa_exception_fp_ieee_inexact 0
		.amdhsa_exception_int_div_zero 0
	.end_amdhsa_kernel
	.section	.text._ZN7rocprim17ROCPRIM_400000_NS6detail17trampoline_kernelINS0_14default_configENS1_32segmented_reduce_config_selectorIfEEZNS1_21segmented_reduce_implIS3_PKfPfPKlfN6hipcub16HIPCUB_304000_NS6detail27convert_result_type_wrapperIS8_S9_N2at6native12_GLOBAL__N_110CustomProdEEEEE10hipError_tPvRmT0_T1_jT2_SQ_T4_T3_P12ihipStream_tbEUlT_E_NS1_11comp_targetILNS1_3genE9ELNS1_11target_archE1100ELNS1_3gpuE3ELNS1_3repE0EEENS1_30default_config_static_selectorELNS0_4arch9wavefront6targetE1EEEvSP_,"axG",@progbits,_ZN7rocprim17ROCPRIM_400000_NS6detail17trampoline_kernelINS0_14default_configENS1_32segmented_reduce_config_selectorIfEEZNS1_21segmented_reduce_implIS3_PKfPfPKlfN6hipcub16HIPCUB_304000_NS6detail27convert_result_type_wrapperIS8_S9_N2at6native12_GLOBAL__N_110CustomProdEEEEE10hipError_tPvRmT0_T1_jT2_SQ_T4_T3_P12ihipStream_tbEUlT_E_NS1_11comp_targetILNS1_3genE9ELNS1_11target_archE1100ELNS1_3gpuE3ELNS1_3repE0EEENS1_30default_config_static_selectorELNS0_4arch9wavefront6targetE1EEEvSP_,comdat
.Lfunc_end210:
	.size	_ZN7rocprim17ROCPRIM_400000_NS6detail17trampoline_kernelINS0_14default_configENS1_32segmented_reduce_config_selectorIfEEZNS1_21segmented_reduce_implIS3_PKfPfPKlfN6hipcub16HIPCUB_304000_NS6detail27convert_result_type_wrapperIS8_S9_N2at6native12_GLOBAL__N_110CustomProdEEEEE10hipError_tPvRmT0_T1_jT2_SQ_T4_T3_P12ihipStream_tbEUlT_E_NS1_11comp_targetILNS1_3genE9ELNS1_11target_archE1100ELNS1_3gpuE3ELNS1_3repE0EEENS1_30default_config_static_selectorELNS0_4arch9wavefront6targetE1EEEvSP_, .Lfunc_end210-_ZN7rocprim17ROCPRIM_400000_NS6detail17trampoline_kernelINS0_14default_configENS1_32segmented_reduce_config_selectorIfEEZNS1_21segmented_reduce_implIS3_PKfPfPKlfN6hipcub16HIPCUB_304000_NS6detail27convert_result_type_wrapperIS8_S9_N2at6native12_GLOBAL__N_110CustomProdEEEEE10hipError_tPvRmT0_T1_jT2_SQ_T4_T3_P12ihipStream_tbEUlT_E_NS1_11comp_targetILNS1_3genE9ELNS1_11target_archE1100ELNS1_3gpuE3ELNS1_3repE0EEENS1_30default_config_static_selectorELNS0_4arch9wavefront6targetE1EEEvSP_
                                        ; -- End function
	.set _ZN7rocprim17ROCPRIM_400000_NS6detail17trampoline_kernelINS0_14default_configENS1_32segmented_reduce_config_selectorIfEEZNS1_21segmented_reduce_implIS3_PKfPfPKlfN6hipcub16HIPCUB_304000_NS6detail27convert_result_type_wrapperIS8_S9_N2at6native12_GLOBAL__N_110CustomProdEEEEE10hipError_tPvRmT0_T1_jT2_SQ_T4_T3_P12ihipStream_tbEUlT_E_NS1_11comp_targetILNS1_3genE9ELNS1_11target_archE1100ELNS1_3gpuE3ELNS1_3repE0EEENS1_30default_config_static_selectorELNS0_4arch9wavefront6targetE1EEEvSP_.num_vgpr, 0
	.set _ZN7rocprim17ROCPRIM_400000_NS6detail17trampoline_kernelINS0_14default_configENS1_32segmented_reduce_config_selectorIfEEZNS1_21segmented_reduce_implIS3_PKfPfPKlfN6hipcub16HIPCUB_304000_NS6detail27convert_result_type_wrapperIS8_S9_N2at6native12_GLOBAL__N_110CustomProdEEEEE10hipError_tPvRmT0_T1_jT2_SQ_T4_T3_P12ihipStream_tbEUlT_E_NS1_11comp_targetILNS1_3genE9ELNS1_11target_archE1100ELNS1_3gpuE3ELNS1_3repE0EEENS1_30default_config_static_selectorELNS0_4arch9wavefront6targetE1EEEvSP_.num_agpr, 0
	.set _ZN7rocprim17ROCPRIM_400000_NS6detail17trampoline_kernelINS0_14default_configENS1_32segmented_reduce_config_selectorIfEEZNS1_21segmented_reduce_implIS3_PKfPfPKlfN6hipcub16HIPCUB_304000_NS6detail27convert_result_type_wrapperIS8_S9_N2at6native12_GLOBAL__N_110CustomProdEEEEE10hipError_tPvRmT0_T1_jT2_SQ_T4_T3_P12ihipStream_tbEUlT_E_NS1_11comp_targetILNS1_3genE9ELNS1_11target_archE1100ELNS1_3gpuE3ELNS1_3repE0EEENS1_30default_config_static_selectorELNS0_4arch9wavefront6targetE1EEEvSP_.numbered_sgpr, 0
	.set _ZN7rocprim17ROCPRIM_400000_NS6detail17trampoline_kernelINS0_14default_configENS1_32segmented_reduce_config_selectorIfEEZNS1_21segmented_reduce_implIS3_PKfPfPKlfN6hipcub16HIPCUB_304000_NS6detail27convert_result_type_wrapperIS8_S9_N2at6native12_GLOBAL__N_110CustomProdEEEEE10hipError_tPvRmT0_T1_jT2_SQ_T4_T3_P12ihipStream_tbEUlT_E_NS1_11comp_targetILNS1_3genE9ELNS1_11target_archE1100ELNS1_3gpuE3ELNS1_3repE0EEENS1_30default_config_static_selectorELNS0_4arch9wavefront6targetE1EEEvSP_.num_named_barrier, 0
	.set _ZN7rocprim17ROCPRIM_400000_NS6detail17trampoline_kernelINS0_14default_configENS1_32segmented_reduce_config_selectorIfEEZNS1_21segmented_reduce_implIS3_PKfPfPKlfN6hipcub16HIPCUB_304000_NS6detail27convert_result_type_wrapperIS8_S9_N2at6native12_GLOBAL__N_110CustomProdEEEEE10hipError_tPvRmT0_T1_jT2_SQ_T4_T3_P12ihipStream_tbEUlT_E_NS1_11comp_targetILNS1_3genE9ELNS1_11target_archE1100ELNS1_3gpuE3ELNS1_3repE0EEENS1_30default_config_static_selectorELNS0_4arch9wavefront6targetE1EEEvSP_.private_seg_size, 0
	.set _ZN7rocprim17ROCPRIM_400000_NS6detail17trampoline_kernelINS0_14default_configENS1_32segmented_reduce_config_selectorIfEEZNS1_21segmented_reduce_implIS3_PKfPfPKlfN6hipcub16HIPCUB_304000_NS6detail27convert_result_type_wrapperIS8_S9_N2at6native12_GLOBAL__N_110CustomProdEEEEE10hipError_tPvRmT0_T1_jT2_SQ_T4_T3_P12ihipStream_tbEUlT_E_NS1_11comp_targetILNS1_3genE9ELNS1_11target_archE1100ELNS1_3gpuE3ELNS1_3repE0EEENS1_30default_config_static_selectorELNS0_4arch9wavefront6targetE1EEEvSP_.uses_vcc, 0
	.set _ZN7rocprim17ROCPRIM_400000_NS6detail17trampoline_kernelINS0_14default_configENS1_32segmented_reduce_config_selectorIfEEZNS1_21segmented_reduce_implIS3_PKfPfPKlfN6hipcub16HIPCUB_304000_NS6detail27convert_result_type_wrapperIS8_S9_N2at6native12_GLOBAL__N_110CustomProdEEEEE10hipError_tPvRmT0_T1_jT2_SQ_T4_T3_P12ihipStream_tbEUlT_E_NS1_11comp_targetILNS1_3genE9ELNS1_11target_archE1100ELNS1_3gpuE3ELNS1_3repE0EEENS1_30default_config_static_selectorELNS0_4arch9wavefront6targetE1EEEvSP_.uses_flat_scratch, 0
	.set _ZN7rocprim17ROCPRIM_400000_NS6detail17trampoline_kernelINS0_14default_configENS1_32segmented_reduce_config_selectorIfEEZNS1_21segmented_reduce_implIS3_PKfPfPKlfN6hipcub16HIPCUB_304000_NS6detail27convert_result_type_wrapperIS8_S9_N2at6native12_GLOBAL__N_110CustomProdEEEEE10hipError_tPvRmT0_T1_jT2_SQ_T4_T3_P12ihipStream_tbEUlT_E_NS1_11comp_targetILNS1_3genE9ELNS1_11target_archE1100ELNS1_3gpuE3ELNS1_3repE0EEENS1_30default_config_static_selectorELNS0_4arch9wavefront6targetE1EEEvSP_.has_dyn_sized_stack, 0
	.set _ZN7rocprim17ROCPRIM_400000_NS6detail17trampoline_kernelINS0_14default_configENS1_32segmented_reduce_config_selectorIfEEZNS1_21segmented_reduce_implIS3_PKfPfPKlfN6hipcub16HIPCUB_304000_NS6detail27convert_result_type_wrapperIS8_S9_N2at6native12_GLOBAL__N_110CustomProdEEEEE10hipError_tPvRmT0_T1_jT2_SQ_T4_T3_P12ihipStream_tbEUlT_E_NS1_11comp_targetILNS1_3genE9ELNS1_11target_archE1100ELNS1_3gpuE3ELNS1_3repE0EEENS1_30default_config_static_selectorELNS0_4arch9wavefront6targetE1EEEvSP_.has_recursion, 0
	.set _ZN7rocprim17ROCPRIM_400000_NS6detail17trampoline_kernelINS0_14default_configENS1_32segmented_reduce_config_selectorIfEEZNS1_21segmented_reduce_implIS3_PKfPfPKlfN6hipcub16HIPCUB_304000_NS6detail27convert_result_type_wrapperIS8_S9_N2at6native12_GLOBAL__N_110CustomProdEEEEE10hipError_tPvRmT0_T1_jT2_SQ_T4_T3_P12ihipStream_tbEUlT_E_NS1_11comp_targetILNS1_3genE9ELNS1_11target_archE1100ELNS1_3gpuE3ELNS1_3repE0EEENS1_30default_config_static_selectorELNS0_4arch9wavefront6targetE1EEEvSP_.has_indirect_call, 0
	.section	.AMDGPU.csdata,"",@progbits
; Kernel info:
; codeLenInByte = 0
; TotalNumSgprs: 4
; NumVgprs: 0
; ScratchSize: 0
; MemoryBound: 0
; FloatMode: 240
; IeeeMode: 1
; LDSByteSize: 0 bytes/workgroup (compile time only)
; SGPRBlocks: 0
; VGPRBlocks: 0
; NumSGPRsForWavesPerEU: 4
; NumVGPRsForWavesPerEU: 1
; Occupancy: 10
; WaveLimiterHint : 0
; COMPUTE_PGM_RSRC2:SCRATCH_EN: 0
; COMPUTE_PGM_RSRC2:USER_SGPR: 6
; COMPUTE_PGM_RSRC2:TRAP_HANDLER: 0
; COMPUTE_PGM_RSRC2:TGID_X_EN: 1
; COMPUTE_PGM_RSRC2:TGID_Y_EN: 0
; COMPUTE_PGM_RSRC2:TGID_Z_EN: 0
; COMPUTE_PGM_RSRC2:TIDIG_COMP_CNT: 0
	.section	.text._ZN7rocprim17ROCPRIM_400000_NS6detail17trampoline_kernelINS0_14default_configENS1_32segmented_reduce_config_selectorIfEEZNS1_21segmented_reduce_implIS3_PKfPfPKlfN6hipcub16HIPCUB_304000_NS6detail27convert_result_type_wrapperIS8_S9_N2at6native12_GLOBAL__N_110CustomProdEEEEE10hipError_tPvRmT0_T1_jT2_SQ_T4_T3_P12ihipStream_tbEUlT_E_NS1_11comp_targetILNS1_3genE8ELNS1_11target_archE1030ELNS1_3gpuE2ELNS1_3repE0EEENS1_30default_config_static_selectorELNS0_4arch9wavefront6targetE1EEEvSP_,"axG",@progbits,_ZN7rocprim17ROCPRIM_400000_NS6detail17trampoline_kernelINS0_14default_configENS1_32segmented_reduce_config_selectorIfEEZNS1_21segmented_reduce_implIS3_PKfPfPKlfN6hipcub16HIPCUB_304000_NS6detail27convert_result_type_wrapperIS8_S9_N2at6native12_GLOBAL__N_110CustomProdEEEEE10hipError_tPvRmT0_T1_jT2_SQ_T4_T3_P12ihipStream_tbEUlT_E_NS1_11comp_targetILNS1_3genE8ELNS1_11target_archE1030ELNS1_3gpuE2ELNS1_3repE0EEENS1_30default_config_static_selectorELNS0_4arch9wavefront6targetE1EEEvSP_,comdat
	.globl	_ZN7rocprim17ROCPRIM_400000_NS6detail17trampoline_kernelINS0_14default_configENS1_32segmented_reduce_config_selectorIfEEZNS1_21segmented_reduce_implIS3_PKfPfPKlfN6hipcub16HIPCUB_304000_NS6detail27convert_result_type_wrapperIS8_S9_N2at6native12_GLOBAL__N_110CustomProdEEEEE10hipError_tPvRmT0_T1_jT2_SQ_T4_T3_P12ihipStream_tbEUlT_E_NS1_11comp_targetILNS1_3genE8ELNS1_11target_archE1030ELNS1_3gpuE2ELNS1_3repE0EEENS1_30default_config_static_selectorELNS0_4arch9wavefront6targetE1EEEvSP_ ; -- Begin function _ZN7rocprim17ROCPRIM_400000_NS6detail17trampoline_kernelINS0_14default_configENS1_32segmented_reduce_config_selectorIfEEZNS1_21segmented_reduce_implIS3_PKfPfPKlfN6hipcub16HIPCUB_304000_NS6detail27convert_result_type_wrapperIS8_S9_N2at6native12_GLOBAL__N_110CustomProdEEEEE10hipError_tPvRmT0_T1_jT2_SQ_T4_T3_P12ihipStream_tbEUlT_E_NS1_11comp_targetILNS1_3genE8ELNS1_11target_archE1030ELNS1_3gpuE2ELNS1_3repE0EEENS1_30default_config_static_selectorELNS0_4arch9wavefront6targetE1EEEvSP_
	.p2align	8
	.type	_ZN7rocprim17ROCPRIM_400000_NS6detail17trampoline_kernelINS0_14default_configENS1_32segmented_reduce_config_selectorIfEEZNS1_21segmented_reduce_implIS3_PKfPfPKlfN6hipcub16HIPCUB_304000_NS6detail27convert_result_type_wrapperIS8_S9_N2at6native12_GLOBAL__N_110CustomProdEEEEE10hipError_tPvRmT0_T1_jT2_SQ_T4_T3_P12ihipStream_tbEUlT_E_NS1_11comp_targetILNS1_3genE8ELNS1_11target_archE1030ELNS1_3gpuE2ELNS1_3repE0EEENS1_30default_config_static_selectorELNS0_4arch9wavefront6targetE1EEEvSP_,@function
_ZN7rocprim17ROCPRIM_400000_NS6detail17trampoline_kernelINS0_14default_configENS1_32segmented_reduce_config_selectorIfEEZNS1_21segmented_reduce_implIS3_PKfPfPKlfN6hipcub16HIPCUB_304000_NS6detail27convert_result_type_wrapperIS8_S9_N2at6native12_GLOBAL__N_110CustomProdEEEEE10hipError_tPvRmT0_T1_jT2_SQ_T4_T3_P12ihipStream_tbEUlT_E_NS1_11comp_targetILNS1_3genE8ELNS1_11target_archE1030ELNS1_3gpuE2ELNS1_3repE0EEENS1_30default_config_static_selectorELNS0_4arch9wavefront6targetE1EEEvSP_: ; @_ZN7rocprim17ROCPRIM_400000_NS6detail17trampoline_kernelINS0_14default_configENS1_32segmented_reduce_config_selectorIfEEZNS1_21segmented_reduce_implIS3_PKfPfPKlfN6hipcub16HIPCUB_304000_NS6detail27convert_result_type_wrapperIS8_S9_N2at6native12_GLOBAL__N_110CustomProdEEEEE10hipError_tPvRmT0_T1_jT2_SQ_T4_T3_P12ihipStream_tbEUlT_E_NS1_11comp_targetILNS1_3genE8ELNS1_11target_archE1030ELNS1_3gpuE2ELNS1_3repE0EEENS1_30default_config_static_selectorELNS0_4arch9wavefront6targetE1EEEvSP_
; %bb.0:
	.section	.rodata,"a",@progbits
	.p2align	6, 0x0
	.amdhsa_kernel _ZN7rocprim17ROCPRIM_400000_NS6detail17trampoline_kernelINS0_14default_configENS1_32segmented_reduce_config_selectorIfEEZNS1_21segmented_reduce_implIS3_PKfPfPKlfN6hipcub16HIPCUB_304000_NS6detail27convert_result_type_wrapperIS8_S9_N2at6native12_GLOBAL__N_110CustomProdEEEEE10hipError_tPvRmT0_T1_jT2_SQ_T4_T3_P12ihipStream_tbEUlT_E_NS1_11comp_targetILNS1_3genE8ELNS1_11target_archE1030ELNS1_3gpuE2ELNS1_3repE0EEENS1_30default_config_static_selectorELNS0_4arch9wavefront6targetE1EEEvSP_
		.amdhsa_group_segment_fixed_size 0
		.amdhsa_private_segment_fixed_size 0
		.amdhsa_kernarg_size 48
		.amdhsa_user_sgpr_count 6
		.amdhsa_user_sgpr_private_segment_buffer 1
		.amdhsa_user_sgpr_dispatch_ptr 0
		.amdhsa_user_sgpr_queue_ptr 0
		.amdhsa_user_sgpr_kernarg_segment_ptr 1
		.amdhsa_user_sgpr_dispatch_id 0
		.amdhsa_user_sgpr_flat_scratch_init 0
		.amdhsa_user_sgpr_private_segment_size 0
		.amdhsa_uses_dynamic_stack 0
		.amdhsa_system_sgpr_private_segment_wavefront_offset 0
		.amdhsa_system_sgpr_workgroup_id_x 1
		.amdhsa_system_sgpr_workgroup_id_y 0
		.amdhsa_system_sgpr_workgroup_id_z 0
		.amdhsa_system_sgpr_workgroup_info 0
		.amdhsa_system_vgpr_workitem_id 0
		.amdhsa_next_free_vgpr 1
		.amdhsa_next_free_sgpr 0
		.amdhsa_reserve_vcc 0
		.amdhsa_reserve_flat_scratch 0
		.amdhsa_float_round_mode_32 0
		.amdhsa_float_round_mode_16_64 0
		.amdhsa_float_denorm_mode_32 3
		.amdhsa_float_denorm_mode_16_64 3
		.amdhsa_dx10_clamp 1
		.amdhsa_ieee_mode 1
		.amdhsa_fp16_overflow 0
		.amdhsa_exception_fp_ieee_invalid_op 0
		.amdhsa_exception_fp_denorm_src 0
		.amdhsa_exception_fp_ieee_div_zero 0
		.amdhsa_exception_fp_ieee_overflow 0
		.amdhsa_exception_fp_ieee_underflow 0
		.amdhsa_exception_fp_ieee_inexact 0
		.amdhsa_exception_int_div_zero 0
	.end_amdhsa_kernel
	.section	.text._ZN7rocprim17ROCPRIM_400000_NS6detail17trampoline_kernelINS0_14default_configENS1_32segmented_reduce_config_selectorIfEEZNS1_21segmented_reduce_implIS3_PKfPfPKlfN6hipcub16HIPCUB_304000_NS6detail27convert_result_type_wrapperIS8_S9_N2at6native12_GLOBAL__N_110CustomProdEEEEE10hipError_tPvRmT0_T1_jT2_SQ_T4_T3_P12ihipStream_tbEUlT_E_NS1_11comp_targetILNS1_3genE8ELNS1_11target_archE1030ELNS1_3gpuE2ELNS1_3repE0EEENS1_30default_config_static_selectorELNS0_4arch9wavefront6targetE1EEEvSP_,"axG",@progbits,_ZN7rocprim17ROCPRIM_400000_NS6detail17trampoline_kernelINS0_14default_configENS1_32segmented_reduce_config_selectorIfEEZNS1_21segmented_reduce_implIS3_PKfPfPKlfN6hipcub16HIPCUB_304000_NS6detail27convert_result_type_wrapperIS8_S9_N2at6native12_GLOBAL__N_110CustomProdEEEEE10hipError_tPvRmT0_T1_jT2_SQ_T4_T3_P12ihipStream_tbEUlT_E_NS1_11comp_targetILNS1_3genE8ELNS1_11target_archE1030ELNS1_3gpuE2ELNS1_3repE0EEENS1_30default_config_static_selectorELNS0_4arch9wavefront6targetE1EEEvSP_,comdat
.Lfunc_end211:
	.size	_ZN7rocprim17ROCPRIM_400000_NS6detail17trampoline_kernelINS0_14default_configENS1_32segmented_reduce_config_selectorIfEEZNS1_21segmented_reduce_implIS3_PKfPfPKlfN6hipcub16HIPCUB_304000_NS6detail27convert_result_type_wrapperIS8_S9_N2at6native12_GLOBAL__N_110CustomProdEEEEE10hipError_tPvRmT0_T1_jT2_SQ_T4_T3_P12ihipStream_tbEUlT_E_NS1_11comp_targetILNS1_3genE8ELNS1_11target_archE1030ELNS1_3gpuE2ELNS1_3repE0EEENS1_30default_config_static_selectorELNS0_4arch9wavefront6targetE1EEEvSP_, .Lfunc_end211-_ZN7rocprim17ROCPRIM_400000_NS6detail17trampoline_kernelINS0_14default_configENS1_32segmented_reduce_config_selectorIfEEZNS1_21segmented_reduce_implIS3_PKfPfPKlfN6hipcub16HIPCUB_304000_NS6detail27convert_result_type_wrapperIS8_S9_N2at6native12_GLOBAL__N_110CustomProdEEEEE10hipError_tPvRmT0_T1_jT2_SQ_T4_T3_P12ihipStream_tbEUlT_E_NS1_11comp_targetILNS1_3genE8ELNS1_11target_archE1030ELNS1_3gpuE2ELNS1_3repE0EEENS1_30default_config_static_selectorELNS0_4arch9wavefront6targetE1EEEvSP_
                                        ; -- End function
	.set _ZN7rocprim17ROCPRIM_400000_NS6detail17trampoline_kernelINS0_14default_configENS1_32segmented_reduce_config_selectorIfEEZNS1_21segmented_reduce_implIS3_PKfPfPKlfN6hipcub16HIPCUB_304000_NS6detail27convert_result_type_wrapperIS8_S9_N2at6native12_GLOBAL__N_110CustomProdEEEEE10hipError_tPvRmT0_T1_jT2_SQ_T4_T3_P12ihipStream_tbEUlT_E_NS1_11comp_targetILNS1_3genE8ELNS1_11target_archE1030ELNS1_3gpuE2ELNS1_3repE0EEENS1_30default_config_static_selectorELNS0_4arch9wavefront6targetE1EEEvSP_.num_vgpr, 0
	.set _ZN7rocprim17ROCPRIM_400000_NS6detail17trampoline_kernelINS0_14default_configENS1_32segmented_reduce_config_selectorIfEEZNS1_21segmented_reduce_implIS3_PKfPfPKlfN6hipcub16HIPCUB_304000_NS6detail27convert_result_type_wrapperIS8_S9_N2at6native12_GLOBAL__N_110CustomProdEEEEE10hipError_tPvRmT0_T1_jT2_SQ_T4_T3_P12ihipStream_tbEUlT_E_NS1_11comp_targetILNS1_3genE8ELNS1_11target_archE1030ELNS1_3gpuE2ELNS1_3repE0EEENS1_30default_config_static_selectorELNS0_4arch9wavefront6targetE1EEEvSP_.num_agpr, 0
	.set _ZN7rocprim17ROCPRIM_400000_NS6detail17trampoline_kernelINS0_14default_configENS1_32segmented_reduce_config_selectorIfEEZNS1_21segmented_reduce_implIS3_PKfPfPKlfN6hipcub16HIPCUB_304000_NS6detail27convert_result_type_wrapperIS8_S9_N2at6native12_GLOBAL__N_110CustomProdEEEEE10hipError_tPvRmT0_T1_jT2_SQ_T4_T3_P12ihipStream_tbEUlT_E_NS1_11comp_targetILNS1_3genE8ELNS1_11target_archE1030ELNS1_3gpuE2ELNS1_3repE0EEENS1_30default_config_static_selectorELNS0_4arch9wavefront6targetE1EEEvSP_.numbered_sgpr, 0
	.set _ZN7rocprim17ROCPRIM_400000_NS6detail17trampoline_kernelINS0_14default_configENS1_32segmented_reduce_config_selectorIfEEZNS1_21segmented_reduce_implIS3_PKfPfPKlfN6hipcub16HIPCUB_304000_NS6detail27convert_result_type_wrapperIS8_S9_N2at6native12_GLOBAL__N_110CustomProdEEEEE10hipError_tPvRmT0_T1_jT2_SQ_T4_T3_P12ihipStream_tbEUlT_E_NS1_11comp_targetILNS1_3genE8ELNS1_11target_archE1030ELNS1_3gpuE2ELNS1_3repE0EEENS1_30default_config_static_selectorELNS0_4arch9wavefront6targetE1EEEvSP_.num_named_barrier, 0
	.set _ZN7rocprim17ROCPRIM_400000_NS6detail17trampoline_kernelINS0_14default_configENS1_32segmented_reduce_config_selectorIfEEZNS1_21segmented_reduce_implIS3_PKfPfPKlfN6hipcub16HIPCUB_304000_NS6detail27convert_result_type_wrapperIS8_S9_N2at6native12_GLOBAL__N_110CustomProdEEEEE10hipError_tPvRmT0_T1_jT2_SQ_T4_T3_P12ihipStream_tbEUlT_E_NS1_11comp_targetILNS1_3genE8ELNS1_11target_archE1030ELNS1_3gpuE2ELNS1_3repE0EEENS1_30default_config_static_selectorELNS0_4arch9wavefront6targetE1EEEvSP_.private_seg_size, 0
	.set _ZN7rocprim17ROCPRIM_400000_NS6detail17trampoline_kernelINS0_14default_configENS1_32segmented_reduce_config_selectorIfEEZNS1_21segmented_reduce_implIS3_PKfPfPKlfN6hipcub16HIPCUB_304000_NS6detail27convert_result_type_wrapperIS8_S9_N2at6native12_GLOBAL__N_110CustomProdEEEEE10hipError_tPvRmT0_T1_jT2_SQ_T4_T3_P12ihipStream_tbEUlT_E_NS1_11comp_targetILNS1_3genE8ELNS1_11target_archE1030ELNS1_3gpuE2ELNS1_3repE0EEENS1_30default_config_static_selectorELNS0_4arch9wavefront6targetE1EEEvSP_.uses_vcc, 0
	.set _ZN7rocprim17ROCPRIM_400000_NS6detail17trampoline_kernelINS0_14default_configENS1_32segmented_reduce_config_selectorIfEEZNS1_21segmented_reduce_implIS3_PKfPfPKlfN6hipcub16HIPCUB_304000_NS6detail27convert_result_type_wrapperIS8_S9_N2at6native12_GLOBAL__N_110CustomProdEEEEE10hipError_tPvRmT0_T1_jT2_SQ_T4_T3_P12ihipStream_tbEUlT_E_NS1_11comp_targetILNS1_3genE8ELNS1_11target_archE1030ELNS1_3gpuE2ELNS1_3repE0EEENS1_30default_config_static_selectorELNS0_4arch9wavefront6targetE1EEEvSP_.uses_flat_scratch, 0
	.set _ZN7rocprim17ROCPRIM_400000_NS6detail17trampoline_kernelINS0_14default_configENS1_32segmented_reduce_config_selectorIfEEZNS1_21segmented_reduce_implIS3_PKfPfPKlfN6hipcub16HIPCUB_304000_NS6detail27convert_result_type_wrapperIS8_S9_N2at6native12_GLOBAL__N_110CustomProdEEEEE10hipError_tPvRmT0_T1_jT2_SQ_T4_T3_P12ihipStream_tbEUlT_E_NS1_11comp_targetILNS1_3genE8ELNS1_11target_archE1030ELNS1_3gpuE2ELNS1_3repE0EEENS1_30default_config_static_selectorELNS0_4arch9wavefront6targetE1EEEvSP_.has_dyn_sized_stack, 0
	.set _ZN7rocprim17ROCPRIM_400000_NS6detail17trampoline_kernelINS0_14default_configENS1_32segmented_reduce_config_selectorIfEEZNS1_21segmented_reduce_implIS3_PKfPfPKlfN6hipcub16HIPCUB_304000_NS6detail27convert_result_type_wrapperIS8_S9_N2at6native12_GLOBAL__N_110CustomProdEEEEE10hipError_tPvRmT0_T1_jT2_SQ_T4_T3_P12ihipStream_tbEUlT_E_NS1_11comp_targetILNS1_3genE8ELNS1_11target_archE1030ELNS1_3gpuE2ELNS1_3repE0EEENS1_30default_config_static_selectorELNS0_4arch9wavefront6targetE1EEEvSP_.has_recursion, 0
	.set _ZN7rocprim17ROCPRIM_400000_NS6detail17trampoline_kernelINS0_14default_configENS1_32segmented_reduce_config_selectorIfEEZNS1_21segmented_reduce_implIS3_PKfPfPKlfN6hipcub16HIPCUB_304000_NS6detail27convert_result_type_wrapperIS8_S9_N2at6native12_GLOBAL__N_110CustomProdEEEEE10hipError_tPvRmT0_T1_jT2_SQ_T4_T3_P12ihipStream_tbEUlT_E_NS1_11comp_targetILNS1_3genE8ELNS1_11target_archE1030ELNS1_3gpuE2ELNS1_3repE0EEENS1_30default_config_static_selectorELNS0_4arch9wavefront6targetE1EEEvSP_.has_indirect_call, 0
	.section	.AMDGPU.csdata,"",@progbits
; Kernel info:
; codeLenInByte = 0
; TotalNumSgprs: 4
; NumVgprs: 0
; ScratchSize: 0
; MemoryBound: 0
; FloatMode: 240
; IeeeMode: 1
; LDSByteSize: 0 bytes/workgroup (compile time only)
; SGPRBlocks: 0
; VGPRBlocks: 0
; NumSGPRsForWavesPerEU: 4
; NumVGPRsForWavesPerEU: 1
; Occupancy: 10
; WaveLimiterHint : 0
; COMPUTE_PGM_RSRC2:SCRATCH_EN: 0
; COMPUTE_PGM_RSRC2:USER_SGPR: 6
; COMPUTE_PGM_RSRC2:TRAP_HANDLER: 0
; COMPUTE_PGM_RSRC2:TGID_X_EN: 1
; COMPUTE_PGM_RSRC2:TGID_Y_EN: 0
; COMPUTE_PGM_RSRC2:TGID_Z_EN: 0
; COMPUTE_PGM_RSRC2:TIDIG_COMP_CNT: 0
	.section	.text._ZN2at6native12_GLOBAL__N_129segment_reduce_forward_kernelIN3c104HalfElEEvNS0_13ReductionTypeEPT_PKS6_PKT0_SC_llbS6_lllllll,"axG",@progbits,_ZN2at6native12_GLOBAL__N_129segment_reduce_forward_kernelIN3c104HalfElEEvNS0_13ReductionTypeEPT_PKS6_PKT0_SC_llbS6_lllllll,comdat
	.globl	_ZN2at6native12_GLOBAL__N_129segment_reduce_forward_kernelIN3c104HalfElEEvNS0_13ReductionTypeEPT_PKS6_PKT0_SC_llbS6_lllllll ; -- Begin function _ZN2at6native12_GLOBAL__N_129segment_reduce_forward_kernelIN3c104HalfElEEvNS0_13ReductionTypeEPT_PKS6_PKT0_SC_llbS6_lllllll
	.p2align	8
	.type	_ZN2at6native12_GLOBAL__N_129segment_reduce_forward_kernelIN3c104HalfElEEvNS0_13ReductionTypeEPT_PKS6_PKT0_SC_llbS6_lllllll,@function
_ZN2at6native12_GLOBAL__N_129segment_reduce_forward_kernelIN3c104HalfElEEvNS0_13ReductionTypeEPT_PKS6_PKT0_SC_llbS6_lllllll: ; @_ZN2at6native12_GLOBAL__N_129segment_reduce_forward_kernelIN3c104HalfElEEvNS0_13ReductionTypeEPT_PKS6_PKT0_SC_llbS6_lllllll
; %bb.0:
	s_load_dword s0, s[4:5], 0x84
	s_load_dwordx4 s[36:39], s[4:5], 0x28
	s_load_dwordx8 s[24:31], s[4:5], 0x40
	v_mov_b32_e32 v2, 0
	v_mov_b32_e32 v1, v2
	s_waitcnt lgkmcnt(0)
	s_and_b32 s0, s0, 0xffff
	v_mov_b32_e32 v3, s6
	v_mad_u64_u32 v[4:5], s[0:1], s0, v3, v[0:1]
	s_mul_i32 s0, s24, s37
	s_mul_hi_u32 s1, s24, s36
	s_add_i32 s0, s1, s0
	s_mul_i32 s1, s25, s36
	s_mul_i32 s2, s24, s36
	s_add_i32 s0, s0, s1
	s_mul_i32 s1, s2, s27
	s_mul_hi_u32 s3, s2, s26
	s_add_i32 s1, s3, s1
	s_mul_i32 s0, s0, s26
	s_add_i32 s1, s1, s0
	s_mul_i32 s0, s2, s26
	v_cmp_gt_i64_e32 vcc, s[0:1], v[4:5]
	s_and_saveexec_b64 s[0:1], vcc
	s_cbranch_execz .LBB212_37
; %bb.1:
	v_or_b32_e32 v3, s27, v5
	v_cmp_ne_u64_e32 vcc, 0, v[2:3]
                                        ; implicit-def: $vgpr10_vgpr11
	s_and_saveexec_b64 s[0:1], vcc
	s_xor_b64 s[2:3], exec, s[0:1]
	s_cbranch_execz .LBB212_3
; %bb.2:
	s_ashr_i32 s6, s27, 31
	s_add_u32 s0, s26, s6
	s_mov_b32 s7, s6
	s_addc_u32 s1, s27, s6
	s_xor_b64 s[8:9], s[0:1], s[6:7]
	v_cvt_f32_u32_e32 v0, s8
	v_cvt_f32_u32_e32 v1, s9
	s_sub_u32 s7, 0, s8
	s_subb_u32 s10, 0, s9
	v_ashrrev_i32_e32 v6, 31, v5
	v_madmk_f32 v0, v1, 0x4f800000, v0
	v_rcp_f32_e32 v0, v0
	v_mul_f32_e32 v0, 0x5f7ffffc, v0
	v_mul_f32_e32 v1, 0x2f800000, v0
	v_trunc_f32_e32 v1, v1
	v_madmk_f32 v0, v1, 0xcf800000, v0
	v_cvt_u32_f32_e32 v1, v1
	v_cvt_u32_f32_e32 v0, v0
	v_readfirstlane_b32 s11, v1
	v_readfirstlane_b32 s0, v0
	s_mul_i32 s1, s7, s11
	s_mul_hi_u32 s13, s7, s0
	s_mul_i32 s12, s10, s0
	s_add_i32 s1, s13, s1
	s_add_i32 s1, s1, s12
	s_mul_i32 s14, s7, s0
	s_mul_i32 s13, s0, s1
	s_mul_hi_u32 s15, s0, s14
	s_mul_hi_u32 s12, s0, s1
	s_add_u32 s13, s15, s13
	s_addc_u32 s12, 0, s12
	s_mul_hi_u32 s16, s11, s14
	s_mul_i32 s14, s11, s14
	s_add_u32 s13, s13, s14
	s_mul_hi_u32 s15, s11, s1
	s_addc_u32 s12, s12, s16
	s_addc_u32 s13, s15, 0
	s_mul_i32 s1, s11, s1
	s_add_u32 s1, s12, s1
	s_addc_u32 s12, 0, s13
	s_add_u32 s13, s0, s1
	s_cselect_b64 s[0:1], -1, 0
	s_cmp_lg_u64 s[0:1], 0
	s_addc_u32 s11, s11, s12
	s_mul_i32 s0, s7, s11
	s_mul_hi_u32 s1, s7, s13
	s_add_i32 s0, s1, s0
	s_mul_i32 s10, s10, s13
	s_add_i32 s0, s0, s10
	s_mul_i32 s7, s7, s13
	s_mul_hi_u32 s10, s11, s7
	s_mul_i32 s12, s11, s7
	s_mul_i32 s15, s13, s0
	s_mul_hi_u32 s7, s13, s7
	s_mul_hi_u32 s14, s13, s0
	s_add_u32 s7, s7, s15
	s_addc_u32 s14, 0, s14
	s_add_u32 s7, s7, s12
	s_mul_hi_u32 s1, s11, s0
	s_addc_u32 s7, s14, s10
	s_addc_u32 s1, s1, 0
	s_mul_i32 s0, s11, s0
	s_add_u32 s0, s7, s0
	s_addc_u32 s7, 0, s1
	s_add_u32 s10, s13, s0
	s_cselect_b64 s[0:1], -1, 0
	s_cmp_lg_u64 s[0:1], 0
	v_add_co_u32_e32 v0, vcc, v4, v6
	s_addc_u32 s7, s11, s7
	v_xor_b32_e32 v7, v0, v6
	v_mad_u64_u32 v[0:1], s[0:1], v7, s7, 0
	v_mul_hi_u32 v3, v7, s10
	v_addc_co_u32_e32 v2, vcc, v5, v6, vcc
	v_xor_b32_e32 v8, v2, v6
	v_add_co_u32_e32 v9, vcc, v3, v0
	v_addc_co_u32_e32 v10, vcc, 0, v1, vcc
	v_mad_u64_u32 v[0:1], s[0:1], v8, s10, 0
	v_mad_u64_u32 v[2:3], s[0:1], v8, s7, 0
	v_add_co_u32_e32 v0, vcc, v9, v0
	v_addc_co_u32_e32 v0, vcc, v10, v1, vcc
	v_addc_co_u32_e32 v1, vcc, 0, v3, vcc
	v_add_co_u32_e32 v2, vcc, v0, v2
	v_addc_co_u32_e32 v3, vcc, 0, v1, vcc
	v_mul_lo_u32 v9, s9, v2
	v_mul_lo_u32 v10, s8, v3
	v_mad_u64_u32 v[0:1], s[0:1], s8, v2, 0
	v_add3_u32 v1, v1, v10, v9
	v_sub_u32_e32 v9, v8, v1
	v_mov_b32_e32 v10, s9
	v_sub_co_u32_e32 v0, vcc, v7, v0
	v_subb_co_u32_e64 v7, s[0:1], v9, v10, vcc
	v_subrev_co_u32_e64 v9, s[0:1], s8, v0
	v_subbrev_co_u32_e64 v7, s[0:1], 0, v7, s[0:1]
	v_cmp_le_u32_e64 s[0:1], s9, v7
	v_cndmask_b32_e64 v10, 0, -1, s[0:1]
	v_cmp_le_u32_e64 s[0:1], s8, v9
	v_cndmask_b32_e64 v9, 0, -1, s[0:1]
	v_cmp_eq_u32_e64 s[0:1], s9, v7
	v_cndmask_b32_e64 v7, v10, v9, s[0:1]
	v_add_co_u32_e64 v9, s[0:1], 2, v2
	v_subb_co_u32_e32 v1, vcc, v8, v1, vcc
	v_addc_co_u32_e64 v10, s[0:1], 0, v3, s[0:1]
	v_cmp_le_u32_e32 vcc, s9, v1
	v_add_co_u32_e64 v11, s[0:1], 1, v2
	v_cndmask_b32_e64 v8, 0, -1, vcc
	v_cmp_le_u32_e32 vcc, s8, v0
	v_addc_co_u32_e64 v12, s[0:1], 0, v3, s[0:1]
	v_cndmask_b32_e64 v0, 0, -1, vcc
	v_cmp_eq_u32_e32 vcc, s9, v1
	v_cmp_ne_u32_e64 s[0:1], 0, v7
	v_cndmask_b32_e32 v0, v8, v0, vcc
	v_cmp_ne_u32_e32 vcc, 0, v0
	v_cndmask_b32_e64 v1, v11, v9, s[0:1]
	v_cndmask_b32_e64 v7, v12, v10, s[0:1]
	v_cndmask_b32_e32 v1, v2, v1, vcc
	v_xor_b32_e32 v2, s6, v6
	v_cndmask_b32_e32 v0, v3, v7, vcc
	v_xor_b32_e32 v1, v1, v2
	v_xor_b32_e32 v0, v0, v2
	v_sub_co_u32_e32 v10, vcc, v1, v2
	v_subb_co_u32_e32 v11, vcc, v0, v2, vcc
.LBB212_3:
	s_or_saveexec_b64 s[0:1], s[2:3]
	s_load_dwordx8 s[8:15], s[4:5], 0x8
	s_load_dwordx8 s[16:23], s[4:5], 0x60
	s_xor_b64 exec, exec, s[0:1]
	s_cbranch_execz .LBB212_5
; %bb.4:
	v_cvt_f32_u32_e32 v0, s26
	s_sub_i32 s2, 0, s26
	v_mov_b32_e32 v11, 0
	v_rcp_iflag_f32_e32 v0, v0
	v_mul_f32_e32 v0, 0x4f7ffffe, v0
	v_cvt_u32_f32_e32 v0, v0
	v_mul_lo_u32 v1, s2, v0
	v_mul_hi_u32 v1, v0, v1
	v_add_u32_e32 v0, v0, v1
	v_mul_hi_u32 v0, v4, v0
	v_mul_lo_u32 v1, v0, s26
	v_add_u32_e32 v2, 1, v0
	v_sub_u32_e32 v1, v4, v1
	v_subrev_u32_e32 v3, s26, v1
	v_cmp_le_u32_e32 vcc, s26, v1
	v_cndmask_b32_e32 v1, v1, v3, vcc
	v_cndmask_b32_e32 v0, v0, v2, vcc
	v_add_u32_e32 v2, 1, v0
	v_cmp_le_u32_e32 vcc, s26, v1
	v_cndmask_b32_e32 v10, v0, v2, vcc
.LBB212_5:
	s_or_b64 exec, exec, s[0:1]
	v_or_b32_e32 v1, s37, v11
	v_mov_b32_e32 v0, 0
	v_cmp_ne_u64_e32 vcc, 0, v[0:1]
                                        ; implicit-def: $vgpr6_vgpr7
	s_and_saveexec_b64 s[0:1], vcc
	s_xor_b64 s[2:3], exec, s[0:1]
	s_cbranch_execz .LBB212_7
; %bb.6:
	s_ashr_i32 s6, s37, 31
	s_add_u32 s0, s36, s6
	s_mov_b32 s7, s6
	s_addc_u32 s1, s37, s6
	s_waitcnt lgkmcnt(0)
	s_xor_b64 s[22:23], s[0:1], s[6:7]
	v_cvt_f32_u32_e32 v0, s22
	v_cvt_f32_u32_e32 v1, s23
	s_sub_u32 s7, 0, s22
	s_subb_u32 s24, 0, s23
	v_ashrrev_i32_e32 v6, 31, v11
	v_madmk_f32 v0, v1, 0x4f800000, v0
	v_rcp_f32_e32 v0, v0
	v_mul_f32_e32 v0, 0x5f7ffffc, v0
	v_mul_f32_e32 v1, 0x2f800000, v0
	v_trunc_f32_e32 v1, v1
	v_madmk_f32 v0, v1, 0xcf800000, v0
	v_cvt_u32_f32_e32 v1, v1
	v_cvt_u32_f32_e32 v0, v0
	v_readfirstlane_b32 s25, v1
	v_readfirstlane_b32 s0, v0
	s_mul_i32 s1, s7, s25
	s_mul_hi_u32 s34, s7, s0
	s_mul_i32 s33, s24, s0
	s_add_i32 s1, s34, s1
	s_add_i32 s1, s1, s33
	s_mul_i32 s35, s7, s0
	s_mul_i32 s34, s0, s1
	s_mul_hi_u32 s40, s0, s35
	s_mul_hi_u32 s33, s0, s1
	s_add_u32 s34, s40, s34
	s_addc_u32 s33, 0, s33
	s_mul_hi_u32 s41, s25, s35
	s_mul_i32 s35, s25, s35
	s_add_u32 s34, s34, s35
	s_mul_hi_u32 s40, s25, s1
	s_addc_u32 s33, s33, s41
	s_addc_u32 s34, s40, 0
	s_mul_i32 s1, s25, s1
	s_add_u32 s1, s33, s1
	s_addc_u32 s33, 0, s34
	s_add_u32 s34, s0, s1
	s_cselect_b64 s[0:1], -1, 0
	s_cmp_lg_u64 s[0:1], 0
	s_addc_u32 s25, s25, s33
	s_mul_i32 s0, s7, s25
	s_mul_hi_u32 s1, s7, s34
	s_add_i32 s0, s1, s0
	s_mul_i32 s24, s24, s34
	s_add_i32 s0, s0, s24
	s_mul_i32 s7, s7, s34
	s_mul_hi_u32 s24, s25, s7
	s_mul_i32 s33, s25, s7
	s_mul_i32 s40, s34, s0
	s_mul_hi_u32 s7, s34, s7
	s_mul_hi_u32 s35, s34, s0
	s_add_u32 s7, s7, s40
	s_addc_u32 s35, 0, s35
	s_add_u32 s7, s7, s33
	s_mul_hi_u32 s1, s25, s0
	s_addc_u32 s7, s35, s24
	s_addc_u32 s1, s1, 0
	s_mul_i32 s0, s25, s0
	s_add_u32 s0, s7, s0
	s_addc_u32 s7, 0, s1
	s_add_u32 s24, s34, s0
	s_cselect_b64 s[0:1], -1, 0
	s_cmp_lg_u64 s[0:1], 0
	v_add_co_u32_e32 v0, vcc, v10, v6
	s_addc_u32 s7, s25, s7
	v_xor_b32_e32 v7, v0, v6
	v_mad_u64_u32 v[0:1], s[0:1], v7, s7, 0
	v_mul_hi_u32 v3, v7, s24
	v_addc_co_u32_e32 v2, vcc, v11, v6, vcc
	v_xor_b32_e32 v8, v2, v6
	v_add_co_u32_e32 v9, vcc, v3, v0
	v_addc_co_u32_e32 v12, vcc, 0, v1, vcc
	v_mad_u64_u32 v[0:1], s[0:1], v8, s24, 0
	v_mad_u64_u32 v[2:3], s[0:1], v8, s7, 0
	v_add_co_u32_e32 v0, vcc, v9, v0
	v_addc_co_u32_e32 v0, vcc, v12, v1, vcc
	v_addc_co_u32_e32 v1, vcc, 0, v3, vcc
	v_add_co_u32_e32 v2, vcc, v0, v2
	v_addc_co_u32_e32 v3, vcc, 0, v1, vcc
	v_mul_lo_u32 v9, s23, v2
	v_mul_lo_u32 v12, s22, v3
	v_mad_u64_u32 v[0:1], s[0:1], s22, v2, 0
	v_add3_u32 v1, v1, v12, v9
	v_sub_u32_e32 v9, v8, v1
	v_mov_b32_e32 v12, s23
	v_sub_co_u32_e32 v0, vcc, v7, v0
	v_subb_co_u32_e64 v7, s[0:1], v9, v12, vcc
	v_subrev_co_u32_e64 v9, s[0:1], s22, v0
	v_subbrev_co_u32_e64 v7, s[0:1], 0, v7, s[0:1]
	v_cmp_le_u32_e64 s[0:1], s23, v7
	v_cndmask_b32_e64 v12, 0, -1, s[0:1]
	v_cmp_le_u32_e64 s[0:1], s22, v9
	v_cndmask_b32_e64 v9, 0, -1, s[0:1]
	v_cmp_eq_u32_e64 s[0:1], s23, v7
	v_cndmask_b32_e64 v7, v12, v9, s[0:1]
	v_add_co_u32_e64 v9, s[0:1], 2, v2
	v_subb_co_u32_e32 v1, vcc, v8, v1, vcc
	v_addc_co_u32_e64 v12, s[0:1], 0, v3, s[0:1]
	v_cmp_le_u32_e32 vcc, s23, v1
	v_add_co_u32_e64 v13, s[0:1], 1, v2
	v_cndmask_b32_e64 v8, 0, -1, vcc
	v_cmp_le_u32_e32 vcc, s22, v0
	v_addc_co_u32_e64 v14, s[0:1], 0, v3, s[0:1]
	v_cndmask_b32_e64 v0, 0, -1, vcc
	v_cmp_eq_u32_e32 vcc, s23, v1
	v_cmp_ne_u32_e64 s[0:1], 0, v7
	v_cndmask_b32_e32 v0, v8, v0, vcc
	v_cmp_ne_u32_e32 vcc, 0, v0
	v_cndmask_b32_e64 v1, v13, v9, s[0:1]
	v_cndmask_b32_e64 v7, v14, v12, s[0:1]
	v_cndmask_b32_e32 v1, v2, v1, vcc
	v_xor_b32_e32 v2, s6, v6
	v_cndmask_b32_e32 v0, v3, v7, vcc
	v_xor_b32_e32 v1, v1, v2
	v_xor_b32_e32 v0, v0, v2
	v_sub_co_u32_e32 v6, vcc, v1, v2
	v_subb_co_u32_e32 v7, vcc, v0, v2, vcc
.LBB212_7:
	s_andn2_saveexec_b64 s[0:1], s[2:3]
	s_cbranch_execz .LBB212_9
; %bb.8:
	v_cvt_f32_u32_e32 v0, s36
	s_sub_i32 s2, 0, s36
	v_mov_b32_e32 v7, 0
	v_rcp_iflag_f32_e32 v0, v0
	v_mul_f32_e32 v0, 0x4f7ffffe, v0
	v_cvt_u32_f32_e32 v0, v0
	v_mul_lo_u32 v1, s2, v0
	v_mul_hi_u32 v1, v0, v1
	v_add_u32_e32 v0, v0, v1
	v_mul_hi_u32 v0, v10, v0
	v_mul_lo_u32 v1, v0, s36
	v_add_u32_e32 v2, 1, v0
	v_sub_u32_e32 v1, v10, v1
	v_subrev_u32_e32 v3, s36, v1
	v_cmp_le_u32_e32 vcc, s36, v1
	v_cndmask_b32_e32 v1, v1, v3, vcc
	v_cndmask_b32_e32 v0, v0, v2, vcc
	v_add_u32_e32 v2, 1, v0
	v_cmp_le_u32_e32 vcc, s36, v1
	v_cndmask_b32_e32 v6, v0, v2, vcc
.LBB212_9:
	s_or_b64 exec, exec, s[0:1]
	s_waitcnt lgkmcnt(0)
	s_load_dword s22, s[4:5], 0x38
	v_mad_u64_u32 v[12:13], s[0:1], v6, s36, 0
	v_mul_lo_u32 v0, v7, s36
	v_mul_lo_u32 v1, v6, s37
	s_waitcnt lgkmcnt(0)
	s_lshr_b32 s0, s22, 16
	s_add_u32 s1, s36, 1
	s_addc_u32 s2, s37, 0
	s_mul_i32 s2, s20, s2
	s_mul_hi_u32 s3, s20, s1
	s_add_i32 s2, s3, s2
	s_mul_i32 s3, s21, s1
	s_add_i32 s2, s2, s3
	s_mul_i32 s1, s20, s1
	v_add3_u32 v13, v13, v1, v0
	v_mul_lo_u32 v2, s2, v6
	v_mul_lo_u32 v3, s1, v7
	v_mad_u64_u32 v[0:1], s[2:3], s1, v6, 0
	v_sub_co_u32_e32 v8, vcc, v10, v12
	v_add3_u32 v1, v1, v3, v2
	v_lshlrev_b64 v[0:1], 3, v[0:1]
	v_subb_co_u32_e32 v9, vcc, v11, v13, vcc
	v_mov_b32_e32 v2, s15
	v_add_co_u32_e32 v0, vcc, s14, v0
	v_lshlrev_b64 v[14:15], 3, v[8:9]
	v_addc_co_u32_e32 v1, vcc, v2, v1, vcc
	v_add_co_u32_e32 v0, vcc, v0, v14
	v_addc_co_u32_e32 v1, vcc, v1, v15, vcc
	global_load_dwordx4 v[0:3], v[0:1], off
	v_mul_lo_u32 v16, v11, s26
	v_mul_lo_u32 v17, v10, s27
	v_mad_u64_u32 v[10:11], s[2:3], v10, s26, 0
	s_load_dword s20, s[4:5], 0x0
	v_mov_b32_e32 v18, s0
	v_add3_u32 v11, v11, v17, v16
	s_waitcnt vmcnt(0)
	v_cmp_lt_i64_e32 vcc, v[0:1], v[2:3]
	s_and_saveexec_b64 s[2:3], vcc
	s_cbranch_execz .LBB212_28
; %bb.10:
	v_mul_lo_u32 v18, v7, s30
	v_mul_lo_u32 v19, v6, s31
	v_mad_u64_u32 v[16:17], s[4:5], v6, s30, 0
	s_waitcnt lgkmcnt(0)
	s_cmp_lg_u32 s20, 0
	s_cselect_b64 s[4:5], -1, 0
	v_add3_u32 v17, v17, v19, v18
	v_lshlrev_b64 v[16:17], 1, v[16:17]
	v_lshlrev_b64 v[18:19], 1, v[0:1]
	s_and_b32 s1, s20, -3
	v_add_co_u32_e32 v18, vcc, v16, v18
	v_addc_co_u32_e32 v19, vcc, v17, v19, vcc
	v_lshlrev_b64 v[16:17], 1, v[4:5]
	v_mul_lo_u32 v19, s28, v19
	v_mul_lo_u32 v20, s29, v18
	v_mad_u64_u32 v[16:17], s[6:7], s28, v18, v[16:17]
	s_cmp_lg_u32 s1, 1
	s_cselect_b64 s[6:7], -1, 0
	v_add3_u32 v19, v20, v17, v19
	v_lshlrev_b64 v[17:18], 1, v[10:11]
	s_lshl_b64 s[14:15], s[28:29], 1
	v_sub_co_u32_e32 v16, vcc, v16, v17
	v_subb_co_u32_e32 v17, vcc, v19, v18, vcc
	v_mov_b32_e32 v18, s11
	v_add_co_u32_e32 v16, vcc, s10, v16
	v_addc_co_u32_e32 v17, vcc, v18, v17, vcc
	s_mov_b64 s[10:11], 0
	v_mov_b32_e32 v19, s0
	s_branch .LBB212_12
.LBB212_11:                             ;   in Loop: Header=BB212_12 Depth=1
	v_add_co_u32_e32 v0, vcc, 1, v0
	v_addc_co_u32_e32 v1, vcc, 0, v1, vcc
	v_cmp_ge_i64_e32 vcc, v[0:1], v[2:3]
	v_mov_b32_e32 v19, s15
	v_add_co_u32_e64 v16, s[0:1], s14, v16
	v_addc_co_u32_e64 v17, s[0:1], v17, v19, s[0:1]
	s_or_b64 s[10:11], vcc, s[10:11]
	v_mov_b32_e32 v19, v18
	s_andn2_b64 exec, exec, s[10:11]
	s_cbranch_execz .LBB212_27
.LBB212_12:                             ; =>This Inner Loop Header: Depth=1
	global_load_ushort v20, v[16:17], off
	s_mov_b64 s[0:1], -1
	s_and_b64 vcc, exec, s[4:5]
	s_cbranch_vccz .LBB212_25
; %bb.13:                               ;   in Loop: Header=BB212_12 Depth=1
	s_and_b64 vcc, exec, s[6:7]
                                        ; implicit-def: $vgpr18
	s_cbranch_vccz .LBB212_22
; %bb.14:                               ;   in Loop: Header=BB212_12 Depth=1
	s_cmp_lt_i32 s20, 4
                                        ; implicit-def: $vgpr18
	s_cbranch_scc1 .LBB212_18
; %bb.15:                               ;   in Loop: Header=BB212_12 Depth=1
	s_cmp_eq_u32 s20, 4
	v_mov_b32_e32 v18, v19
	s_cbranch_scc0 .LBB212_17
; %bb.16:                               ;   in Loop: Header=BB212_12 Depth=1
	s_waitcnt vmcnt(0)
	v_mul_f16_e32 v18, v19, v20
.LBB212_17:                             ;   in Loop: Header=BB212_12 Depth=1
	s_mov_b64 s[0:1], 0
.LBB212_18:                             ;   in Loop: Header=BB212_12 Depth=1
	s_andn2_b64 vcc, exec, s[0:1]
	s_cbranch_vccnz .LBB212_21
; %bb.19:                               ;   in Loop: Header=BB212_12 Depth=1
	s_cmp_lg_u32 s20, 2
	v_mov_b32_e32 v18, v19
	s_cbranch_scc1 .LBB212_21
; %bb.20:                               ;   in Loop: Header=BB212_12 Depth=1
	s_waitcnt vmcnt(0)
	v_cmp_u_f16_e32 vcc, v20, v20
	v_cmp_gt_f16_e64 s[0:1], v19, v20
	s_or_b64 vcc, vcc, s[0:1]
	v_cndmask_b32_e32 v18, v19, v20, vcc
.LBB212_21:                             ;   in Loop: Header=BB212_12 Depth=1
	s_mov_b64 s[0:1], 0
.LBB212_22:                             ;   in Loop: Header=BB212_12 Depth=1
	s_and_b64 vcc, exec, s[0:1]
	s_cbranch_vccz .LBB212_24
; %bb.23:                               ;   in Loop: Header=BB212_12 Depth=1
	s_waitcnt vmcnt(0)
	v_add_f16_e32 v18, v19, v20
.LBB212_24:                             ;   in Loop: Header=BB212_12 Depth=1
	s_cbranch_execnz .LBB212_11
	s_branch .LBB212_26
.LBB212_25:                             ;   in Loop: Header=BB212_12 Depth=1
                                        ; implicit-def: $vgpr18
	s_andn2_b64 vcc, exec, s[0:1]
	s_cbranch_vccnz .LBB212_11
.LBB212_26:                             ;   in Loop: Header=BB212_12 Depth=1
	s_waitcnt vmcnt(0)
	v_cmp_u_f16_e32 vcc, v20, v20
	v_cmp_lt_f16_e64 s[0:1], v19, v20
	s_or_b64 vcc, vcc, s[0:1]
	v_cndmask_b32_e32 v18, v19, v20, vcc
	s_branch .LBB212_11
.LBB212_27:
	s_or_b64 exec, exec, s[10:11]
.LBB212_28:
	s_or_b64 exec, exec, s[2:3]
	v_mul_lo_u32 v2, v13, s38
	v_mul_lo_u32 v3, v12, s39
	v_mad_u64_u32 v[0:1], s[0:1], v12, s38, 0
	v_add3_u32 v1, v1, v3, v2
	v_lshlrev_b64 v[0:1], 3, v[0:1]
	v_mov_b32_e32 v2, s13
	v_add_co_u32_e32 v0, vcc, s12, v0
	v_addc_co_u32_e32 v1, vcc, v2, v1, vcc
	v_add_co_u32_e32 v0, vcc, v0, v14
	v_addc_co_u32_e32 v1, vcc, v1, v15, vcc
	global_load_dwordx2 v[0:1], v[0:1], off
	s_waitcnt vmcnt(0)
	v_cmp_lt_i64_e32 vcc, -1, v[0:1]
	s_and_saveexec_b64 s[0:1], vcc
	s_xor_b64 s[0:1], exec, s[0:1]
	s_cbranch_execz .LBB212_36
; %bb.29:
	s_bitcmp1_b32 s22, 0
	v_cmp_ne_u64_e32 vcc, 0, v[0:1]
	s_cselect_b64 s[2:3], -1, 0
	s_or_b64 s[2:3], s[2:3], vcc
	s_waitcnt lgkmcnt(0)
	s_cmp_lg_u32 s20, 1
	s_cselect_b64 s[4:5], -1, 0
	s_or_b64 s[6:7], s[4:5], s[2:3]
	v_mov_b32_e32 v2, 0x7e00
	s_and_saveexec_b64 s[2:3], s[6:7]
	s_cbranch_execz .LBB212_35
; %bb.30:
	v_cmp_ne_u64_e32 vcc, 0, v[0:1]
	s_xor_b64 s[4:5], s[4:5], -1
	s_and_b64 s[6:7], s[4:5], vcc
	s_and_saveexec_b64 s[4:5], s[6:7]
	s_cbranch_execz .LBB212_34
; %bb.31:
	v_cmp_o_f16_e32 vcc, v18, v18
	s_and_saveexec_b64 s[6:7], vcc
	s_cbranch_execz .LBB212_33
; %bb.32:
	v_ffbh_u32_e32 v2, v1
	v_min_u32_e32 v2, 32, v2
	v_lshlrev_b64 v[0:1], v2, v[0:1]
	v_cvt_f32_f16_e32 v3, v18
	v_min_u32_e32 v0, 1, v0
	v_or_b32_e32 v0, v1, v0
	v_cvt_f32_u32_e32 v0, v0
	v_sub_u32_e32 v1, 32, v2
	v_ldexp_f32 v0, v0, v1
	v_cvt_f16_f32_e32 v0, v0
	v_cvt_f32_f16_e32 v1, v0
	v_rcp_f32_e32 v2, v1
	v_mul_f32_e32 v12, v3, v2
	v_mad_f32 v13, -v1, v12, v3
	v_mac_f32_e32 v12, v13, v2
	v_mad_f32 v1, -v1, v12, v3
	v_mul_f32_e32 v1, v1, v2
	v_and_b32_e32 v1, 0xff800000, v1
	v_add_f32_e32 v1, v1, v12
	v_cvt_f16_f32_e32 v1, v1
	v_div_fixup_f16 v18, v1, v0, v18
.LBB212_33:
	s_or_b64 exec, exec, s[6:7]
.LBB212_34:
	s_or_b64 exec, exec, s[4:5]
	v_mov_b32_e32 v2, v18
.LBB212_35:
	s_or_b64 exec, exec, s[2:3]
	s_mul_i32 s2, s18, s17
	s_mul_hi_u32 s3, s18, s16
	s_add_i32 s2, s3, s2
	s_mul_i32 s3, s19, s16
	s_add_i32 s2, s2, s3
	s_mul_i32 s3, s18, s16
	v_mul_lo_u32 v12, s2, v6
	v_mul_lo_u32 v13, s3, v7
	v_mad_u64_u32 v[0:1], s[2:3], s3, v6, 0
	v_mul_lo_u32 v9, v9, s16
	v_mul_lo_u32 v14, v8, s17
	v_mad_u64_u32 v[6:7], s[2:3], v8, s16, 0
	v_add3_u32 v1, v1, v13, v12
	v_sub_co_u32_e32 v3, vcc, v4, v10
	v_lshlrev_b64 v[0:1], 1, v[0:1]
	v_subb_co_u32_e32 v4, vcc, v5, v11, vcc
	v_add3_u32 v7, v7, v14, v9
	v_mov_b32_e32 v5, s9
	v_add_co_u32_e32 v8, vcc, s8, v0
	v_addc_co_u32_e32 v5, vcc, v5, v1, vcc
	v_lshlrev_b64 v[0:1], 1, v[6:7]
	v_add_co_u32_e32 v6, vcc, v8, v0
	v_addc_co_u32_e32 v5, vcc, v5, v1, vcc
	v_lshlrev_b64 v[0:1], 1, v[3:4]
	v_add_co_u32_e32 v0, vcc, v6, v0
	v_addc_co_u32_e32 v1, vcc, v5, v1, vcc
	global_store_short v[0:1], v2, off
.LBB212_36:
	s_andn2_saveexec_b64 s[0:1], s[0:1]
	s_cbranch_execnz .LBB212_38
.LBB212_37:
	s_endpgm
.LBB212_38:
	s_trap 2
	; divergent unreachable
	s_endpgm
	.section	.rodata,"a",@progbits
	.p2align	6, 0x0
	.amdhsa_kernel _ZN2at6native12_GLOBAL__N_129segment_reduce_forward_kernelIN3c104HalfElEEvNS0_13ReductionTypeEPT_PKS6_PKT0_SC_llbS6_lllllll
		.amdhsa_group_segment_fixed_size 0
		.amdhsa_private_segment_fixed_size 0
		.amdhsa_kernarg_size 376
		.amdhsa_user_sgpr_count 6
		.amdhsa_user_sgpr_private_segment_buffer 1
		.amdhsa_user_sgpr_dispatch_ptr 0
		.amdhsa_user_sgpr_queue_ptr 0
		.amdhsa_user_sgpr_kernarg_segment_ptr 1
		.amdhsa_user_sgpr_dispatch_id 0
		.amdhsa_user_sgpr_flat_scratch_init 0
		.amdhsa_user_sgpr_private_segment_size 0
		.amdhsa_uses_dynamic_stack 0
		.amdhsa_system_sgpr_private_segment_wavefront_offset 0
		.amdhsa_system_sgpr_workgroup_id_x 1
		.amdhsa_system_sgpr_workgroup_id_y 0
		.amdhsa_system_sgpr_workgroup_id_z 0
		.amdhsa_system_sgpr_workgroup_info 0
		.amdhsa_system_vgpr_workitem_id 0
		.amdhsa_next_free_vgpr 21
		.amdhsa_next_free_sgpr 42
		.amdhsa_reserve_vcc 1
		.amdhsa_reserve_flat_scratch 0
		.amdhsa_float_round_mode_32 0
		.amdhsa_float_round_mode_16_64 0
		.amdhsa_float_denorm_mode_32 3
		.amdhsa_float_denorm_mode_16_64 3
		.amdhsa_dx10_clamp 1
		.amdhsa_ieee_mode 1
		.amdhsa_fp16_overflow 0
		.amdhsa_exception_fp_ieee_invalid_op 0
		.amdhsa_exception_fp_denorm_src 0
		.amdhsa_exception_fp_ieee_div_zero 0
		.amdhsa_exception_fp_ieee_overflow 0
		.amdhsa_exception_fp_ieee_underflow 0
		.amdhsa_exception_fp_ieee_inexact 0
		.amdhsa_exception_int_div_zero 0
	.end_amdhsa_kernel
	.section	.text._ZN2at6native12_GLOBAL__N_129segment_reduce_forward_kernelIN3c104HalfElEEvNS0_13ReductionTypeEPT_PKS6_PKT0_SC_llbS6_lllllll,"axG",@progbits,_ZN2at6native12_GLOBAL__N_129segment_reduce_forward_kernelIN3c104HalfElEEvNS0_13ReductionTypeEPT_PKS6_PKT0_SC_llbS6_lllllll,comdat
.Lfunc_end212:
	.size	_ZN2at6native12_GLOBAL__N_129segment_reduce_forward_kernelIN3c104HalfElEEvNS0_13ReductionTypeEPT_PKS6_PKT0_SC_llbS6_lllllll, .Lfunc_end212-_ZN2at6native12_GLOBAL__N_129segment_reduce_forward_kernelIN3c104HalfElEEvNS0_13ReductionTypeEPT_PKS6_PKT0_SC_llbS6_lllllll
                                        ; -- End function
	.set _ZN2at6native12_GLOBAL__N_129segment_reduce_forward_kernelIN3c104HalfElEEvNS0_13ReductionTypeEPT_PKS6_PKT0_SC_llbS6_lllllll.num_vgpr, 21
	.set _ZN2at6native12_GLOBAL__N_129segment_reduce_forward_kernelIN3c104HalfElEEvNS0_13ReductionTypeEPT_PKS6_PKT0_SC_llbS6_lllllll.num_agpr, 0
	.set _ZN2at6native12_GLOBAL__N_129segment_reduce_forward_kernelIN3c104HalfElEEvNS0_13ReductionTypeEPT_PKS6_PKT0_SC_llbS6_lllllll.numbered_sgpr, 42
	.set _ZN2at6native12_GLOBAL__N_129segment_reduce_forward_kernelIN3c104HalfElEEvNS0_13ReductionTypeEPT_PKS6_PKT0_SC_llbS6_lllllll.num_named_barrier, 0
	.set _ZN2at6native12_GLOBAL__N_129segment_reduce_forward_kernelIN3c104HalfElEEvNS0_13ReductionTypeEPT_PKS6_PKT0_SC_llbS6_lllllll.private_seg_size, 0
	.set _ZN2at6native12_GLOBAL__N_129segment_reduce_forward_kernelIN3c104HalfElEEvNS0_13ReductionTypeEPT_PKS6_PKT0_SC_llbS6_lllllll.uses_vcc, 1
	.set _ZN2at6native12_GLOBAL__N_129segment_reduce_forward_kernelIN3c104HalfElEEvNS0_13ReductionTypeEPT_PKS6_PKT0_SC_llbS6_lllllll.uses_flat_scratch, 0
	.set _ZN2at6native12_GLOBAL__N_129segment_reduce_forward_kernelIN3c104HalfElEEvNS0_13ReductionTypeEPT_PKS6_PKT0_SC_llbS6_lllllll.has_dyn_sized_stack, 0
	.set _ZN2at6native12_GLOBAL__N_129segment_reduce_forward_kernelIN3c104HalfElEEvNS0_13ReductionTypeEPT_PKS6_PKT0_SC_llbS6_lllllll.has_recursion, 0
	.set _ZN2at6native12_GLOBAL__N_129segment_reduce_forward_kernelIN3c104HalfElEEvNS0_13ReductionTypeEPT_PKS6_PKT0_SC_llbS6_lllllll.has_indirect_call, 0
	.section	.AMDGPU.csdata,"",@progbits
; Kernel info:
; codeLenInByte = 2716
; TotalNumSgprs: 46
; NumVgprs: 21
; ScratchSize: 0
; MemoryBound: 0
; FloatMode: 240
; IeeeMode: 1
; LDSByteSize: 0 bytes/workgroup (compile time only)
; SGPRBlocks: 5
; VGPRBlocks: 5
; NumSGPRsForWavesPerEU: 46
; NumVGPRsForWavesPerEU: 21
; Occupancy: 10
; WaveLimiterHint : 0
; COMPUTE_PGM_RSRC2:SCRATCH_EN: 0
; COMPUTE_PGM_RSRC2:USER_SGPR: 6
; COMPUTE_PGM_RSRC2:TRAP_HANDLER: 0
; COMPUTE_PGM_RSRC2:TGID_X_EN: 1
; COMPUTE_PGM_RSRC2:TGID_Y_EN: 0
; COMPUTE_PGM_RSRC2:TGID_Z_EN: 0
; COMPUTE_PGM_RSRC2:TIDIG_COMP_CNT: 0
	.section	.text._ZN7rocprim17ROCPRIM_400000_NS6detail17trampoline_kernelINS0_14default_configENS1_32segmented_reduce_config_selectorIN3c104HalfEEEZNS1_21segmented_reduce_implIS3_PKS6_PS6_PKlS6_N6hipcub16HIPCUB_304000_NS6detail27convert_result_type_wrapperISA_SB_N2at6native12_GLOBAL__N_19CustomMaxEEEEE10hipError_tPvRmT0_T1_jT2_SS_T4_T3_P12ihipStream_tbEUlT_E_NS1_11comp_targetILNS1_3genE0ELNS1_11target_archE4294967295ELNS1_3gpuE0ELNS1_3repE0EEENS1_30default_config_static_selectorELNS0_4arch9wavefront6targetE1EEEvSR_,"axG",@progbits,_ZN7rocprim17ROCPRIM_400000_NS6detail17trampoline_kernelINS0_14default_configENS1_32segmented_reduce_config_selectorIN3c104HalfEEEZNS1_21segmented_reduce_implIS3_PKS6_PS6_PKlS6_N6hipcub16HIPCUB_304000_NS6detail27convert_result_type_wrapperISA_SB_N2at6native12_GLOBAL__N_19CustomMaxEEEEE10hipError_tPvRmT0_T1_jT2_SS_T4_T3_P12ihipStream_tbEUlT_E_NS1_11comp_targetILNS1_3genE0ELNS1_11target_archE4294967295ELNS1_3gpuE0ELNS1_3repE0EEENS1_30default_config_static_selectorELNS0_4arch9wavefront6targetE1EEEvSR_,comdat
	.globl	_ZN7rocprim17ROCPRIM_400000_NS6detail17trampoline_kernelINS0_14default_configENS1_32segmented_reduce_config_selectorIN3c104HalfEEEZNS1_21segmented_reduce_implIS3_PKS6_PS6_PKlS6_N6hipcub16HIPCUB_304000_NS6detail27convert_result_type_wrapperISA_SB_N2at6native12_GLOBAL__N_19CustomMaxEEEEE10hipError_tPvRmT0_T1_jT2_SS_T4_T3_P12ihipStream_tbEUlT_E_NS1_11comp_targetILNS1_3genE0ELNS1_11target_archE4294967295ELNS1_3gpuE0ELNS1_3repE0EEENS1_30default_config_static_selectorELNS0_4arch9wavefront6targetE1EEEvSR_ ; -- Begin function _ZN7rocprim17ROCPRIM_400000_NS6detail17trampoline_kernelINS0_14default_configENS1_32segmented_reduce_config_selectorIN3c104HalfEEEZNS1_21segmented_reduce_implIS3_PKS6_PS6_PKlS6_N6hipcub16HIPCUB_304000_NS6detail27convert_result_type_wrapperISA_SB_N2at6native12_GLOBAL__N_19CustomMaxEEEEE10hipError_tPvRmT0_T1_jT2_SS_T4_T3_P12ihipStream_tbEUlT_E_NS1_11comp_targetILNS1_3genE0ELNS1_11target_archE4294967295ELNS1_3gpuE0ELNS1_3repE0EEENS1_30default_config_static_selectorELNS0_4arch9wavefront6targetE1EEEvSR_
	.p2align	8
	.type	_ZN7rocprim17ROCPRIM_400000_NS6detail17trampoline_kernelINS0_14default_configENS1_32segmented_reduce_config_selectorIN3c104HalfEEEZNS1_21segmented_reduce_implIS3_PKS6_PS6_PKlS6_N6hipcub16HIPCUB_304000_NS6detail27convert_result_type_wrapperISA_SB_N2at6native12_GLOBAL__N_19CustomMaxEEEEE10hipError_tPvRmT0_T1_jT2_SS_T4_T3_P12ihipStream_tbEUlT_E_NS1_11comp_targetILNS1_3genE0ELNS1_11target_archE4294967295ELNS1_3gpuE0ELNS1_3repE0EEENS1_30default_config_static_selectorELNS0_4arch9wavefront6targetE1EEEvSR_,@function
_ZN7rocprim17ROCPRIM_400000_NS6detail17trampoline_kernelINS0_14default_configENS1_32segmented_reduce_config_selectorIN3c104HalfEEEZNS1_21segmented_reduce_implIS3_PKS6_PS6_PKlS6_N6hipcub16HIPCUB_304000_NS6detail27convert_result_type_wrapperISA_SB_N2at6native12_GLOBAL__N_19CustomMaxEEEEE10hipError_tPvRmT0_T1_jT2_SS_T4_T3_P12ihipStream_tbEUlT_E_NS1_11comp_targetILNS1_3genE0ELNS1_11target_archE4294967295ELNS1_3gpuE0ELNS1_3repE0EEENS1_30default_config_static_selectorELNS0_4arch9wavefront6targetE1EEEvSR_: ; @_ZN7rocprim17ROCPRIM_400000_NS6detail17trampoline_kernelINS0_14default_configENS1_32segmented_reduce_config_selectorIN3c104HalfEEEZNS1_21segmented_reduce_implIS3_PKS6_PS6_PKlS6_N6hipcub16HIPCUB_304000_NS6detail27convert_result_type_wrapperISA_SB_N2at6native12_GLOBAL__N_19CustomMaxEEEEE10hipError_tPvRmT0_T1_jT2_SS_T4_T3_P12ihipStream_tbEUlT_E_NS1_11comp_targetILNS1_3genE0ELNS1_11target_archE4294967295ELNS1_3gpuE0ELNS1_3repE0EEENS1_30default_config_static_selectorELNS0_4arch9wavefront6targetE1EEEvSR_
; %bb.0:
	.section	.rodata,"a",@progbits
	.p2align	6, 0x0
	.amdhsa_kernel _ZN7rocprim17ROCPRIM_400000_NS6detail17trampoline_kernelINS0_14default_configENS1_32segmented_reduce_config_selectorIN3c104HalfEEEZNS1_21segmented_reduce_implIS3_PKS6_PS6_PKlS6_N6hipcub16HIPCUB_304000_NS6detail27convert_result_type_wrapperISA_SB_N2at6native12_GLOBAL__N_19CustomMaxEEEEE10hipError_tPvRmT0_T1_jT2_SS_T4_T3_P12ihipStream_tbEUlT_E_NS1_11comp_targetILNS1_3genE0ELNS1_11target_archE4294967295ELNS1_3gpuE0ELNS1_3repE0EEENS1_30default_config_static_selectorELNS0_4arch9wavefront6targetE1EEEvSR_
		.amdhsa_group_segment_fixed_size 0
		.amdhsa_private_segment_fixed_size 0
		.amdhsa_kernarg_size 48
		.amdhsa_user_sgpr_count 6
		.amdhsa_user_sgpr_private_segment_buffer 1
		.amdhsa_user_sgpr_dispatch_ptr 0
		.amdhsa_user_sgpr_queue_ptr 0
		.amdhsa_user_sgpr_kernarg_segment_ptr 1
		.amdhsa_user_sgpr_dispatch_id 0
		.amdhsa_user_sgpr_flat_scratch_init 0
		.amdhsa_user_sgpr_private_segment_size 0
		.amdhsa_uses_dynamic_stack 0
		.amdhsa_system_sgpr_private_segment_wavefront_offset 0
		.amdhsa_system_sgpr_workgroup_id_x 1
		.amdhsa_system_sgpr_workgroup_id_y 0
		.amdhsa_system_sgpr_workgroup_id_z 0
		.amdhsa_system_sgpr_workgroup_info 0
		.amdhsa_system_vgpr_workitem_id 0
		.amdhsa_next_free_vgpr 1
		.amdhsa_next_free_sgpr 0
		.amdhsa_reserve_vcc 0
		.amdhsa_reserve_flat_scratch 0
		.amdhsa_float_round_mode_32 0
		.amdhsa_float_round_mode_16_64 0
		.amdhsa_float_denorm_mode_32 3
		.amdhsa_float_denorm_mode_16_64 3
		.amdhsa_dx10_clamp 1
		.amdhsa_ieee_mode 1
		.amdhsa_fp16_overflow 0
		.amdhsa_exception_fp_ieee_invalid_op 0
		.amdhsa_exception_fp_denorm_src 0
		.amdhsa_exception_fp_ieee_div_zero 0
		.amdhsa_exception_fp_ieee_overflow 0
		.amdhsa_exception_fp_ieee_underflow 0
		.amdhsa_exception_fp_ieee_inexact 0
		.amdhsa_exception_int_div_zero 0
	.end_amdhsa_kernel
	.section	.text._ZN7rocprim17ROCPRIM_400000_NS6detail17trampoline_kernelINS0_14default_configENS1_32segmented_reduce_config_selectorIN3c104HalfEEEZNS1_21segmented_reduce_implIS3_PKS6_PS6_PKlS6_N6hipcub16HIPCUB_304000_NS6detail27convert_result_type_wrapperISA_SB_N2at6native12_GLOBAL__N_19CustomMaxEEEEE10hipError_tPvRmT0_T1_jT2_SS_T4_T3_P12ihipStream_tbEUlT_E_NS1_11comp_targetILNS1_3genE0ELNS1_11target_archE4294967295ELNS1_3gpuE0ELNS1_3repE0EEENS1_30default_config_static_selectorELNS0_4arch9wavefront6targetE1EEEvSR_,"axG",@progbits,_ZN7rocprim17ROCPRIM_400000_NS6detail17trampoline_kernelINS0_14default_configENS1_32segmented_reduce_config_selectorIN3c104HalfEEEZNS1_21segmented_reduce_implIS3_PKS6_PS6_PKlS6_N6hipcub16HIPCUB_304000_NS6detail27convert_result_type_wrapperISA_SB_N2at6native12_GLOBAL__N_19CustomMaxEEEEE10hipError_tPvRmT0_T1_jT2_SS_T4_T3_P12ihipStream_tbEUlT_E_NS1_11comp_targetILNS1_3genE0ELNS1_11target_archE4294967295ELNS1_3gpuE0ELNS1_3repE0EEENS1_30default_config_static_selectorELNS0_4arch9wavefront6targetE1EEEvSR_,comdat
.Lfunc_end213:
	.size	_ZN7rocprim17ROCPRIM_400000_NS6detail17trampoline_kernelINS0_14default_configENS1_32segmented_reduce_config_selectorIN3c104HalfEEEZNS1_21segmented_reduce_implIS3_PKS6_PS6_PKlS6_N6hipcub16HIPCUB_304000_NS6detail27convert_result_type_wrapperISA_SB_N2at6native12_GLOBAL__N_19CustomMaxEEEEE10hipError_tPvRmT0_T1_jT2_SS_T4_T3_P12ihipStream_tbEUlT_E_NS1_11comp_targetILNS1_3genE0ELNS1_11target_archE4294967295ELNS1_3gpuE0ELNS1_3repE0EEENS1_30default_config_static_selectorELNS0_4arch9wavefront6targetE1EEEvSR_, .Lfunc_end213-_ZN7rocprim17ROCPRIM_400000_NS6detail17trampoline_kernelINS0_14default_configENS1_32segmented_reduce_config_selectorIN3c104HalfEEEZNS1_21segmented_reduce_implIS3_PKS6_PS6_PKlS6_N6hipcub16HIPCUB_304000_NS6detail27convert_result_type_wrapperISA_SB_N2at6native12_GLOBAL__N_19CustomMaxEEEEE10hipError_tPvRmT0_T1_jT2_SS_T4_T3_P12ihipStream_tbEUlT_E_NS1_11comp_targetILNS1_3genE0ELNS1_11target_archE4294967295ELNS1_3gpuE0ELNS1_3repE0EEENS1_30default_config_static_selectorELNS0_4arch9wavefront6targetE1EEEvSR_
                                        ; -- End function
	.set _ZN7rocprim17ROCPRIM_400000_NS6detail17trampoline_kernelINS0_14default_configENS1_32segmented_reduce_config_selectorIN3c104HalfEEEZNS1_21segmented_reduce_implIS3_PKS6_PS6_PKlS6_N6hipcub16HIPCUB_304000_NS6detail27convert_result_type_wrapperISA_SB_N2at6native12_GLOBAL__N_19CustomMaxEEEEE10hipError_tPvRmT0_T1_jT2_SS_T4_T3_P12ihipStream_tbEUlT_E_NS1_11comp_targetILNS1_3genE0ELNS1_11target_archE4294967295ELNS1_3gpuE0ELNS1_3repE0EEENS1_30default_config_static_selectorELNS0_4arch9wavefront6targetE1EEEvSR_.num_vgpr, 0
	.set _ZN7rocprim17ROCPRIM_400000_NS6detail17trampoline_kernelINS0_14default_configENS1_32segmented_reduce_config_selectorIN3c104HalfEEEZNS1_21segmented_reduce_implIS3_PKS6_PS6_PKlS6_N6hipcub16HIPCUB_304000_NS6detail27convert_result_type_wrapperISA_SB_N2at6native12_GLOBAL__N_19CustomMaxEEEEE10hipError_tPvRmT0_T1_jT2_SS_T4_T3_P12ihipStream_tbEUlT_E_NS1_11comp_targetILNS1_3genE0ELNS1_11target_archE4294967295ELNS1_3gpuE0ELNS1_3repE0EEENS1_30default_config_static_selectorELNS0_4arch9wavefront6targetE1EEEvSR_.num_agpr, 0
	.set _ZN7rocprim17ROCPRIM_400000_NS6detail17trampoline_kernelINS0_14default_configENS1_32segmented_reduce_config_selectorIN3c104HalfEEEZNS1_21segmented_reduce_implIS3_PKS6_PS6_PKlS6_N6hipcub16HIPCUB_304000_NS6detail27convert_result_type_wrapperISA_SB_N2at6native12_GLOBAL__N_19CustomMaxEEEEE10hipError_tPvRmT0_T1_jT2_SS_T4_T3_P12ihipStream_tbEUlT_E_NS1_11comp_targetILNS1_3genE0ELNS1_11target_archE4294967295ELNS1_3gpuE0ELNS1_3repE0EEENS1_30default_config_static_selectorELNS0_4arch9wavefront6targetE1EEEvSR_.numbered_sgpr, 0
	.set _ZN7rocprim17ROCPRIM_400000_NS6detail17trampoline_kernelINS0_14default_configENS1_32segmented_reduce_config_selectorIN3c104HalfEEEZNS1_21segmented_reduce_implIS3_PKS6_PS6_PKlS6_N6hipcub16HIPCUB_304000_NS6detail27convert_result_type_wrapperISA_SB_N2at6native12_GLOBAL__N_19CustomMaxEEEEE10hipError_tPvRmT0_T1_jT2_SS_T4_T3_P12ihipStream_tbEUlT_E_NS1_11comp_targetILNS1_3genE0ELNS1_11target_archE4294967295ELNS1_3gpuE0ELNS1_3repE0EEENS1_30default_config_static_selectorELNS0_4arch9wavefront6targetE1EEEvSR_.num_named_barrier, 0
	.set _ZN7rocprim17ROCPRIM_400000_NS6detail17trampoline_kernelINS0_14default_configENS1_32segmented_reduce_config_selectorIN3c104HalfEEEZNS1_21segmented_reduce_implIS3_PKS6_PS6_PKlS6_N6hipcub16HIPCUB_304000_NS6detail27convert_result_type_wrapperISA_SB_N2at6native12_GLOBAL__N_19CustomMaxEEEEE10hipError_tPvRmT0_T1_jT2_SS_T4_T3_P12ihipStream_tbEUlT_E_NS1_11comp_targetILNS1_3genE0ELNS1_11target_archE4294967295ELNS1_3gpuE0ELNS1_3repE0EEENS1_30default_config_static_selectorELNS0_4arch9wavefront6targetE1EEEvSR_.private_seg_size, 0
	.set _ZN7rocprim17ROCPRIM_400000_NS6detail17trampoline_kernelINS0_14default_configENS1_32segmented_reduce_config_selectorIN3c104HalfEEEZNS1_21segmented_reduce_implIS3_PKS6_PS6_PKlS6_N6hipcub16HIPCUB_304000_NS6detail27convert_result_type_wrapperISA_SB_N2at6native12_GLOBAL__N_19CustomMaxEEEEE10hipError_tPvRmT0_T1_jT2_SS_T4_T3_P12ihipStream_tbEUlT_E_NS1_11comp_targetILNS1_3genE0ELNS1_11target_archE4294967295ELNS1_3gpuE0ELNS1_3repE0EEENS1_30default_config_static_selectorELNS0_4arch9wavefront6targetE1EEEvSR_.uses_vcc, 0
	.set _ZN7rocprim17ROCPRIM_400000_NS6detail17trampoline_kernelINS0_14default_configENS1_32segmented_reduce_config_selectorIN3c104HalfEEEZNS1_21segmented_reduce_implIS3_PKS6_PS6_PKlS6_N6hipcub16HIPCUB_304000_NS6detail27convert_result_type_wrapperISA_SB_N2at6native12_GLOBAL__N_19CustomMaxEEEEE10hipError_tPvRmT0_T1_jT2_SS_T4_T3_P12ihipStream_tbEUlT_E_NS1_11comp_targetILNS1_3genE0ELNS1_11target_archE4294967295ELNS1_3gpuE0ELNS1_3repE0EEENS1_30default_config_static_selectorELNS0_4arch9wavefront6targetE1EEEvSR_.uses_flat_scratch, 0
	.set _ZN7rocprim17ROCPRIM_400000_NS6detail17trampoline_kernelINS0_14default_configENS1_32segmented_reduce_config_selectorIN3c104HalfEEEZNS1_21segmented_reduce_implIS3_PKS6_PS6_PKlS6_N6hipcub16HIPCUB_304000_NS6detail27convert_result_type_wrapperISA_SB_N2at6native12_GLOBAL__N_19CustomMaxEEEEE10hipError_tPvRmT0_T1_jT2_SS_T4_T3_P12ihipStream_tbEUlT_E_NS1_11comp_targetILNS1_3genE0ELNS1_11target_archE4294967295ELNS1_3gpuE0ELNS1_3repE0EEENS1_30default_config_static_selectorELNS0_4arch9wavefront6targetE1EEEvSR_.has_dyn_sized_stack, 0
	.set _ZN7rocprim17ROCPRIM_400000_NS6detail17trampoline_kernelINS0_14default_configENS1_32segmented_reduce_config_selectorIN3c104HalfEEEZNS1_21segmented_reduce_implIS3_PKS6_PS6_PKlS6_N6hipcub16HIPCUB_304000_NS6detail27convert_result_type_wrapperISA_SB_N2at6native12_GLOBAL__N_19CustomMaxEEEEE10hipError_tPvRmT0_T1_jT2_SS_T4_T3_P12ihipStream_tbEUlT_E_NS1_11comp_targetILNS1_3genE0ELNS1_11target_archE4294967295ELNS1_3gpuE0ELNS1_3repE0EEENS1_30default_config_static_selectorELNS0_4arch9wavefront6targetE1EEEvSR_.has_recursion, 0
	.set _ZN7rocprim17ROCPRIM_400000_NS6detail17trampoline_kernelINS0_14default_configENS1_32segmented_reduce_config_selectorIN3c104HalfEEEZNS1_21segmented_reduce_implIS3_PKS6_PS6_PKlS6_N6hipcub16HIPCUB_304000_NS6detail27convert_result_type_wrapperISA_SB_N2at6native12_GLOBAL__N_19CustomMaxEEEEE10hipError_tPvRmT0_T1_jT2_SS_T4_T3_P12ihipStream_tbEUlT_E_NS1_11comp_targetILNS1_3genE0ELNS1_11target_archE4294967295ELNS1_3gpuE0ELNS1_3repE0EEENS1_30default_config_static_selectorELNS0_4arch9wavefront6targetE1EEEvSR_.has_indirect_call, 0
	.section	.AMDGPU.csdata,"",@progbits
; Kernel info:
; codeLenInByte = 0
; TotalNumSgprs: 4
; NumVgprs: 0
; ScratchSize: 0
; MemoryBound: 0
; FloatMode: 240
; IeeeMode: 1
; LDSByteSize: 0 bytes/workgroup (compile time only)
; SGPRBlocks: 0
; VGPRBlocks: 0
; NumSGPRsForWavesPerEU: 4
; NumVGPRsForWavesPerEU: 1
; Occupancy: 10
; WaveLimiterHint : 0
; COMPUTE_PGM_RSRC2:SCRATCH_EN: 0
; COMPUTE_PGM_RSRC2:USER_SGPR: 6
; COMPUTE_PGM_RSRC2:TRAP_HANDLER: 0
; COMPUTE_PGM_RSRC2:TGID_X_EN: 1
; COMPUTE_PGM_RSRC2:TGID_Y_EN: 0
; COMPUTE_PGM_RSRC2:TGID_Z_EN: 0
; COMPUTE_PGM_RSRC2:TIDIG_COMP_CNT: 0
	.section	.text._ZN7rocprim17ROCPRIM_400000_NS6detail17trampoline_kernelINS0_14default_configENS1_32segmented_reduce_config_selectorIN3c104HalfEEEZNS1_21segmented_reduce_implIS3_PKS6_PS6_PKlS6_N6hipcub16HIPCUB_304000_NS6detail27convert_result_type_wrapperISA_SB_N2at6native12_GLOBAL__N_19CustomMaxEEEEE10hipError_tPvRmT0_T1_jT2_SS_T4_T3_P12ihipStream_tbEUlT_E_NS1_11comp_targetILNS1_3genE5ELNS1_11target_archE942ELNS1_3gpuE9ELNS1_3repE0EEENS1_30default_config_static_selectorELNS0_4arch9wavefront6targetE1EEEvSR_,"axG",@progbits,_ZN7rocprim17ROCPRIM_400000_NS6detail17trampoline_kernelINS0_14default_configENS1_32segmented_reduce_config_selectorIN3c104HalfEEEZNS1_21segmented_reduce_implIS3_PKS6_PS6_PKlS6_N6hipcub16HIPCUB_304000_NS6detail27convert_result_type_wrapperISA_SB_N2at6native12_GLOBAL__N_19CustomMaxEEEEE10hipError_tPvRmT0_T1_jT2_SS_T4_T3_P12ihipStream_tbEUlT_E_NS1_11comp_targetILNS1_3genE5ELNS1_11target_archE942ELNS1_3gpuE9ELNS1_3repE0EEENS1_30default_config_static_selectorELNS0_4arch9wavefront6targetE1EEEvSR_,comdat
	.globl	_ZN7rocprim17ROCPRIM_400000_NS6detail17trampoline_kernelINS0_14default_configENS1_32segmented_reduce_config_selectorIN3c104HalfEEEZNS1_21segmented_reduce_implIS3_PKS6_PS6_PKlS6_N6hipcub16HIPCUB_304000_NS6detail27convert_result_type_wrapperISA_SB_N2at6native12_GLOBAL__N_19CustomMaxEEEEE10hipError_tPvRmT0_T1_jT2_SS_T4_T3_P12ihipStream_tbEUlT_E_NS1_11comp_targetILNS1_3genE5ELNS1_11target_archE942ELNS1_3gpuE9ELNS1_3repE0EEENS1_30default_config_static_selectorELNS0_4arch9wavefront6targetE1EEEvSR_ ; -- Begin function _ZN7rocprim17ROCPRIM_400000_NS6detail17trampoline_kernelINS0_14default_configENS1_32segmented_reduce_config_selectorIN3c104HalfEEEZNS1_21segmented_reduce_implIS3_PKS6_PS6_PKlS6_N6hipcub16HIPCUB_304000_NS6detail27convert_result_type_wrapperISA_SB_N2at6native12_GLOBAL__N_19CustomMaxEEEEE10hipError_tPvRmT0_T1_jT2_SS_T4_T3_P12ihipStream_tbEUlT_E_NS1_11comp_targetILNS1_3genE5ELNS1_11target_archE942ELNS1_3gpuE9ELNS1_3repE0EEENS1_30default_config_static_selectorELNS0_4arch9wavefront6targetE1EEEvSR_
	.p2align	8
	.type	_ZN7rocprim17ROCPRIM_400000_NS6detail17trampoline_kernelINS0_14default_configENS1_32segmented_reduce_config_selectorIN3c104HalfEEEZNS1_21segmented_reduce_implIS3_PKS6_PS6_PKlS6_N6hipcub16HIPCUB_304000_NS6detail27convert_result_type_wrapperISA_SB_N2at6native12_GLOBAL__N_19CustomMaxEEEEE10hipError_tPvRmT0_T1_jT2_SS_T4_T3_P12ihipStream_tbEUlT_E_NS1_11comp_targetILNS1_3genE5ELNS1_11target_archE942ELNS1_3gpuE9ELNS1_3repE0EEENS1_30default_config_static_selectorELNS0_4arch9wavefront6targetE1EEEvSR_,@function
_ZN7rocprim17ROCPRIM_400000_NS6detail17trampoline_kernelINS0_14default_configENS1_32segmented_reduce_config_selectorIN3c104HalfEEEZNS1_21segmented_reduce_implIS3_PKS6_PS6_PKlS6_N6hipcub16HIPCUB_304000_NS6detail27convert_result_type_wrapperISA_SB_N2at6native12_GLOBAL__N_19CustomMaxEEEEE10hipError_tPvRmT0_T1_jT2_SS_T4_T3_P12ihipStream_tbEUlT_E_NS1_11comp_targetILNS1_3genE5ELNS1_11target_archE942ELNS1_3gpuE9ELNS1_3repE0EEENS1_30default_config_static_selectorELNS0_4arch9wavefront6targetE1EEEvSR_: ; @_ZN7rocprim17ROCPRIM_400000_NS6detail17trampoline_kernelINS0_14default_configENS1_32segmented_reduce_config_selectorIN3c104HalfEEEZNS1_21segmented_reduce_implIS3_PKS6_PS6_PKlS6_N6hipcub16HIPCUB_304000_NS6detail27convert_result_type_wrapperISA_SB_N2at6native12_GLOBAL__N_19CustomMaxEEEEE10hipError_tPvRmT0_T1_jT2_SS_T4_T3_P12ihipStream_tbEUlT_E_NS1_11comp_targetILNS1_3genE5ELNS1_11target_archE942ELNS1_3gpuE9ELNS1_3repE0EEENS1_30default_config_static_selectorELNS0_4arch9wavefront6targetE1EEEvSR_
; %bb.0:
	.section	.rodata,"a",@progbits
	.p2align	6, 0x0
	.amdhsa_kernel _ZN7rocprim17ROCPRIM_400000_NS6detail17trampoline_kernelINS0_14default_configENS1_32segmented_reduce_config_selectorIN3c104HalfEEEZNS1_21segmented_reduce_implIS3_PKS6_PS6_PKlS6_N6hipcub16HIPCUB_304000_NS6detail27convert_result_type_wrapperISA_SB_N2at6native12_GLOBAL__N_19CustomMaxEEEEE10hipError_tPvRmT0_T1_jT2_SS_T4_T3_P12ihipStream_tbEUlT_E_NS1_11comp_targetILNS1_3genE5ELNS1_11target_archE942ELNS1_3gpuE9ELNS1_3repE0EEENS1_30default_config_static_selectorELNS0_4arch9wavefront6targetE1EEEvSR_
		.amdhsa_group_segment_fixed_size 0
		.amdhsa_private_segment_fixed_size 0
		.amdhsa_kernarg_size 48
		.amdhsa_user_sgpr_count 6
		.amdhsa_user_sgpr_private_segment_buffer 1
		.amdhsa_user_sgpr_dispatch_ptr 0
		.amdhsa_user_sgpr_queue_ptr 0
		.amdhsa_user_sgpr_kernarg_segment_ptr 1
		.amdhsa_user_sgpr_dispatch_id 0
		.amdhsa_user_sgpr_flat_scratch_init 0
		.amdhsa_user_sgpr_private_segment_size 0
		.amdhsa_uses_dynamic_stack 0
		.amdhsa_system_sgpr_private_segment_wavefront_offset 0
		.amdhsa_system_sgpr_workgroup_id_x 1
		.amdhsa_system_sgpr_workgroup_id_y 0
		.amdhsa_system_sgpr_workgroup_id_z 0
		.amdhsa_system_sgpr_workgroup_info 0
		.amdhsa_system_vgpr_workitem_id 0
		.amdhsa_next_free_vgpr 1
		.amdhsa_next_free_sgpr 0
		.amdhsa_reserve_vcc 0
		.amdhsa_reserve_flat_scratch 0
		.amdhsa_float_round_mode_32 0
		.amdhsa_float_round_mode_16_64 0
		.amdhsa_float_denorm_mode_32 3
		.amdhsa_float_denorm_mode_16_64 3
		.amdhsa_dx10_clamp 1
		.amdhsa_ieee_mode 1
		.amdhsa_fp16_overflow 0
		.amdhsa_exception_fp_ieee_invalid_op 0
		.amdhsa_exception_fp_denorm_src 0
		.amdhsa_exception_fp_ieee_div_zero 0
		.amdhsa_exception_fp_ieee_overflow 0
		.amdhsa_exception_fp_ieee_underflow 0
		.amdhsa_exception_fp_ieee_inexact 0
		.amdhsa_exception_int_div_zero 0
	.end_amdhsa_kernel
	.section	.text._ZN7rocprim17ROCPRIM_400000_NS6detail17trampoline_kernelINS0_14default_configENS1_32segmented_reduce_config_selectorIN3c104HalfEEEZNS1_21segmented_reduce_implIS3_PKS6_PS6_PKlS6_N6hipcub16HIPCUB_304000_NS6detail27convert_result_type_wrapperISA_SB_N2at6native12_GLOBAL__N_19CustomMaxEEEEE10hipError_tPvRmT0_T1_jT2_SS_T4_T3_P12ihipStream_tbEUlT_E_NS1_11comp_targetILNS1_3genE5ELNS1_11target_archE942ELNS1_3gpuE9ELNS1_3repE0EEENS1_30default_config_static_selectorELNS0_4arch9wavefront6targetE1EEEvSR_,"axG",@progbits,_ZN7rocprim17ROCPRIM_400000_NS6detail17trampoline_kernelINS0_14default_configENS1_32segmented_reduce_config_selectorIN3c104HalfEEEZNS1_21segmented_reduce_implIS3_PKS6_PS6_PKlS6_N6hipcub16HIPCUB_304000_NS6detail27convert_result_type_wrapperISA_SB_N2at6native12_GLOBAL__N_19CustomMaxEEEEE10hipError_tPvRmT0_T1_jT2_SS_T4_T3_P12ihipStream_tbEUlT_E_NS1_11comp_targetILNS1_3genE5ELNS1_11target_archE942ELNS1_3gpuE9ELNS1_3repE0EEENS1_30default_config_static_selectorELNS0_4arch9wavefront6targetE1EEEvSR_,comdat
.Lfunc_end214:
	.size	_ZN7rocprim17ROCPRIM_400000_NS6detail17trampoline_kernelINS0_14default_configENS1_32segmented_reduce_config_selectorIN3c104HalfEEEZNS1_21segmented_reduce_implIS3_PKS6_PS6_PKlS6_N6hipcub16HIPCUB_304000_NS6detail27convert_result_type_wrapperISA_SB_N2at6native12_GLOBAL__N_19CustomMaxEEEEE10hipError_tPvRmT0_T1_jT2_SS_T4_T3_P12ihipStream_tbEUlT_E_NS1_11comp_targetILNS1_3genE5ELNS1_11target_archE942ELNS1_3gpuE9ELNS1_3repE0EEENS1_30default_config_static_selectorELNS0_4arch9wavefront6targetE1EEEvSR_, .Lfunc_end214-_ZN7rocprim17ROCPRIM_400000_NS6detail17trampoline_kernelINS0_14default_configENS1_32segmented_reduce_config_selectorIN3c104HalfEEEZNS1_21segmented_reduce_implIS3_PKS6_PS6_PKlS6_N6hipcub16HIPCUB_304000_NS6detail27convert_result_type_wrapperISA_SB_N2at6native12_GLOBAL__N_19CustomMaxEEEEE10hipError_tPvRmT0_T1_jT2_SS_T4_T3_P12ihipStream_tbEUlT_E_NS1_11comp_targetILNS1_3genE5ELNS1_11target_archE942ELNS1_3gpuE9ELNS1_3repE0EEENS1_30default_config_static_selectorELNS0_4arch9wavefront6targetE1EEEvSR_
                                        ; -- End function
	.set _ZN7rocprim17ROCPRIM_400000_NS6detail17trampoline_kernelINS0_14default_configENS1_32segmented_reduce_config_selectorIN3c104HalfEEEZNS1_21segmented_reduce_implIS3_PKS6_PS6_PKlS6_N6hipcub16HIPCUB_304000_NS6detail27convert_result_type_wrapperISA_SB_N2at6native12_GLOBAL__N_19CustomMaxEEEEE10hipError_tPvRmT0_T1_jT2_SS_T4_T3_P12ihipStream_tbEUlT_E_NS1_11comp_targetILNS1_3genE5ELNS1_11target_archE942ELNS1_3gpuE9ELNS1_3repE0EEENS1_30default_config_static_selectorELNS0_4arch9wavefront6targetE1EEEvSR_.num_vgpr, 0
	.set _ZN7rocprim17ROCPRIM_400000_NS6detail17trampoline_kernelINS0_14default_configENS1_32segmented_reduce_config_selectorIN3c104HalfEEEZNS1_21segmented_reduce_implIS3_PKS6_PS6_PKlS6_N6hipcub16HIPCUB_304000_NS6detail27convert_result_type_wrapperISA_SB_N2at6native12_GLOBAL__N_19CustomMaxEEEEE10hipError_tPvRmT0_T1_jT2_SS_T4_T3_P12ihipStream_tbEUlT_E_NS1_11comp_targetILNS1_3genE5ELNS1_11target_archE942ELNS1_3gpuE9ELNS1_3repE0EEENS1_30default_config_static_selectorELNS0_4arch9wavefront6targetE1EEEvSR_.num_agpr, 0
	.set _ZN7rocprim17ROCPRIM_400000_NS6detail17trampoline_kernelINS0_14default_configENS1_32segmented_reduce_config_selectorIN3c104HalfEEEZNS1_21segmented_reduce_implIS3_PKS6_PS6_PKlS6_N6hipcub16HIPCUB_304000_NS6detail27convert_result_type_wrapperISA_SB_N2at6native12_GLOBAL__N_19CustomMaxEEEEE10hipError_tPvRmT0_T1_jT2_SS_T4_T3_P12ihipStream_tbEUlT_E_NS1_11comp_targetILNS1_3genE5ELNS1_11target_archE942ELNS1_3gpuE9ELNS1_3repE0EEENS1_30default_config_static_selectorELNS0_4arch9wavefront6targetE1EEEvSR_.numbered_sgpr, 0
	.set _ZN7rocprim17ROCPRIM_400000_NS6detail17trampoline_kernelINS0_14default_configENS1_32segmented_reduce_config_selectorIN3c104HalfEEEZNS1_21segmented_reduce_implIS3_PKS6_PS6_PKlS6_N6hipcub16HIPCUB_304000_NS6detail27convert_result_type_wrapperISA_SB_N2at6native12_GLOBAL__N_19CustomMaxEEEEE10hipError_tPvRmT0_T1_jT2_SS_T4_T3_P12ihipStream_tbEUlT_E_NS1_11comp_targetILNS1_3genE5ELNS1_11target_archE942ELNS1_3gpuE9ELNS1_3repE0EEENS1_30default_config_static_selectorELNS0_4arch9wavefront6targetE1EEEvSR_.num_named_barrier, 0
	.set _ZN7rocprim17ROCPRIM_400000_NS6detail17trampoline_kernelINS0_14default_configENS1_32segmented_reduce_config_selectorIN3c104HalfEEEZNS1_21segmented_reduce_implIS3_PKS6_PS6_PKlS6_N6hipcub16HIPCUB_304000_NS6detail27convert_result_type_wrapperISA_SB_N2at6native12_GLOBAL__N_19CustomMaxEEEEE10hipError_tPvRmT0_T1_jT2_SS_T4_T3_P12ihipStream_tbEUlT_E_NS1_11comp_targetILNS1_3genE5ELNS1_11target_archE942ELNS1_3gpuE9ELNS1_3repE0EEENS1_30default_config_static_selectorELNS0_4arch9wavefront6targetE1EEEvSR_.private_seg_size, 0
	.set _ZN7rocprim17ROCPRIM_400000_NS6detail17trampoline_kernelINS0_14default_configENS1_32segmented_reduce_config_selectorIN3c104HalfEEEZNS1_21segmented_reduce_implIS3_PKS6_PS6_PKlS6_N6hipcub16HIPCUB_304000_NS6detail27convert_result_type_wrapperISA_SB_N2at6native12_GLOBAL__N_19CustomMaxEEEEE10hipError_tPvRmT0_T1_jT2_SS_T4_T3_P12ihipStream_tbEUlT_E_NS1_11comp_targetILNS1_3genE5ELNS1_11target_archE942ELNS1_3gpuE9ELNS1_3repE0EEENS1_30default_config_static_selectorELNS0_4arch9wavefront6targetE1EEEvSR_.uses_vcc, 0
	.set _ZN7rocprim17ROCPRIM_400000_NS6detail17trampoline_kernelINS0_14default_configENS1_32segmented_reduce_config_selectorIN3c104HalfEEEZNS1_21segmented_reduce_implIS3_PKS6_PS6_PKlS6_N6hipcub16HIPCUB_304000_NS6detail27convert_result_type_wrapperISA_SB_N2at6native12_GLOBAL__N_19CustomMaxEEEEE10hipError_tPvRmT0_T1_jT2_SS_T4_T3_P12ihipStream_tbEUlT_E_NS1_11comp_targetILNS1_3genE5ELNS1_11target_archE942ELNS1_3gpuE9ELNS1_3repE0EEENS1_30default_config_static_selectorELNS0_4arch9wavefront6targetE1EEEvSR_.uses_flat_scratch, 0
	.set _ZN7rocprim17ROCPRIM_400000_NS6detail17trampoline_kernelINS0_14default_configENS1_32segmented_reduce_config_selectorIN3c104HalfEEEZNS1_21segmented_reduce_implIS3_PKS6_PS6_PKlS6_N6hipcub16HIPCUB_304000_NS6detail27convert_result_type_wrapperISA_SB_N2at6native12_GLOBAL__N_19CustomMaxEEEEE10hipError_tPvRmT0_T1_jT2_SS_T4_T3_P12ihipStream_tbEUlT_E_NS1_11comp_targetILNS1_3genE5ELNS1_11target_archE942ELNS1_3gpuE9ELNS1_3repE0EEENS1_30default_config_static_selectorELNS0_4arch9wavefront6targetE1EEEvSR_.has_dyn_sized_stack, 0
	.set _ZN7rocprim17ROCPRIM_400000_NS6detail17trampoline_kernelINS0_14default_configENS1_32segmented_reduce_config_selectorIN3c104HalfEEEZNS1_21segmented_reduce_implIS3_PKS6_PS6_PKlS6_N6hipcub16HIPCUB_304000_NS6detail27convert_result_type_wrapperISA_SB_N2at6native12_GLOBAL__N_19CustomMaxEEEEE10hipError_tPvRmT0_T1_jT2_SS_T4_T3_P12ihipStream_tbEUlT_E_NS1_11comp_targetILNS1_3genE5ELNS1_11target_archE942ELNS1_3gpuE9ELNS1_3repE0EEENS1_30default_config_static_selectorELNS0_4arch9wavefront6targetE1EEEvSR_.has_recursion, 0
	.set _ZN7rocprim17ROCPRIM_400000_NS6detail17trampoline_kernelINS0_14default_configENS1_32segmented_reduce_config_selectorIN3c104HalfEEEZNS1_21segmented_reduce_implIS3_PKS6_PS6_PKlS6_N6hipcub16HIPCUB_304000_NS6detail27convert_result_type_wrapperISA_SB_N2at6native12_GLOBAL__N_19CustomMaxEEEEE10hipError_tPvRmT0_T1_jT2_SS_T4_T3_P12ihipStream_tbEUlT_E_NS1_11comp_targetILNS1_3genE5ELNS1_11target_archE942ELNS1_3gpuE9ELNS1_3repE0EEENS1_30default_config_static_selectorELNS0_4arch9wavefront6targetE1EEEvSR_.has_indirect_call, 0
	.section	.AMDGPU.csdata,"",@progbits
; Kernel info:
; codeLenInByte = 0
; TotalNumSgprs: 4
; NumVgprs: 0
; ScratchSize: 0
; MemoryBound: 0
; FloatMode: 240
; IeeeMode: 1
; LDSByteSize: 0 bytes/workgroup (compile time only)
; SGPRBlocks: 0
; VGPRBlocks: 0
; NumSGPRsForWavesPerEU: 4
; NumVGPRsForWavesPerEU: 1
; Occupancy: 10
; WaveLimiterHint : 0
; COMPUTE_PGM_RSRC2:SCRATCH_EN: 0
; COMPUTE_PGM_RSRC2:USER_SGPR: 6
; COMPUTE_PGM_RSRC2:TRAP_HANDLER: 0
; COMPUTE_PGM_RSRC2:TGID_X_EN: 1
; COMPUTE_PGM_RSRC2:TGID_Y_EN: 0
; COMPUTE_PGM_RSRC2:TGID_Z_EN: 0
; COMPUTE_PGM_RSRC2:TIDIG_COMP_CNT: 0
	.section	.text._ZN7rocprim17ROCPRIM_400000_NS6detail17trampoline_kernelINS0_14default_configENS1_32segmented_reduce_config_selectorIN3c104HalfEEEZNS1_21segmented_reduce_implIS3_PKS6_PS6_PKlS6_N6hipcub16HIPCUB_304000_NS6detail27convert_result_type_wrapperISA_SB_N2at6native12_GLOBAL__N_19CustomMaxEEEEE10hipError_tPvRmT0_T1_jT2_SS_T4_T3_P12ihipStream_tbEUlT_E_NS1_11comp_targetILNS1_3genE10ELNS1_11target_archE1201ELNS1_3gpuE5ELNS1_3repE0EEENS1_30default_config_static_selectorELNS0_4arch9wavefront6targetE1EEEvSR_,"axG",@progbits,_ZN7rocprim17ROCPRIM_400000_NS6detail17trampoline_kernelINS0_14default_configENS1_32segmented_reduce_config_selectorIN3c104HalfEEEZNS1_21segmented_reduce_implIS3_PKS6_PS6_PKlS6_N6hipcub16HIPCUB_304000_NS6detail27convert_result_type_wrapperISA_SB_N2at6native12_GLOBAL__N_19CustomMaxEEEEE10hipError_tPvRmT0_T1_jT2_SS_T4_T3_P12ihipStream_tbEUlT_E_NS1_11comp_targetILNS1_3genE10ELNS1_11target_archE1201ELNS1_3gpuE5ELNS1_3repE0EEENS1_30default_config_static_selectorELNS0_4arch9wavefront6targetE1EEEvSR_,comdat
	.globl	_ZN7rocprim17ROCPRIM_400000_NS6detail17trampoline_kernelINS0_14default_configENS1_32segmented_reduce_config_selectorIN3c104HalfEEEZNS1_21segmented_reduce_implIS3_PKS6_PS6_PKlS6_N6hipcub16HIPCUB_304000_NS6detail27convert_result_type_wrapperISA_SB_N2at6native12_GLOBAL__N_19CustomMaxEEEEE10hipError_tPvRmT0_T1_jT2_SS_T4_T3_P12ihipStream_tbEUlT_E_NS1_11comp_targetILNS1_3genE10ELNS1_11target_archE1201ELNS1_3gpuE5ELNS1_3repE0EEENS1_30default_config_static_selectorELNS0_4arch9wavefront6targetE1EEEvSR_ ; -- Begin function _ZN7rocprim17ROCPRIM_400000_NS6detail17trampoline_kernelINS0_14default_configENS1_32segmented_reduce_config_selectorIN3c104HalfEEEZNS1_21segmented_reduce_implIS3_PKS6_PS6_PKlS6_N6hipcub16HIPCUB_304000_NS6detail27convert_result_type_wrapperISA_SB_N2at6native12_GLOBAL__N_19CustomMaxEEEEE10hipError_tPvRmT0_T1_jT2_SS_T4_T3_P12ihipStream_tbEUlT_E_NS1_11comp_targetILNS1_3genE10ELNS1_11target_archE1201ELNS1_3gpuE5ELNS1_3repE0EEENS1_30default_config_static_selectorELNS0_4arch9wavefront6targetE1EEEvSR_
	.p2align	8
	.type	_ZN7rocprim17ROCPRIM_400000_NS6detail17trampoline_kernelINS0_14default_configENS1_32segmented_reduce_config_selectorIN3c104HalfEEEZNS1_21segmented_reduce_implIS3_PKS6_PS6_PKlS6_N6hipcub16HIPCUB_304000_NS6detail27convert_result_type_wrapperISA_SB_N2at6native12_GLOBAL__N_19CustomMaxEEEEE10hipError_tPvRmT0_T1_jT2_SS_T4_T3_P12ihipStream_tbEUlT_E_NS1_11comp_targetILNS1_3genE10ELNS1_11target_archE1201ELNS1_3gpuE5ELNS1_3repE0EEENS1_30default_config_static_selectorELNS0_4arch9wavefront6targetE1EEEvSR_,@function
_ZN7rocprim17ROCPRIM_400000_NS6detail17trampoline_kernelINS0_14default_configENS1_32segmented_reduce_config_selectorIN3c104HalfEEEZNS1_21segmented_reduce_implIS3_PKS6_PS6_PKlS6_N6hipcub16HIPCUB_304000_NS6detail27convert_result_type_wrapperISA_SB_N2at6native12_GLOBAL__N_19CustomMaxEEEEE10hipError_tPvRmT0_T1_jT2_SS_T4_T3_P12ihipStream_tbEUlT_E_NS1_11comp_targetILNS1_3genE10ELNS1_11target_archE1201ELNS1_3gpuE5ELNS1_3repE0EEENS1_30default_config_static_selectorELNS0_4arch9wavefront6targetE1EEEvSR_: ; @_ZN7rocprim17ROCPRIM_400000_NS6detail17trampoline_kernelINS0_14default_configENS1_32segmented_reduce_config_selectorIN3c104HalfEEEZNS1_21segmented_reduce_implIS3_PKS6_PS6_PKlS6_N6hipcub16HIPCUB_304000_NS6detail27convert_result_type_wrapperISA_SB_N2at6native12_GLOBAL__N_19CustomMaxEEEEE10hipError_tPvRmT0_T1_jT2_SS_T4_T3_P12ihipStream_tbEUlT_E_NS1_11comp_targetILNS1_3genE10ELNS1_11target_archE1201ELNS1_3gpuE5ELNS1_3repE0EEENS1_30default_config_static_selectorELNS0_4arch9wavefront6targetE1EEEvSR_
; %bb.0:
	.section	.rodata,"a",@progbits
	.p2align	6, 0x0
	.amdhsa_kernel _ZN7rocprim17ROCPRIM_400000_NS6detail17trampoline_kernelINS0_14default_configENS1_32segmented_reduce_config_selectorIN3c104HalfEEEZNS1_21segmented_reduce_implIS3_PKS6_PS6_PKlS6_N6hipcub16HIPCUB_304000_NS6detail27convert_result_type_wrapperISA_SB_N2at6native12_GLOBAL__N_19CustomMaxEEEEE10hipError_tPvRmT0_T1_jT2_SS_T4_T3_P12ihipStream_tbEUlT_E_NS1_11comp_targetILNS1_3genE10ELNS1_11target_archE1201ELNS1_3gpuE5ELNS1_3repE0EEENS1_30default_config_static_selectorELNS0_4arch9wavefront6targetE1EEEvSR_
		.amdhsa_group_segment_fixed_size 0
		.amdhsa_private_segment_fixed_size 0
		.amdhsa_kernarg_size 48
		.amdhsa_user_sgpr_count 6
		.amdhsa_user_sgpr_private_segment_buffer 1
		.amdhsa_user_sgpr_dispatch_ptr 0
		.amdhsa_user_sgpr_queue_ptr 0
		.amdhsa_user_sgpr_kernarg_segment_ptr 1
		.amdhsa_user_sgpr_dispatch_id 0
		.amdhsa_user_sgpr_flat_scratch_init 0
		.amdhsa_user_sgpr_private_segment_size 0
		.amdhsa_uses_dynamic_stack 0
		.amdhsa_system_sgpr_private_segment_wavefront_offset 0
		.amdhsa_system_sgpr_workgroup_id_x 1
		.amdhsa_system_sgpr_workgroup_id_y 0
		.amdhsa_system_sgpr_workgroup_id_z 0
		.amdhsa_system_sgpr_workgroup_info 0
		.amdhsa_system_vgpr_workitem_id 0
		.amdhsa_next_free_vgpr 1
		.amdhsa_next_free_sgpr 0
		.amdhsa_reserve_vcc 0
		.amdhsa_reserve_flat_scratch 0
		.amdhsa_float_round_mode_32 0
		.amdhsa_float_round_mode_16_64 0
		.amdhsa_float_denorm_mode_32 3
		.amdhsa_float_denorm_mode_16_64 3
		.amdhsa_dx10_clamp 1
		.amdhsa_ieee_mode 1
		.amdhsa_fp16_overflow 0
		.amdhsa_exception_fp_ieee_invalid_op 0
		.amdhsa_exception_fp_denorm_src 0
		.amdhsa_exception_fp_ieee_div_zero 0
		.amdhsa_exception_fp_ieee_overflow 0
		.amdhsa_exception_fp_ieee_underflow 0
		.amdhsa_exception_fp_ieee_inexact 0
		.amdhsa_exception_int_div_zero 0
	.end_amdhsa_kernel
	.section	.text._ZN7rocprim17ROCPRIM_400000_NS6detail17trampoline_kernelINS0_14default_configENS1_32segmented_reduce_config_selectorIN3c104HalfEEEZNS1_21segmented_reduce_implIS3_PKS6_PS6_PKlS6_N6hipcub16HIPCUB_304000_NS6detail27convert_result_type_wrapperISA_SB_N2at6native12_GLOBAL__N_19CustomMaxEEEEE10hipError_tPvRmT0_T1_jT2_SS_T4_T3_P12ihipStream_tbEUlT_E_NS1_11comp_targetILNS1_3genE10ELNS1_11target_archE1201ELNS1_3gpuE5ELNS1_3repE0EEENS1_30default_config_static_selectorELNS0_4arch9wavefront6targetE1EEEvSR_,"axG",@progbits,_ZN7rocprim17ROCPRIM_400000_NS6detail17trampoline_kernelINS0_14default_configENS1_32segmented_reduce_config_selectorIN3c104HalfEEEZNS1_21segmented_reduce_implIS3_PKS6_PS6_PKlS6_N6hipcub16HIPCUB_304000_NS6detail27convert_result_type_wrapperISA_SB_N2at6native12_GLOBAL__N_19CustomMaxEEEEE10hipError_tPvRmT0_T1_jT2_SS_T4_T3_P12ihipStream_tbEUlT_E_NS1_11comp_targetILNS1_3genE10ELNS1_11target_archE1201ELNS1_3gpuE5ELNS1_3repE0EEENS1_30default_config_static_selectorELNS0_4arch9wavefront6targetE1EEEvSR_,comdat
.Lfunc_end215:
	.size	_ZN7rocprim17ROCPRIM_400000_NS6detail17trampoline_kernelINS0_14default_configENS1_32segmented_reduce_config_selectorIN3c104HalfEEEZNS1_21segmented_reduce_implIS3_PKS6_PS6_PKlS6_N6hipcub16HIPCUB_304000_NS6detail27convert_result_type_wrapperISA_SB_N2at6native12_GLOBAL__N_19CustomMaxEEEEE10hipError_tPvRmT0_T1_jT2_SS_T4_T3_P12ihipStream_tbEUlT_E_NS1_11comp_targetILNS1_3genE10ELNS1_11target_archE1201ELNS1_3gpuE5ELNS1_3repE0EEENS1_30default_config_static_selectorELNS0_4arch9wavefront6targetE1EEEvSR_, .Lfunc_end215-_ZN7rocprim17ROCPRIM_400000_NS6detail17trampoline_kernelINS0_14default_configENS1_32segmented_reduce_config_selectorIN3c104HalfEEEZNS1_21segmented_reduce_implIS3_PKS6_PS6_PKlS6_N6hipcub16HIPCUB_304000_NS6detail27convert_result_type_wrapperISA_SB_N2at6native12_GLOBAL__N_19CustomMaxEEEEE10hipError_tPvRmT0_T1_jT2_SS_T4_T3_P12ihipStream_tbEUlT_E_NS1_11comp_targetILNS1_3genE10ELNS1_11target_archE1201ELNS1_3gpuE5ELNS1_3repE0EEENS1_30default_config_static_selectorELNS0_4arch9wavefront6targetE1EEEvSR_
                                        ; -- End function
	.set _ZN7rocprim17ROCPRIM_400000_NS6detail17trampoline_kernelINS0_14default_configENS1_32segmented_reduce_config_selectorIN3c104HalfEEEZNS1_21segmented_reduce_implIS3_PKS6_PS6_PKlS6_N6hipcub16HIPCUB_304000_NS6detail27convert_result_type_wrapperISA_SB_N2at6native12_GLOBAL__N_19CustomMaxEEEEE10hipError_tPvRmT0_T1_jT2_SS_T4_T3_P12ihipStream_tbEUlT_E_NS1_11comp_targetILNS1_3genE10ELNS1_11target_archE1201ELNS1_3gpuE5ELNS1_3repE0EEENS1_30default_config_static_selectorELNS0_4arch9wavefront6targetE1EEEvSR_.num_vgpr, 0
	.set _ZN7rocprim17ROCPRIM_400000_NS6detail17trampoline_kernelINS0_14default_configENS1_32segmented_reduce_config_selectorIN3c104HalfEEEZNS1_21segmented_reduce_implIS3_PKS6_PS6_PKlS6_N6hipcub16HIPCUB_304000_NS6detail27convert_result_type_wrapperISA_SB_N2at6native12_GLOBAL__N_19CustomMaxEEEEE10hipError_tPvRmT0_T1_jT2_SS_T4_T3_P12ihipStream_tbEUlT_E_NS1_11comp_targetILNS1_3genE10ELNS1_11target_archE1201ELNS1_3gpuE5ELNS1_3repE0EEENS1_30default_config_static_selectorELNS0_4arch9wavefront6targetE1EEEvSR_.num_agpr, 0
	.set _ZN7rocprim17ROCPRIM_400000_NS6detail17trampoline_kernelINS0_14default_configENS1_32segmented_reduce_config_selectorIN3c104HalfEEEZNS1_21segmented_reduce_implIS3_PKS6_PS6_PKlS6_N6hipcub16HIPCUB_304000_NS6detail27convert_result_type_wrapperISA_SB_N2at6native12_GLOBAL__N_19CustomMaxEEEEE10hipError_tPvRmT0_T1_jT2_SS_T4_T3_P12ihipStream_tbEUlT_E_NS1_11comp_targetILNS1_3genE10ELNS1_11target_archE1201ELNS1_3gpuE5ELNS1_3repE0EEENS1_30default_config_static_selectorELNS0_4arch9wavefront6targetE1EEEvSR_.numbered_sgpr, 0
	.set _ZN7rocprim17ROCPRIM_400000_NS6detail17trampoline_kernelINS0_14default_configENS1_32segmented_reduce_config_selectorIN3c104HalfEEEZNS1_21segmented_reduce_implIS3_PKS6_PS6_PKlS6_N6hipcub16HIPCUB_304000_NS6detail27convert_result_type_wrapperISA_SB_N2at6native12_GLOBAL__N_19CustomMaxEEEEE10hipError_tPvRmT0_T1_jT2_SS_T4_T3_P12ihipStream_tbEUlT_E_NS1_11comp_targetILNS1_3genE10ELNS1_11target_archE1201ELNS1_3gpuE5ELNS1_3repE0EEENS1_30default_config_static_selectorELNS0_4arch9wavefront6targetE1EEEvSR_.num_named_barrier, 0
	.set _ZN7rocprim17ROCPRIM_400000_NS6detail17trampoline_kernelINS0_14default_configENS1_32segmented_reduce_config_selectorIN3c104HalfEEEZNS1_21segmented_reduce_implIS3_PKS6_PS6_PKlS6_N6hipcub16HIPCUB_304000_NS6detail27convert_result_type_wrapperISA_SB_N2at6native12_GLOBAL__N_19CustomMaxEEEEE10hipError_tPvRmT0_T1_jT2_SS_T4_T3_P12ihipStream_tbEUlT_E_NS1_11comp_targetILNS1_3genE10ELNS1_11target_archE1201ELNS1_3gpuE5ELNS1_3repE0EEENS1_30default_config_static_selectorELNS0_4arch9wavefront6targetE1EEEvSR_.private_seg_size, 0
	.set _ZN7rocprim17ROCPRIM_400000_NS6detail17trampoline_kernelINS0_14default_configENS1_32segmented_reduce_config_selectorIN3c104HalfEEEZNS1_21segmented_reduce_implIS3_PKS6_PS6_PKlS6_N6hipcub16HIPCUB_304000_NS6detail27convert_result_type_wrapperISA_SB_N2at6native12_GLOBAL__N_19CustomMaxEEEEE10hipError_tPvRmT0_T1_jT2_SS_T4_T3_P12ihipStream_tbEUlT_E_NS1_11comp_targetILNS1_3genE10ELNS1_11target_archE1201ELNS1_3gpuE5ELNS1_3repE0EEENS1_30default_config_static_selectorELNS0_4arch9wavefront6targetE1EEEvSR_.uses_vcc, 0
	.set _ZN7rocprim17ROCPRIM_400000_NS6detail17trampoline_kernelINS0_14default_configENS1_32segmented_reduce_config_selectorIN3c104HalfEEEZNS1_21segmented_reduce_implIS3_PKS6_PS6_PKlS6_N6hipcub16HIPCUB_304000_NS6detail27convert_result_type_wrapperISA_SB_N2at6native12_GLOBAL__N_19CustomMaxEEEEE10hipError_tPvRmT0_T1_jT2_SS_T4_T3_P12ihipStream_tbEUlT_E_NS1_11comp_targetILNS1_3genE10ELNS1_11target_archE1201ELNS1_3gpuE5ELNS1_3repE0EEENS1_30default_config_static_selectorELNS0_4arch9wavefront6targetE1EEEvSR_.uses_flat_scratch, 0
	.set _ZN7rocprim17ROCPRIM_400000_NS6detail17trampoline_kernelINS0_14default_configENS1_32segmented_reduce_config_selectorIN3c104HalfEEEZNS1_21segmented_reduce_implIS3_PKS6_PS6_PKlS6_N6hipcub16HIPCUB_304000_NS6detail27convert_result_type_wrapperISA_SB_N2at6native12_GLOBAL__N_19CustomMaxEEEEE10hipError_tPvRmT0_T1_jT2_SS_T4_T3_P12ihipStream_tbEUlT_E_NS1_11comp_targetILNS1_3genE10ELNS1_11target_archE1201ELNS1_3gpuE5ELNS1_3repE0EEENS1_30default_config_static_selectorELNS0_4arch9wavefront6targetE1EEEvSR_.has_dyn_sized_stack, 0
	.set _ZN7rocprim17ROCPRIM_400000_NS6detail17trampoline_kernelINS0_14default_configENS1_32segmented_reduce_config_selectorIN3c104HalfEEEZNS1_21segmented_reduce_implIS3_PKS6_PS6_PKlS6_N6hipcub16HIPCUB_304000_NS6detail27convert_result_type_wrapperISA_SB_N2at6native12_GLOBAL__N_19CustomMaxEEEEE10hipError_tPvRmT0_T1_jT2_SS_T4_T3_P12ihipStream_tbEUlT_E_NS1_11comp_targetILNS1_3genE10ELNS1_11target_archE1201ELNS1_3gpuE5ELNS1_3repE0EEENS1_30default_config_static_selectorELNS0_4arch9wavefront6targetE1EEEvSR_.has_recursion, 0
	.set _ZN7rocprim17ROCPRIM_400000_NS6detail17trampoline_kernelINS0_14default_configENS1_32segmented_reduce_config_selectorIN3c104HalfEEEZNS1_21segmented_reduce_implIS3_PKS6_PS6_PKlS6_N6hipcub16HIPCUB_304000_NS6detail27convert_result_type_wrapperISA_SB_N2at6native12_GLOBAL__N_19CustomMaxEEEEE10hipError_tPvRmT0_T1_jT2_SS_T4_T3_P12ihipStream_tbEUlT_E_NS1_11comp_targetILNS1_3genE10ELNS1_11target_archE1201ELNS1_3gpuE5ELNS1_3repE0EEENS1_30default_config_static_selectorELNS0_4arch9wavefront6targetE1EEEvSR_.has_indirect_call, 0
	.section	.AMDGPU.csdata,"",@progbits
; Kernel info:
; codeLenInByte = 0
; TotalNumSgprs: 4
; NumVgprs: 0
; ScratchSize: 0
; MemoryBound: 0
; FloatMode: 240
; IeeeMode: 1
; LDSByteSize: 0 bytes/workgroup (compile time only)
; SGPRBlocks: 0
; VGPRBlocks: 0
; NumSGPRsForWavesPerEU: 4
; NumVGPRsForWavesPerEU: 1
; Occupancy: 10
; WaveLimiterHint : 0
; COMPUTE_PGM_RSRC2:SCRATCH_EN: 0
; COMPUTE_PGM_RSRC2:USER_SGPR: 6
; COMPUTE_PGM_RSRC2:TRAP_HANDLER: 0
; COMPUTE_PGM_RSRC2:TGID_X_EN: 1
; COMPUTE_PGM_RSRC2:TGID_Y_EN: 0
; COMPUTE_PGM_RSRC2:TGID_Z_EN: 0
; COMPUTE_PGM_RSRC2:TIDIG_COMP_CNT: 0
	.section	.text._ZN7rocprim17ROCPRIM_400000_NS6detail17trampoline_kernelINS0_14default_configENS1_32segmented_reduce_config_selectorIN3c104HalfEEEZNS1_21segmented_reduce_implIS3_PKS6_PS6_PKlS6_N6hipcub16HIPCUB_304000_NS6detail27convert_result_type_wrapperISA_SB_N2at6native12_GLOBAL__N_19CustomMaxEEEEE10hipError_tPvRmT0_T1_jT2_SS_T4_T3_P12ihipStream_tbEUlT_E_NS1_11comp_targetILNS1_3genE4ELNS1_11target_archE910ELNS1_3gpuE8ELNS1_3repE0EEENS1_30default_config_static_selectorELNS0_4arch9wavefront6targetE1EEEvSR_,"axG",@progbits,_ZN7rocprim17ROCPRIM_400000_NS6detail17trampoline_kernelINS0_14default_configENS1_32segmented_reduce_config_selectorIN3c104HalfEEEZNS1_21segmented_reduce_implIS3_PKS6_PS6_PKlS6_N6hipcub16HIPCUB_304000_NS6detail27convert_result_type_wrapperISA_SB_N2at6native12_GLOBAL__N_19CustomMaxEEEEE10hipError_tPvRmT0_T1_jT2_SS_T4_T3_P12ihipStream_tbEUlT_E_NS1_11comp_targetILNS1_3genE4ELNS1_11target_archE910ELNS1_3gpuE8ELNS1_3repE0EEENS1_30default_config_static_selectorELNS0_4arch9wavefront6targetE1EEEvSR_,comdat
	.globl	_ZN7rocprim17ROCPRIM_400000_NS6detail17trampoline_kernelINS0_14default_configENS1_32segmented_reduce_config_selectorIN3c104HalfEEEZNS1_21segmented_reduce_implIS3_PKS6_PS6_PKlS6_N6hipcub16HIPCUB_304000_NS6detail27convert_result_type_wrapperISA_SB_N2at6native12_GLOBAL__N_19CustomMaxEEEEE10hipError_tPvRmT0_T1_jT2_SS_T4_T3_P12ihipStream_tbEUlT_E_NS1_11comp_targetILNS1_3genE4ELNS1_11target_archE910ELNS1_3gpuE8ELNS1_3repE0EEENS1_30default_config_static_selectorELNS0_4arch9wavefront6targetE1EEEvSR_ ; -- Begin function _ZN7rocprim17ROCPRIM_400000_NS6detail17trampoline_kernelINS0_14default_configENS1_32segmented_reduce_config_selectorIN3c104HalfEEEZNS1_21segmented_reduce_implIS3_PKS6_PS6_PKlS6_N6hipcub16HIPCUB_304000_NS6detail27convert_result_type_wrapperISA_SB_N2at6native12_GLOBAL__N_19CustomMaxEEEEE10hipError_tPvRmT0_T1_jT2_SS_T4_T3_P12ihipStream_tbEUlT_E_NS1_11comp_targetILNS1_3genE4ELNS1_11target_archE910ELNS1_3gpuE8ELNS1_3repE0EEENS1_30default_config_static_selectorELNS0_4arch9wavefront6targetE1EEEvSR_
	.p2align	8
	.type	_ZN7rocprim17ROCPRIM_400000_NS6detail17trampoline_kernelINS0_14default_configENS1_32segmented_reduce_config_selectorIN3c104HalfEEEZNS1_21segmented_reduce_implIS3_PKS6_PS6_PKlS6_N6hipcub16HIPCUB_304000_NS6detail27convert_result_type_wrapperISA_SB_N2at6native12_GLOBAL__N_19CustomMaxEEEEE10hipError_tPvRmT0_T1_jT2_SS_T4_T3_P12ihipStream_tbEUlT_E_NS1_11comp_targetILNS1_3genE4ELNS1_11target_archE910ELNS1_3gpuE8ELNS1_3repE0EEENS1_30default_config_static_selectorELNS0_4arch9wavefront6targetE1EEEvSR_,@function
_ZN7rocprim17ROCPRIM_400000_NS6detail17trampoline_kernelINS0_14default_configENS1_32segmented_reduce_config_selectorIN3c104HalfEEEZNS1_21segmented_reduce_implIS3_PKS6_PS6_PKlS6_N6hipcub16HIPCUB_304000_NS6detail27convert_result_type_wrapperISA_SB_N2at6native12_GLOBAL__N_19CustomMaxEEEEE10hipError_tPvRmT0_T1_jT2_SS_T4_T3_P12ihipStream_tbEUlT_E_NS1_11comp_targetILNS1_3genE4ELNS1_11target_archE910ELNS1_3gpuE8ELNS1_3repE0EEENS1_30default_config_static_selectorELNS0_4arch9wavefront6targetE1EEEvSR_: ; @_ZN7rocprim17ROCPRIM_400000_NS6detail17trampoline_kernelINS0_14default_configENS1_32segmented_reduce_config_selectorIN3c104HalfEEEZNS1_21segmented_reduce_implIS3_PKS6_PS6_PKlS6_N6hipcub16HIPCUB_304000_NS6detail27convert_result_type_wrapperISA_SB_N2at6native12_GLOBAL__N_19CustomMaxEEEEE10hipError_tPvRmT0_T1_jT2_SS_T4_T3_P12ihipStream_tbEUlT_E_NS1_11comp_targetILNS1_3genE4ELNS1_11target_archE910ELNS1_3gpuE8ELNS1_3repE0EEENS1_30default_config_static_selectorELNS0_4arch9wavefront6targetE1EEEvSR_
; %bb.0:
	.section	.rodata,"a",@progbits
	.p2align	6, 0x0
	.amdhsa_kernel _ZN7rocprim17ROCPRIM_400000_NS6detail17trampoline_kernelINS0_14default_configENS1_32segmented_reduce_config_selectorIN3c104HalfEEEZNS1_21segmented_reduce_implIS3_PKS6_PS6_PKlS6_N6hipcub16HIPCUB_304000_NS6detail27convert_result_type_wrapperISA_SB_N2at6native12_GLOBAL__N_19CustomMaxEEEEE10hipError_tPvRmT0_T1_jT2_SS_T4_T3_P12ihipStream_tbEUlT_E_NS1_11comp_targetILNS1_3genE4ELNS1_11target_archE910ELNS1_3gpuE8ELNS1_3repE0EEENS1_30default_config_static_selectorELNS0_4arch9wavefront6targetE1EEEvSR_
		.amdhsa_group_segment_fixed_size 0
		.amdhsa_private_segment_fixed_size 0
		.amdhsa_kernarg_size 48
		.amdhsa_user_sgpr_count 6
		.amdhsa_user_sgpr_private_segment_buffer 1
		.amdhsa_user_sgpr_dispatch_ptr 0
		.amdhsa_user_sgpr_queue_ptr 0
		.amdhsa_user_sgpr_kernarg_segment_ptr 1
		.amdhsa_user_sgpr_dispatch_id 0
		.amdhsa_user_sgpr_flat_scratch_init 0
		.amdhsa_user_sgpr_private_segment_size 0
		.amdhsa_uses_dynamic_stack 0
		.amdhsa_system_sgpr_private_segment_wavefront_offset 0
		.amdhsa_system_sgpr_workgroup_id_x 1
		.amdhsa_system_sgpr_workgroup_id_y 0
		.amdhsa_system_sgpr_workgroup_id_z 0
		.amdhsa_system_sgpr_workgroup_info 0
		.amdhsa_system_vgpr_workitem_id 0
		.amdhsa_next_free_vgpr 1
		.amdhsa_next_free_sgpr 0
		.amdhsa_reserve_vcc 0
		.amdhsa_reserve_flat_scratch 0
		.amdhsa_float_round_mode_32 0
		.amdhsa_float_round_mode_16_64 0
		.amdhsa_float_denorm_mode_32 3
		.amdhsa_float_denorm_mode_16_64 3
		.amdhsa_dx10_clamp 1
		.amdhsa_ieee_mode 1
		.amdhsa_fp16_overflow 0
		.amdhsa_exception_fp_ieee_invalid_op 0
		.amdhsa_exception_fp_denorm_src 0
		.amdhsa_exception_fp_ieee_div_zero 0
		.amdhsa_exception_fp_ieee_overflow 0
		.amdhsa_exception_fp_ieee_underflow 0
		.amdhsa_exception_fp_ieee_inexact 0
		.amdhsa_exception_int_div_zero 0
	.end_amdhsa_kernel
	.section	.text._ZN7rocprim17ROCPRIM_400000_NS6detail17trampoline_kernelINS0_14default_configENS1_32segmented_reduce_config_selectorIN3c104HalfEEEZNS1_21segmented_reduce_implIS3_PKS6_PS6_PKlS6_N6hipcub16HIPCUB_304000_NS6detail27convert_result_type_wrapperISA_SB_N2at6native12_GLOBAL__N_19CustomMaxEEEEE10hipError_tPvRmT0_T1_jT2_SS_T4_T3_P12ihipStream_tbEUlT_E_NS1_11comp_targetILNS1_3genE4ELNS1_11target_archE910ELNS1_3gpuE8ELNS1_3repE0EEENS1_30default_config_static_selectorELNS0_4arch9wavefront6targetE1EEEvSR_,"axG",@progbits,_ZN7rocprim17ROCPRIM_400000_NS6detail17trampoline_kernelINS0_14default_configENS1_32segmented_reduce_config_selectorIN3c104HalfEEEZNS1_21segmented_reduce_implIS3_PKS6_PS6_PKlS6_N6hipcub16HIPCUB_304000_NS6detail27convert_result_type_wrapperISA_SB_N2at6native12_GLOBAL__N_19CustomMaxEEEEE10hipError_tPvRmT0_T1_jT2_SS_T4_T3_P12ihipStream_tbEUlT_E_NS1_11comp_targetILNS1_3genE4ELNS1_11target_archE910ELNS1_3gpuE8ELNS1_3repE0EEENS1_30default_config_static_selectorELNS0_4arch9wavefront6targetE1EEEvSR_,comdat
.Lfunc_end216:
	.size	_ZN7rocprim17ROCPRIM_400000_NS6detail17trampoline_kernelINS0_14default_configENS1_32segmented_reduce_config_selectorIN3c104HalfEEEZNS1_21segmented_reduce_implIS3_PKS6_PS6_PKlS6_N6hipcub16HIPCUB_304000_NS6detail27convert_result_type_wrapperISA_SB_N2at6native12_GLOBAL__N_19CustomMaxEEEEE10hipError_tPvRmT0_T1_jT2_SS_T4_T3_P12ihipStream_tbEUlT_E_NS1_11comp_targetILNS1_3genE4ELNS1_11target_archE910ELNS1_3gpuE8ELNS1_3repE0EEENS1_30default_config_static_selectorELNS0_4arch9wavefront6targetE1EEEvSR_, .Lfunc_end216-_ZN7rocprim17ROCPRIM_400000_NS6detail17trampoline_kernelINS0_14default_configENS1_32segmented_reduce_config_selectorIN3c104HalfEEEZNS1_21segmented_reduce_implIS3_PKS6_PS6_PKlS6_N6hipcub16HIPCUB_304000_NS6detail27convert_result_type_wrapperISA_SB_N2at6native12_GLOBAL__N_19CustomMaxEEEEE10hipError_tPvRmT0_T1_jT2_SS_T4_T3_P12ihipStream_tbEUlT_E_NS1_11comp_targetILNS1_3genE4ELNS1_11target_archE910ELNS1_3gpuE8ELNS1_3repE0EEENS1_30default_config_static_selectorELNS0_4arch9wavefront6targetE1EEEvSR_
                                        ; -- End function
	.set _ZN7rocprim17ROCPRIM_400000_NS6detail17trampoline_kernelINS0_14default_configENS1_32segmented_reduce_config_selectorIN3c104HalfEEEZNS1_21segmented_reduce_implIS3_PKS6_PS6_PKlS6_N6hipcub16HIPCUB_304000_NS6detail27convert_result_type_wrapperISA_SB_N2at6native12_GLOBAL__N_19CustomMaxEEEEE10hipError_tPvRmT0_T1_jT2_SS_T4_T3_P12ihipStream_tbEUlT_E_NS1_11comp_targetILNS1_3genE4ELNS1_11target_archE910ELNS1_3gpuE8ELNS1_3repE0EEENS1_30default_config_static_selectorELNS0_4arch9wavefront6targetE1EEEvSR_.num_vgpr, 0
	.set _ZN7rocprim17ROCPRIM_400000_NS6detail17trampoline_kernelINS0_14default_configENS1_32segmented_reduce_config_selectorIN3c104HalfEEEZNS1_21segmented_reduce_implIS3_PKS6_PS6_PKlS6_N6hipcub16HIPCUB_304000_NS6detail27convert_result_type_wrapperISA_SB_N2at6native12_GLOBAL__N_19CustomMaxEEEEE10hipError_tPvRmT0_T1_jT2_SS_T4_T3_P12ihipStream_tbEUlT_E_NS1_11comp_targetILNS1_3genE4ELNS1_11target_archE910ELNS1_3gpuE8ELNS1_3repE0EEENS1_30default_config_static_selectorELNS0_4arch9wavefront6targetE1EEEvSR_.num_agpr, 0
	.set _ZN7rocprim17ROCPRIM_400000_NS6detail17trampoline_kernelINS0_14default_configENS1_32segmented_reduce_config_selectorIN3c104HalfEEEZNS1_21segmented_reduce_implIS3_PKS6_PS6_PKlS6_N6hipcub16HIPCUB_304000_NS6detail27convert_result_type_wrapperISA_SB_N2at6native12_GLOBAL__N_19CustomMaxEEEEE10hipError_tPvRmT0_T1_jT2_SS_T4_T3_P12ihipStream_tbEUlT_E_NS1_11comp_targetILNS1_3genE4ELNS1_11target_archE910ELNS1_3gpuE8ELNS1_3repE0EEENS1_30default_config_static_selectorELNS0_4arch9wavefront6targetE1EEEvSR_.numbered_sgpr, 0
	.set _ZN7rocprim17ROCPRIM_400000_NS6detail17trampoline_kernelINS0_14default_configENS1_32segmented_reduce_config_selectorIN3c104HalfEEEZNS1_21segmented_reduce_implIS3_PKS6_PS6_PKlS6_N6hipcub16HIPCUB_304000_NS6detail27convert_result_type_wrapperISA_SB_N2at6native12_GLOBAL__N_19CustomMaxEEEEE10hipError_tPvRmT0_T1_jT2_SS_T4_T3_P12ihipStream_tbEUlT_E_NS1_11comp_targetILNS1_3genE4ELNS1_11target_archE910ELNS1_3gpuE8ELNS1_3repE0EEENS1_30default_config_static_selectorELNS0_4arch9wavefront6targetE1EEEvSR_.num_named_barrier, 0
	.set _ZN7rocprim17ROCPRIM_400000_NS6detail17trampoline_kernelINS0_14default_configENS1_32segmented_reduce_config_selectorIN3c104HalfEEEZNS1_21segmented_reduce_implIS3_PKS6_PS6_PKlS6_N6hipcub16HIPCUB_304000_NS6detail27convert_result_type_wrapperISA_SB_N2at6native12_GLOBAL__N_19CustomMaxEEEEE10hipError_tPvRmT0_T1_jT2_SS_T4_T3_P12ihipStream_tbEUlT_E_NS1_11comp_targetILNS1_3genE4ELNS1_11target_archE910ELNS1_3gpuE8ELNS1_3repE0EEENS1_30default_config_static_selectorELNS0_4arch9wavefront6targetE1EEEvSR_.private_seg_size, 0
	.set _ZN7rocprim17ROCPRIM_400000_NS6detail17trampoline_kernelINS0_14default_configENS1_32segmented_reduce_config_selectorIN3c104HalfEEEZNS1_21segmented_reduce_implIS3_PKS6_PS6_PKlS6_N6hipcub16HIPCUB_304000_NS6detail27convert_result_type_wrapperISA_SB_N2at6native12_GLOBAL__N_19CustomMaxEEEEE10hipError_tPvRmT0_T1_jT2_SS_T4_T3_P12ihipStream_tbEUlT_E_NS1_11comp_targetILNS1_3genE4ELNS1_11target_archE910ELNS1_3gpuE8ELNS1_3repE0EEENS1_30default_config_static_selectorELNS0_4arch9wavefront6targetE1EEEvSR_.uses_vcc, 0
	.set _ZN7rocprim17ROCPRIM_400000_NS6detail17trampoline_kernelINS0_14default_configENS1_32segmented_reduce_config_selectorIN3c104HalfEEEZNS1_21segmented_reduce_implIS3_PKS6_PS6_PKlS6_N6hipcub16HIPCUB_304000_NS6detail27convert_result_type_wrapperISA_SB_N2at6native12_GLOBAL__N_19CustomMaxEEEEE10hipError_tPvRmT0_T1_jT2_SS_T4_T3_P12ihipStream_tbEUlT_E_NS1_11comp_targetILNS1_3genE4ELNS1_11target_archE910ELNS1_3gpuE8ELNS1_3repE0EEENS1_30default_config_static_selectorELNS0_4arch9wavefront6targetE1EEEvSR_.uses_flat_scratch, 0
	.set _ZN7rocprim17ROCPRIM_400000_NS6detail17trampoline_kernelINS0_14default_configENS1_32segmented_reduce_config_selectorIN3c104HalfEEEZNS1_21segmented_reduce_implIS3_PKS6_PS6_PKlS6_N6hipcub16HIPCUB_304000_NS6detail27convert_result_type_wrapperISA_SB_N2at6native12_GLOBAL__N_19CustomMaxEEEEE10hipError_tPvRmT0_T1_jT2_SS_T4_T3_P12ihipStream_tbEUlT_E_NS1_11comp_targetILNS1_3genE4ELNS1_11target_archE910ELNS1_3gpuE8ELNS1_3repE0EEENS1_30default_config_static_selectorELNS0_4arch9wavefront6targetE1EEEvSR_.has_dyn_sized_stack, 0
	.set _ZN7rocprim17ROCPRIM_400000_NS6detail17trampoline_kernelINS0_14default_configENS1_32segmented_reduce_config_selectorIN3c104HalfEEEZNS1_21segmented_reduce_implIS3_PKS6_PS6_PKlS6_N6hipcub16HIPCUB_304000_NS6detail27convert_result_type_wrapperISA_SB_N2at6native12_GLOBAL__N_19CustomMaxEEEEE10hipError_tPvRmT0_T1_jT2_SS_T4_T3_P12ihipStream_tbEUlT_E_NS1_11comp_targetILNS1_3genE4ELNS1_11target_archE910ELNS1_3gpuE8ELNS1_3repE0EEENS1_30default_config_static_selectorELNS0_4arch9wavefront6targetE1EEEvSR_.has_recursion, 0
	.set _ZN7rocprim17ROCPRIM_400000_NS6detail17trampoline_kernelINS0_14default_configENS1_32segmented_reduce_config_selectorIN3c104HalfEEEZNS1_21segmented_reduce_implIS3_PKS6_PS6_PKlS6_N6hipcub16HIPCUB_304000_NS6detail27convert_result_type_wrapperISA_SB_N2at6native12_GLOBAL__N_19CustomMaxEEEEE10hipError_tPvRmT0_T1_jT2_SS_T4_T3_P12ihipStream_tbEUlT_E_NS1_11comp_targetILNS1_3genE4ELNS1_11target_archE910ELNS1_3gpuE8ELNS1_3repE0EEENS1_30default_config_static_selectorELNS0_4arch9wavefront6targetE1EEEvSR_.has_indirect_call, 0
	.section	.AMDGPU.csdata,"",@progbits
; Kernel info:
; codeLenInByte = 0
; TotalNumSgprs: 4
; NumVgprs: 0
; ScratchSize: 0
; MemoryBound: 0
; FloatMode: 240
; IeeeMode: 1
; LDSByteSize: 0 bytes/workgroup (compile time only)
; SGPRBlocks: 0
; VGPRBlocks: 0
; NumSGPRsForWavesPerEU: 4
; NumVGPRsForWavesPerEU: 1
; Occupancy: 10
; WaveLimiterHint : 0
; COMPUTE_PGM_RSRC2:SCRATCH_EN: 0
; COMPUTE_PGM_RSRC2:USER_SGPR: 6
; COMPUTE_PGM_RSRC2:TRAP_HANDLER: 0
; COMPUTE_PGM_RSRC2:TGID_X_EN: 1
; COMPUTE_PGM_RSRC2:TGID_Y_EN: 0
; COMPUTE_PGM_RSRC2:TGID_Z_EN: 0
; COMPUTE_PGM_RSRC2:TIDIG_COMP_CNT: 0
	.section	.text._ZN7rocprim17ROCPRIM_400000_NS6detail17trampoline_kernelINS0_14default_configENS1_32segmented_reduce_config_selectorIN3c104HalfEEEZNS1_21segmented_reduce_implIS3_PKS6_PS6_PKlS6_N6hipcub16HIPCUB_304000_NS6detail27convert_result_type_wrapperISA_SB_N2at6native12_GLOBAL__N_19CustomMaxEEEEE10hipError_tPvRmT0_T1_jT2_SS_T4_T3_P12ihipStream_tbEUlT_E_NS1_11comp_targetILNS1_3genE3ELNS1_11target_archE908ELNS1_3gpuE7ELNS1_3repE0EEENS1_30default_config_static_selectorELNS0_4arch9wavefront6targetE1EEEvSR_,"axG",@progbits,_ZN7rocprim17ROCPRIM_400000_NS6detail17trampoline_kernelINS0_14default_configENS1_32segmented_reduce_config_selectorIN3c104HalfEEEZNS1_21segmented_reduce_implIS3_PKS6_PS6_PKlS6_N6hipcub16HIPCUB_304000_NS6detail27convert_result_type_wrapperISA_SB_N2at6native12_GLOBAL__N_19CustomMaxEEEEE10hipError_tPvRmT0_T1_jT2_SS_T4_T3_P12ihipStream_tbEUlT_E_NS1_11comp_targetILNS1_3genE3ELNS1_11target_archE908ELNS1_3gpuE7ELNS1_3repE0EEENS1_30default_config_static_selectorELNS0_4arch9wavefront6targetE1EEEvSR_,comdat
	.globl	_ZN7rocprim17ROCPRIM_400000_NS6detail17trampoline_kernelINS0_14default_configENS1_32segmented_reduce_config_selectorIN3c104HalfEEEZNS1_21segmented_reduce_implIS3_PKS6_PS6_PKlS6_N6hipcub16HIPCUB_304000_NS6detail27convert_result_type_wrapperISA_SB_N2at6native12_GLOBAL__N_19CustomMaxEEEEE10hipError_tPvRmT0_T1_jT2_SS_T4_T3_P12ihipStream_tbEUlT_E_NS1_11comp_targetILNS1_3genE3ELNS1_11target_archE908ELNS1_3gpuE7ELNS1_3repE0EEENS1_30default_config_static_selectorELNS0_4arch9wavefront6targetE1EEEvSR_ ; -- Begin function _ZN7rocprim17ROCPRIM_400000_NS6detail17trampoline_kernelINS0_14default_configENS1_32segmented_reduce_config_selectorIN3c104HalfEEEZNS1_21segmented_reduce_implIS3_PKS6_PS6_PKlS6_N6hipcub16HIPCUB_304000_NS6detail27convert_result_type_wrapperISA_SB_N2at6native12_GLOBAL__N_19CustomMaxEEEEE10hipError_tPvRmT0_T1_jT2_SS_T4_T3_P12ihipStream_tbEUlT_E_NS1_11comp_targetILNS1_3genE3ELNS1_11target_archE908ELNS1_3gpuE7ELNS1_3repE0EEENS1_30default_config_static_selectorELNS0_4arch9wavefront6targetE1EEEvSR_
	.p2align	8
	.type	_ZN7rocprim17ROCPRIM_400000_NS6detail17trampoline_kernelINS0_14default_configENS1_32segmented_reduce_config_selectorIN3c104HalfEEEZNS1_21segmented_reduce_implIS3_PKS6_PS6_PKlS6_N6hipcub16HIPCUB_304000_NS6detail27convert_result_type_wrapperISA_SB_N2at6native12_GLOBAL__N_19CustomMaxEEEEE10hipError_tPvRmT0_T1_jT2_SS_T4_T3_P12ihipStream_tbEUlT_E_NS1_11comp_targetILNS1_3genE3ELNS1_11target_archE908ELNS1_3gpuE7ELNS1_3repE0EEENS1_30default_config_static_selectorELNS0_4arch9wavefront6targetE1EEEvSR_,@function
_ZN7rocprim17ROCPRIM_400000_NS6detail17trampoline_kernelINS0_14default_configENS1_32segmented_reduce_config_selectorIN3c104HalfEEEZNS1_21segmented_reduce_implIS3_PKS6_PS6_PKlS6_N6hipcub16HIPCUB_304000_NS6detail27convert_result_type_wrapperISA_SB_N2at6native12_GLOBAL__N_19CustomMaxEEEEE10hipError_tPvRmT0_T1_jT2_SS_T4_T3_P12ihipStream_tbEUlT_E_NS1_11comp_targetILNS1_3genE3ELNS1_11target_archE908ELNS1_3gpuE7ELNS1_3repE0EEENS1_30default_config_static_selectorELNS0_4arch9wavefront6targetE1EEEvSR_: ; @_ZN7rocprim17ROCPRIM_400000_NS6detail17trampoline_kernelINS0_14default_configENS1_32segmented_reduce_config_selectorIN3c104HalfEEEZNS1_21segmented_reduce_implIS3_PKS6_PS6_PKlS6_N6hipcub16HIPCUB_304000_NS6detail27convert_result_type_wrapperISA_SB_N2at6native12_GLOBAL__N_19CustomMaxEEEEE10hipError_tPvRmT0_T1_jT2_SS_T4_T3_P12ihipStream_tbEUlT_E_NS1_11comp_targetILNS1_3genE3ELNS1_11target_archE908ELNS1_3gpuE7ELNS1_3repE0EEENS1_30default_config_static_selectorELNS0_4arch9wavefront6targetE1EEEvSR_
; %bb.0:
	.section	.rodata,"a",@progbits
	.p2align	6, 0x0
	.amdhsa_kernel _ZN7rocprim17ROCPRIM_400000_NS6detail17trampoline_kernelINS0_14default_configENS1_32segmented_reduce_config_selectorIN3c104HalfEEEZNS1_21segmented_reduce_implIS3_PKS6_PS6_PKlS6_N6hipcub16HIPCUB_304000_NS6detail27convert_result_type_wrapperISA_SB_N2at6native12_GLOBAL__N_19CustomMaxEEEEE10hipError_tPvRmT0_T1_jT2_SS_T4_T3_P12ihipStream_tbEUlT_E_NS1_11comp_targetILNS1_3genE3ELNS1_11target_archE908ELNS1_3gpuE7ELNS1_3repE0EEENS1_30default_config_static_selectorELNS0_4arch9wavefront6targetE1EEEvSR_
		.amdhsa_group_segment_fixed_size 0
		.amdhsa_private_segment_fixed_size 0
		.amdhsa_kernarg_size 48
		.amdhsa_user_sgpr_count 6
		.amdhsa_user_sgpr_private_segment_buffer 1
		.amdhsa_user_sgpr_dispatch_ptr 0
		.amdhsa_user_sgpr_queue_ptr 0
		.amdhsa_user_sgpr_kernarg_segment_ptr 1
		.amdhsa_user_sgpr_dispatch_id 0
		.amdhsa_user_sgpr_flat_scratch_init 0
		.amdhsa_user_sgpr_private_segment_size 0
		.amdhsa_uses_dynamic_stack 0
		.amdhsa_system_sgpr_private_segment_wavefront_offset 0
		.amdhsa_system_sgpr_workgroup_id_x 1
		.amdhsa_system_sgpr_workgroup_id_y 0
		.amdhsa_system_sgpr_workgroup_id_z 0
		.amdhsa_system_sgpr_workgroup_info 0
		.amdhsa_system_vgpr_workitem_id 0
		.amdhsa_next_free_vgpr 1
		.amdhsa_next_free_sgpr 0
		.amdhsa_reserve_vcc 0
		.amdhsa_reserve_flat_scratch 0
		.amdhsa_float_round_mode_32 0
		.amdhsa_float_round_mode_16_64 0
		.amdhsa_float_denorm_mode_32 3
		.amdhsa_float_denorm_mode_16_64 3
		.amdhsa_dx10_clamp 1
		.amdhsa_ieee_mode 1
		.amdhsa_fp16_overflow 0
		.amdhsa_exception_fp_ieee_invalid_op 0
		.amdhsa_exception_fp_denorm_src 0
		.amdhsa_exception_fp_ieee_div_zero 0
		.amdhsa_exception_fp_ieee_overflow 0
		.amdhsa_exception_fp_ieee_underflow 0
		.amdhsa_exception_fp_ieee_inexact 0
		.amdhsa_exception_int_div_zero 0
	.end_amdhsa_kernel
	.section	.text._ZN7rocprim17ROCPRIM_400000_NS6detail17trampoline_kernelINS0_14default_configENS1_32segmented_reduce_config_selectorIN3c104HalfEEEZNS1_21segmented_reduce_implIS3_PKS6_PS6_PKlS6_N6hipcub16HIPCUB_304000_NS6detail27convert_result_type_wrapperISA_SB_N2at6native12_GLOBAL__N_19CustomMaxEEEEE10hipError_tPvRmT0_T1_jT2_SS_T4_T3_P12ihipStream_tbEUlT_E_NS1_11comp_targetILNS1_3genE3ELNS1_11target_archE908ELNS1_3gpuE7ELNS1_3repE0EEENS1_30default_config_static_selectorELNS0_4arch9wavefront6targetE1EEEvSR_,"axG",@progbits,_ZN7rocprim17ROCPRIM_400000_NS6detail17trampoline_kernelINS0_14default_configENS1_32segmented_reduce_config_selectorIN3c104HalfEEEZNS1_21segmented_reduce_implIS3_PKS6_PS6_PKlS6_N6hipcub16HIPCUB_304000_NS6detail27convert_result_type_wrapperISA_SB_N2at6native12_GLOBAL__N_19CustomMaxEEEEE10hipError_tPvRmT0_T1_jT2_SS_T4_T3_P12ihipStream_tbEUlT_E_NS1_11comp_targetILNS1_3genE3ELNS1_11target_archE908ELNS1_3gpuE7ELNS1_3repE0EEENS1_30default_config_static_selectorELNS0_4arch9wavefront6targetE1EEEvSR_,comdat
.Lfunc_end217:
	.size	_ZN7rocprim17ROCPRIM_400000_NS6detail17trampoline_kernelINS0_14default_configENS1_32segmented_reduce_config_selectorIN3c104HalfEEEZNS1_21segmented_reduce_implIS3_PKS6_PS6_PKlS6_N6hipcub16HIPCUB_304000_NS6detail27convert_result_type_wrapperISA_SB_N2at6native12_GLOBAL__N_19CustomMaxEEEEE10hipError_tPvRmT0_T1_jT2_SS_T4_T3_P12ihipStream_tbEUlT_E_NS1_11comp_targetILNS1_3genE3ELNS1_11target_archE908ELNS1_3gpuE7ELNS1_3repE0EEENS1_30default_config_static_selectorELNS0_4arch9wavefront6targetE1EEEvSR_, .Lfunc_end217-_ZN7rocprim17ROCPRIM_400000_NS6detail17trampoline_kernelINS0_14default_configENS1_32segmented_reduce_config_selectorIN3c104HalfEEEZNS1_21segmented_reduce_implIS3_PKS6_PS6_PKlS6_N6hipcub16HIPCUB_304000_NS6detail27convert_result_type_wrapperISA_SB_N2at6native12_GLOBAL__N_19CustomMaxEEEEE10hipError_tPvRmT0_T1_jT2_SS_T4_T3_P12ihipStream_tbEUlT_E_NS1_11comp_targetILNS1_3genE3ELNS1_11target_archE908ELNS1_3gpuE7ELNS1_3repE0EEENS1_30default_config_static_selectorELNS0_4arch9wavefront6targetE1EEEvSR_
                                        ; -- End function
	.set _ZN7rocprim17ROCPRIM_400000_NS6detail17trampoline_kernelINS0_14default_configENS1_32segmented_reduce_config_selectorIN3c104HalfEEEZNS1_21segmented_reduce_implIS3_PKS6_PS6_PKlS6_N6hipcub16HIPCUB_304000_NS6detail27convert_result_type_wrapperISA_SB_N2at6native12_GLOBAL__N_19CustomMaxEEEEE10hipError_tPvRmT0_T1_jT2_SS_T4_T3_P12ihipStream_tbEUlT_E_NS1_11comp_targetILNS1_3genE3ELNS1_11target_archE908ELNS1_3gpuE7ELNS1_3repE0EEENS1_30default_config_static_selectorELNS0_4arch9wavefront6targetE1EEEvSR_.num_vgpr, 0
	.set _ZN7rocprim17ROCPRIM_400000_NS6detail17trampoline_kernelINS0_14default_configENS1_32segmented_reduce_config_selectorIN3c104HalfEEEZNS1_21segmented_reduce_implIS3_PKS6_PS6_PKlS6_N6hipcub16HIPCUB_304000_NS6detail27convert_result_type_wrapperISA_SB_N2at6native12_GLOBAL__N_19CustomMaxEEEEE10hipError_tPvRmT0_T1_jT2_SS_T4_T3_P12ihipStream_tbEUlT_E_NS1_11comp_targetILNS1_3genE3ELNS1_11target_archE908ELNS1_3gpuE7ELNS1_3repE0EEENS1_30default_config_static_selectorELNS0_4arch9wavefront6targetE1EEEvSR_.num_agpr, 0
	.set _ZN7rocprim17ROCPRIM_400000_NS6detail17trampoline_kernelINS0_14default_configENS1_32segmented_reduce_config_selectorIN3c104HalfEEEZNS1_21segmented_reduce_implIS3_PKS6_PS6_PKlS6_N6hipcub16HIPCUB_304000_NS6detail27convert_result_type_wrapperISA_SB_N2at6native12_GLOBAL__N_19CustomMaxEEEEE10hipError_tPvRmT0_T1_jT2_SS_T4_T3_P12ihipStream_tbEUlT_E_NS1_11comp_targetILNS1_3genE3ELNS1_11target_archE908ELNS1_3gpuE7ELNS1_3repE0EEENS1_30default_config_static_selectorELNS0_4arch9wavefront6targetE1EEEvSR_.numbered_sgpr, 0
	.set _ZN7rocprim17ROCPRIM_400000_NS6detail17trampoline_kernelINS0_14default_configENS1_32segmented_reduce_config_selectorIN3c104HalfEEEZNS1_21segmented_reduce_implIS3_PKS6_PS6_PKlS6_N6hipcub16HIPCUB_304000_NS6detail27convert_result_type_wrapperISA_SB_N2at6native12_GLOBAL__N_19CustomMaxEEEEE10hipError_tPvRmT0_T1_jT2_SS_T4_T3_P12ihipStream_tbEUlT_E_NS1_11comp_targetILNS1_3genE3ELNS1_11target_archE908ELNS1_3gpuE7ELNS1_3repE0EEENS1_30default_config_static_selectorELNS0_4arch9wavefront6targetE1EEEvSR_.num_named_barrier, 0
	.set _ZN7rocprim17ROCPRIM_400000_NS6detail17trampoline_kernelINS0_14default_configENS1_32segmented_reduce_config_selectorIN3c104HalfEEEZNS1_21segmented_reduce_implIS3_PKS6_PS6_PKlS6_N6hipcub16HIPCUB_304000_NS6detail27convert_result_type_wrapperISA_SB_N2at6native12_GLOBAL__N_19CustomMaxEEEEE10hipError_tPvRmT0_T1_jT2_SS_T4_T3_P12ihipStream_tbEUlT_E_NS1_11comp_targetILNS1_3genE3ELNS1_11target_archE908ELNS1_3gpuE7ELNS1_3repE0EEENS1_30default_config_static_selectorELNS0_4arch9wavefront6targetE1EEEvSR_.private_seg_size, 0
	.set _ZN7rocprim17ROCPRIM_400000_NS6detail17trampoline_kernelINS0_14default_configENS1_32segmented_reduce_config_selectorIN3c104HalfEEEZNS1_21segmented_reduce_implIS3_PKS6_PS6_PKlS6_N6hipcub16HIPCUB_304000_NS6detail27convert_result_type_wrapperISA_SB_N2at6native12_GLOBAL__N_19CustomMaxEEEEE10hipError_tPvRmT0_T1_jT2_SS_T4_T3_P12ihipStream_tbEUlT_E_NS1_11comp_targetILNS1_3genE3ELNS1_11target_archE908ELNS1_3gpuE7ELNS1_3repE0EEENS1_30default_config_static_selectorELNS0_4arch9wavefront6targetE1EEEvSR_.uses_vcc, 0
	.set _ZN7rocprim17ROCPRIM_400000_NS6detail17trampoline_kernelINS0_14default_configENS1_32segmented_reduce_config_selectorIN3c104HalfEEEZNS1_21segmented_reduce_implIS3_PKS6_PS6_PKlS6_N6hipcub16HIPCUB_304000_NS6detail27convert_result_type_wrapperISA_SB_N2at6native12_GLOBAL__N_19CustomMaxEEEEE10hipError_tPvRmT0_T1_jT2_SS_T4_T3_P12ihipStream_tbEUlT_E_NS1_11comp_targetILNS1_3genE3ELNS1_11target_archE908ELNS1_3gpuE7ELNS1_3repE0EEENS1_30default_config_static_selectorELNS0_4arch9wavefront6targetE1EEEvSR_.uses_flat_scratch, 0
	.set _ZN7rocprim17ROCPRIM_400000_NS6detail17trampoline_kernelINS0_14default_configENS1_32segmented_reduce_config_selectorIN3c104HalfEEEZNS1_21segmented_reduce_implIS3_PKS6_PS6_PKlS6_N6hipcub16HIPCUB_304000_NS6detail27convert_result_type_wrapperISA_SB_N2at6native12_GLOBAL__N_19CustomMaxEEEEE10hipError_tPvRmT0_T1_jT2_SS_T4_T3_P12ihipStream_tbEUlT_E_NS1_11comp_targetILNS1_3genE3ELNS1_11target_archE908ELNS1_3gpuE7ELNS1_3repE0EEENS1_30default_config_static_selectorELNS0_4arch9wavefront6targetE1EEEvSR_.has_dyn_sized_stack, 0
	.set _ZN7rocprim17ROCPRIM_400000_NS6detail17trampoline_kernelINS0_14default_configENS1_32segmented_reduce_config_selectorIN3c104HalfEEEZNS1_21segmented_reduce_implIS3_PKS6_PS6_PKlS6_N6hipcub16HIPCUB_304000_NS6detail27convert_result_type_wrapperISA_SB_N2at6native12_GLOBAL__N_19CustomMaxEEEEE10hipError_tPvRmT0_T1_jT2_SS_T4_T3_P12ihipStream_tbEUlT_E_NS1_11comp_targetILNS1_3genE3ELNS1_11target_archE908ELNS1_3gpuE7ELNS1_3repE0EEENS1_30default_config_static_selectorELNS0_4arch9wavefront6targetE1EEEvSR_.has_recursion, 0
	.set _ZN7rocprim17ROCPRIM_400000_NS6detail17trampoline_kernelINS0_14default_configENS1_32segmented_reduce_config_selectorIN3c104HalfEEEZNS1_21segmented_reduce_implIS3_PKS6_PS6_PKlS6_N6hipcub16HIPCUB_304000_NS6detail27convert_result_type_wrapperISA_SB_N2at6native12_GLOBAL__N_19CustomMaxEEEEE10hipError_tPvRmT0_T1_jT2_SS_T4_T3_P12ihipStream_tbEUlT_E_NS1_11comp_targetILNS1_3genE3ELNS1_11target_archE908ELNS1_3gpuE7ELNS1_3repE0EEENS1_30default_config_static_selectorELNS0_4arch9wavefront6targetE1EEEvSR_.has_indirect_call, 0
	.section	.AMDGPU.csdata,"",@progbits
; Kernel info:
; codeLenInByte = 0
; TotalNumSgprs: 4
; NumVgprs: 0
; ScratchSize: 0
; MemoryBound: 0
; FloatMode: 240
; IeeeMode: 1
; LDSByteSize: 0 bytes/workgroup (compile time only)
; SGPRBlocks: 0
; VGPRBlocks: 0
; NumSGPRsForWavesPerEU: 4
; NumVGPRsForWavesPerEU: 1
; Occupancy: 10
; WaveLimiterHint : 0
; COMPUTE_PGM_RSRC2:SCRATCH_EN: 0
; COMPUTE_PGM_RSRC2:USER_SGPR: 6
; COMPUTE_PGM_RSRC2:TRAP_HANDLER: 0
; COMPUTE_PGM_RSRC2:TGID_X_EN: 1
; COMPUTE_PGM_RSRC2:TGID_Y_EN: 0
; COMPUTE_PGM_RSRC2:TGID_Z_EN: 0
; COMPUTE_PGM_RSRC2:TIDIG_COMP_CNT: 0
	.section	.text._ZN7rocprim17ROCPRIM_400000_NS6detail17trampoline_kernelINS0_14default_configENS1_32segmented_reduce_config_selectorIN3c104HalfEEEZNS1_21segmented_reduce_implIS3_PKS6_PS6_PKlS6_N6hipcub16HIPCUB_304000_NS6detail27convert_result_type_wrapperISA_SB_N2at6native12_GLOBAL__N_19CustomMaxEEEEE10hipError_tPvRmT0_T1_jT2_SS_T4_T3_P12ihipStream_tbEUlT_E_NS1_11comp_targetILNS1_3genE2ELNS1_11target_archE906ELNS1_3gpuE6ELNS1_3repE0EEENS1_30default_config_static_selectorELNS0_4arch9wavefront6targetE1EEEvSR_,"axG",@progbits,_ZN7rocprim17ROCPRIM_400000_NS6detail17trampoline_kernelINS0_14default_configENS1_32segmented_reduce_config_selectorIN3c104HalfEEEZNS1_21segmented_reduce_implIS3_PKS6_PS6_PKlS6_N6hipcub16HIPCUB_304000_NS6detail27convert_result_type_wrapperISA_SB_N2at6native12_GLOBAL__N_19CustomMaxEEEEE10hipError_tPvRmT0_T1_jT2_SS_T4_T3_P12ihipStream_tbEUlT_E_NS1_11comp_targetILNS1_3genE2ELNS1_11target_archE906ELNS1_3gpuE6ELNS1_3repE0EEENS1_30default_config_static_selectorELNS0_4arch9wavefront6targetE1EEEvSR_,comdat
	.globl	_ZN7rocprim17ROCPRIM_400000_NS6detail17trampoline_kernelINS0_14default_configENS1_32segmented_reduce_config_selectorIN3c104HalfEEEZNS1_21segmented_reduce_implIS3_PKS6_PS6_PKlS6_N6hipcub16HIPCUB_304000_NS6detail27convert_result_type_wrapperISA_SB_N2at6native12_GLOBAL__N_19CustomMaxEEEEE10hipError_tPvRmT0_T1_jT2_SS_T4_T3_P12ihipStream_tbEUlT_E_NS1_11comp_targetILNS1_3genE2ELNS1_11target_archE906ELNS1_3gpuE6ELNS1_3repE0EEENS1_30default_config_static_selectorELNS0_4arch9wavefront6targetE1EEEvSR_ ; -- Begin function _ZN7rocprim17ROCPRIM_400000_NS6detail17trampoline_kernelINS0_14default_configENS1_32segmented_reduce_config_selectorIN3c104HalfEEEZNS1_21segmented_reduce_implIS3_PKS6_PS6_PKlS6_N6hipcub16HIPCUB_304000_NS6detail27convert_result_type_wrapperISA_SB_N2at6native12_GLOBAL__N_19CustomMaxEEEEE10hipError_tPvRmT0_T1_jT2_SS_T4_T3_P12ihipStream_tbEUlT_E_NS1_11comp_targetILNS1_3genE2ELNS1_11target_archE906ELNS1_3gpuE6ELNS1_3repE0EEENS1_30default_config_static_selectorELNS0_4arch9wavefront6targetE1EEEvSR_
	.p2align	8
	.type	_ZN7rocprim17ROCPRIM_400000_NS6detail17trampoline_kernelINS0_14default_configENS1_32segmented_reduce_config_selectorIN3c104HalfEEEZNS1_21segmented_reduce_implIS3_PKS6_PS6_PKlS6_N6hipcub16HIPCUB_304000_NS6detail27convert_result_type_wrapperISA_SB_N2at6native12_GLOBAL__N_19CustomMaxEEEEE10hipError_tPvRmT0_T1_jT2_SS_T4_T3_P12ihipStream_tbEUlT_E_NS1_11comp_targetILNS1_3genE2ELNS1_11target_archE906ELNS1_3gpuE6ELNS1_3repE0EEENS1_30default_config_static_selectorELNS0_4arch9wavefront6targetE1EEEvSR_,@function
_ZN7rocprim17ROCPRIM_400000_NS6detail17trampoline_kernelINS0_14default_configENS1_32segmented_reduce_config_selectorIN3c104HalfEEEZNS1_21segmented_reduce_implIS3_PKS6_PS6_PKlS6_N6hipcub16HIPCUB_304000_NS6detail27convert_result_type_wrapperISA_SB_N2at6native12_GLOBAL__N_19CustomMaxEEEEE10hipError_tPvRmT0_T1_jT2_SS_T4_T3_P12ihipStream_tbEUlT_E_NS1_11comp_targetILNS1_3genE2ELNS1_11target_archE906ELNS1_3gpuE6ELNS1_3repE0EEENS1_30default_config_static_selectorELNS0_4arch9wavefront6targetE1EEEvSR_: ; @_ZN7rocprim17ROCPRIM_400000_NS6detail17trampoline_kernelINS0_14default_configENS1_32segmented_reduce_config_selectorIN3c104HalfEEEZNS1_21segmented_reduce_implIS3_PKS6_PS6_PKlS6_N6hipcub16HIPCUB_304000_NS6detail27convert_result_type_wrapperISA_SB_N2at6native12_GLOBAL__N_19CustomMaxEEEEE10hipError_tPvRmT0_T1_jT2_SS_T4_T3_P12ihipStream_tbEUlT_E_NS1_11comp_targetILNS1_3genE2ELNS1_11target_archE906ELNS1_3gpuE6ELNS1_3repE0EEENS1_30default_config_static_selectorELNS0_4arch9wavefront6targetE1EEEvSR_
; %bb.0:
	s_load_dword s2, s[4:5], 0x28
	s_load_dwordx8 s[36:43], s[4:5], 0x0
	s_load_dwordx2 s[0:1], s[4:5], 0x20
	s_mov_b32 s7, 0
	s_waitcnt lgkmcnt(0)
	s_lshr_b32 s33, s2, 16
	s_lshl_b64 s[2:3], s[40:41], 3
	s_add_u32 s4, s42, s2
	s_addc_u32 s5, s43, s3
	s_add_u32 s8, s0, s2
	s_addc_u32 s9, s1, s3
	s_lshl_b64 s[0:1], s[6:7], 3
	s_add_u32 s2, s4, s0
	s_addc_u32 s3, s5, s1
	s_load_dwordx2 s[44:45], s[2:3], 0x0
	s_add_u32 s0, s8, s0
	s_addc_u32 s1, s9, s1
	s_load_dwordx2 s[42:43], s[0:1], 0x0
	v_cmp_eq_u32_e64 s[0:1], 0, v0
	s_waitcnt lgkmcnt(0)
	v_mov_b32_e32 v1, s44
	v_mov_b32_e32 v2, s45
	v_cmp_gt_i64_e32 vcc, s[42:43], v[1:2]
	s_cbranch_vccnz .LBB218_3
; %bb.1:
	s_and_b64 s[34:35], s[0:1], exec
	s_cbranch_execz .LBB218_4
; %bb.2:
	v_mov_b32_e32 v1, s33
	s_and_saveexec_b64 s[0:1], s[34:35]
	s_cbranch_execnz .LBB218_409
	s_branch .LBB218_410
.LBB218_3:
	s_mov_b64 s[34:35], 0
.LBB218_4:
	s_add_u32 s0, s44, 0x1000
	v_mov_b32_e32 v1, s42
	s_addc_u32 s1, s45, 0
	v_mov_b32_e32 v2, s43
	v_cmp_le_i64_e32 vcc, s[0:1], v[1:2]
	s_cbranch_vccz .LBB218_20
; %bb.5:
	s_lshl_b64 s[2:3], s[44:45], 1
	s_add_u32 s4, s36, s2
	s_addc_u32 s5, s37, s3
	v_lshlrev_b32_e32 v20, 1, v0
	v_mov_b32_e32 v1, s5
	v_add_co_u32_e32 v2, vcc, s4, v20
	v_addc_co_u32_e32 v3, vcc, 0, v1, vcc
	v_add_co_u32_e32 v1, vcc, 0x1000, v2
	v_addc_co_u32_e32 v2, vcc, 0, v3, vcc
	global_load_ushort v19, v20, s[4:5]
	global_load_ushort v18, v20, s[4:5] offset:512
	global_load_ushort v17, v20, s[4:5] offset:1024
	;; [unrolled: 1-line block ×7, first 2 shown]
	global_load_ushort v10, v[1:2], off
	global_load_ushort v9, v[1:2], off offset:512
	global_load_ushort v8, v[1:2], off offset:1024
	global_load_ushort v7, v[1:2], off offset:1536
	global_load_ushort v6, v[1:2], off offset:2048
	global_load_ushort v5, v[1:2], off offset:2560
	global_load_ushort v4, v[1:2], off offset:3072
	global_load_ushort v3, v[1:2], off offset:3584
	s_waitcnt vmcnt(15)
	v_cmp_o_f16_e32 vcc, v19, v19
	v_mov_b32_e32 v11, v19
	s_and_saveexec_b64 s[4:5], vcc
	s_cbranch_execnz .LBB218_21
; %bb.6:
	s_or_b64 exec, exec, s[4:5]
	v_cmp_o_f16_e32 vcc, v11, v11
	s_and_saveexec_b64 s[4:5], vcc
	s_cbranch_execnz .LBB218_24
.LBB218_7:
	s_or_b64 exec, exec, s[4:5]
	v_cmp_o_f16_e32 vcc, v11, v11
	s_and_saveexec_b64 s[4:5], vcc
	s_cbranch_execnz .LBB218_27
.LBB218_8:
	s_or_b64 exec, exec, s[4:5]
	v_cmp_o_f16_e32 vcc, v11, v11
	s_and_saveexec_b64 s[4:5], vcc
	s_cbranch_execnz .LBB218_30
.LBB218_9:
	s_or_b64 exec, exec, s[4:5]
	v_cmp_o_f16_e32 vcc, v11, v11
	s_and_saveexec_b64 s[4:5], vcc
	s_cbranch_execnz .LBB218_33
.LBB218_10:
	s_or_b64 exec, exec, s[4:5]
	v_cmp_o_f16_e32 vcc, v11, v11
	s_and_saveexec_b64 s[4:5], vcc
	s_cbranch_execnz .LBB218_36
.LBB218_11:
	s_or_b64 exec, exec, s[4:5]
	v_cmp_o_f16_e32 vcc, v11, v11
	s_and_saveexec_b64 s[4:5], vcc
	s_cbranch_execnz .LBB218_39
.LBB218_12:
	s_or_b64 exec, exec, s[4:5]
	v_cmp_o_f16_e32 vcc, v11, v11
	s_and_saveexec_b64 s[4:5], vcc
	s_cbranch_execnz .LBB218_42
.LBB218_13:
	s_or_b64 exec, exec, s[4:5]
	v_cmp_o_f16_e32 vcc, v11, v11
	s_and_saveexec_b64 s[4:5], vcc
	s_cbranch_execnz .LBB218_45
.LBB218_14:
	s_or_b64 exec, exec, s[4:5]
	v_cmp_o_f16_e32 vcc, v11, v11
	s_and_saveexec_b64 s[4:5], vcc
	s_cbranch_execnz .LBB218_48
.LBB218_15:
	s_or_b64 exec, exec, s[4:5]
	v_cmp_o_f16_e32 vcc, v11, v11
	s_and_saveexec_b64 s[4:5], vcc
	s_cbranch_execnz .LBB218_51
.LBB218_16:
	s_or_b64 exec, exec, s[4:5]
	v_cmp_o_f16_e32 vcc, v11, v11
	s_and_saveexec_b64 s[4:5], vcc
	s_cbranch_execnz .LBB218_54
.LBB218_17:
	s_or_b64 exec, exec, s[4:5]
	v_cmp_o_f16_e32 vcc, v11, v11
	s_and_saveexec_b64 s[4:5], vcc
	s_cbranch_execnz .LBB218_57
.LBB218_18:
	s_or_b64 exec, exec, s[4:5]
	v_cmp_o_f16_e32 vcc, v11, v11
	s_and_saveexec_b64 s[4:5], vcc
	s_cbranch_execnz .LBB218_60
.LBB218_19:
	s_or_b64 exec, exec, s[4:5]
	v_cmp_o_f16_e32 vcc, v11, v11
	s_and_saveexec_b64 s[4:5], vcc
	s_cbranch_execnz .LBB218_63
	s_branch .LBB218_66
.LBB218_20:
                                        ; implicit-def: $vgpr3
	s_cbranch_execnz .LBB218_300
	s_branch .LBB218_402
.LBB218_21:
	s_waitcnt vmcnt(14)
	v_cmp_o_f16_e32 vcc, v18, v18
	v_mov_b32_e32 v11, v18
	s_and_saveexec_b64 s[8:9], vcc
; %bb.22:
	v_cmp_gt_f16_e32 vcc, v18, v19
	v_cndmask_b32_e32 v11, v19, v18, vcc
; %bb.23:
	s_or_b64 exec, exec, s[8:9]
	s_or_b64 exec, exec, s[4:5]
	v_cmp_o_f16_e32 vcc, v11, v11
	s_and_saveexec_b64 s[4:5], vcc
	s_cbranch_execz .LBB218_7
.LBB218_24:
	s_waitcnt vmcnt(13)
	v_cmp_o_f16_e32 vcc, v17, v17
	v_mov_b32_e32 v1, v17
	s_and_saveexec_b64 s[8:9], vcc
; %bb.25:
	v_cmp_lt_f16_e32 vcc, v11, v17
	v_cndmask_b32_e32 v1, v11, v17, vcc
; %bb.26:
	s_or_b64 exec, exec, s[8:9]
	v_mov_b32_e32 v11, v1
	s_or_b64 exec, exec, s[4:5]
	v_cmp_o_f16_e32 vcc, v11, v11
	s_and_saveexec_b64 s[4:5], vcc
	s_cbranch_execz .LBB218_8
.LBB218_27:
	s_waitcnt vmcnt(12)
	v_cmp_o_f16_e32 vcc, v16, v16
	v_mov_b32_e32 v1, v16
	s_and_saveexec_b64 s[8:9], vcc
; %bb.28:
	v_cmp_lt_f16_e32 vcc, v11, v16
	v_cndmask_b32_e32 v1, v11, v16, vcc
; %bb.29:
	s_or_b64 exec, exec, s[8:9]
	v_mov_b32_e32 v11, v1
	s_or_b64 exec, exec, s[4:5]
	v_cmp_o_f16_e32 vcc, v11, v11
	s_and_saveexec_b64 s[4:5], vcc
	s_cbranch_execz .LBB218_9
.LBB218_30:
	s_waitcnt vmcnt(11)
	v_cmp_o_f16_e32 vcc, v15, v15
	v_mov_b32_e32 v1, v15
	s_and_saveexec_b64 s[8:9], vcc
; %bb.31:
	v_cmp_lt_f16_e32 vcc, v11, v15
	v_cndmask_b32_e32 v1, v11, v15, vcc
; %bb.32:
	s_or_b64 exec, exec, s[8:9]
	v_mov_b32_e32 v11, v1
	s_or_b64 exec, exec, s[4:5]
	v_cmp_o_f16_e32 vcc, v11, v11
	s_and_saveexec_b64 s[4:5], vcc
	s_cbranch_execz .LBB218_10
.LBB218_33:
	s_waitcnt vmcnt(10)
	v_cmp_o_f16_e32 vcc, v14, v14
	v_mov_b32_e32 v1, v14
	s_and_saveexec_b64 s[8:9], vcc
; %bb.34:
	v_cmp_lt_f16_e32 vcc, v11, v14
	v_cndmask_b32_e32 v1, v11, v14, vcc
; %bb.35:
	s_or_b64 exec, exec, s[8:9]
	v_mov_b32_e32 v11, v1
	s_or_b64 exec, exec, s[4:5]
	v_cmp_o_f16_e32 vcc, v11, v11
	s_and_saveexec_b64 s[4:5], vcc
	s_cbranch_execz .LBB218_11
.LBB218_36:
	s_waitcnt vmcnt(9)
	v_cmp_o_f16_e32 vcc, v13, v13
	v_mov_b32_e32 v1, v13
	s_and_saveexec_b64 s[8:9], vcc
; %bb.37:
	v_cmp_lt_f16_e32 vcc, v11, v13
	v_cndmask_b32_e32 v1, v11, v13, vcc
; %bb.38:
	s_or_b64 exec, exec, s[8:9]
	v_mov_b32_e32 v11, v1
	s_or_b64 exec, exec, s[4:5]
	v_cmp_o_f16_e32 vcc, v11, v11
	s_and_saveexec_b64 s[4:5], vcc
	s_cbranch_execz .LBB218_12
.LBB218_39:
	s_waitcnt vmcnt(8)
	v_cmp_o_f16_e32 vcc, v12, v12
	v_mov_b32_e32 v1, v12
	s_and_saveexec_b64 s[8:9], vcc
; %bb.40:
	v_cmp_lt_f16_e32 vcc, v11, v12
	v_cndmask_b32_e32 v1, v11, v12, vcc
; %bb.41:
	s_or_b64 exec, exec, s[8:9]
	v_mov_b32_e32 v11, v1
	s_or_b64 exec, exec, s[4:5]
	v_cmp_o_f16_e32 vcc, v11, v11
	s_and_saveexec_b64 s[4:5], vcc
	s_cbranch_execz .LBB218_13
.LBB218_42:
	s_waitcnt vmcnt(7)
	v_cmp_o_f16_e32 vcc, v10, v10
	v_mov_b32_e32 v1, v10
	s_and_saveexec_b64 s[8:9], vcc
; %bb.43:
	v_cmp_lt_f16_e32 vcc, v11, v10
	v_cndmask_b32_e32 v1, v11, v10, vcc
; %bb.44:
	s_or_b64 exec, exec, s[8:9]
	v_mov_b32_e32 v11, v1
	s_or_b64 exec, exec, s[4:5]
	v_cmp_o_f16_e32 vcc, v11, v11
	s_and_saveexec_b64 s[4:5], vcc
	s_cbranch_execz .LBB218_14
.LBB218_45:
	s_waitcnt vmcnt(6)
	v_cmp_o_f16_e32 vcc, v9, v9
	v_mov_b32_e32 v1, v9
	s_and_saveexec_b64 s[8:9], vcc
; %bb.46:
	v_cmp_lt_f16_e32 vcc, v11, v9
	v_cndmask_b32_e32 v1, v11, v9, vcc
; %bb.47:
	s_or_b64 exec, exec, s[8:9]
	v_mov_b32_e32 v11, v1
	s_or_b64 exec, exec, s[4:5]
	v_cmp_o_f16_e32 vcc, v11, v11
	s_and_saveexec_b64 s[4:5], vcc
	s_cbranch_execz .LBB218_15
.LBB218_48:
	s_waitcnt vmcnt(5)
	v_cmp_o_f16_e32 vcc, v8, v8
	v_mov_b32_e32 v1, v8
	s_and_saveexec_b64 s[8:9], vcc
; %bb.49:
	v_cmp_lt_f16_e32 vcc, v11, v8
	v_cndmask_b32_e32 v1, v11, v8, vcc
; %bb.50:
	s_or_b64 exec, exec, s[8:9]
	v_mov_b32_e32 v11, v1
	s_or_b64 exec, exec, s[4:5]
	v_cmp_o_f16_e32 vcc, v11, v11
	s_and_saveexec_b64 s[4:5], vcc
	s_cbranch_execz .LBB218_16
.LBB218_51:
	s_waitcnt vmcnt(4)
	v_cmp_o_f16_e32 vcc, v7, v7
	v_mov_b32_e32 v1, v7
	s_and_saveexec_b64 s[8:9], vcc
; %bb.52:
	v_cmp_lt_f16_e32 vcc, v11, v7
	v_cndmask_b32_e32 v1, v11, v7, vcc
; %bb.53:
	s_or_b64 exec, exec, s[8:9]
	v_mov_b32_e32 v11, v1
	s_or_b64 exec, exec, s[4:5]
	v_cmp_o_f16_e32 vcc, v11, v11
	s_and_saveexec_b64 s[4:5], vcc
	s_cbranch_execz .LBB218_17
.LBB218_54:
	s_waitcnt vmcnt(3)
	v_cmp_o_f16_e32 vcc, v6, v6
	v_mov_b32_e32 v1, v6
	s_and_saveexec_b64 s[8:9], vcc
; %bb.55:
	v_cmp_lt_f16_e32 vcc, v11, v6
	v_cndmask_b32_e32 v1, v11, v6, vcc
; %bb.56:
	s_or_b64 exec, exec, s[8:9]
	v_mov_b32_e32 v11, v1
	s_or_b64 exec, exec, s[4:5]
	v_cmp_o_f16_e32 vcc, v11, v11
	s_and_saveexec_b64 s[4:5], vcc
	s_cbranch_execz .LBB218_18
.LBB218_57:
	s_waitcnt vmcnt(2)
	v_cmp_o_f16_e32 vcc, v5, v5
	v_mov_b32_e32 v1, v5
	s_and_saveexec_b64 s[8:9], vcc
; %bb.58:
	v_cmp_lt_f16_e32 vcc, v11, v5
	v_cndmask_b32_e32 v1, v11, v5, vcc
; %bb.59:
	s_or_b64 exec, exec, s[8:9]
	v_mov_b32_e32 v11, v1
	s_or_b64 exec, exec, s[4:5]
	v_cmp_o_f16_e32 vcc, v11, v11
	s_and_saveexec_b64 s[4:5], vcc
	s_cbranch_execz .LBB218_19
.LBB218_60:
	s_waitcnt vmcnt(1)
	v_cmp_o_f16_e32 vcc, v4, v4
	v_mov_b32_e32 v1, v4
	s_and_saveexec_b64 s[8:9], vcc
; %bb.61:
	v_cmp_lt_f16_e32 vcc, v11, v4
	v_cndmask_b32_e32 v1, v11, v4, vcc
; %bb.62:
	s_or_b64 exec, exec, s[8:9]
	v_mov_b32_e32 v11, v1
	s_or_b64 exec, exec, s[4:5]
	v_cmp_o_f16_e32 vcc, v11, v11
	s_and_saveexec_b64 s[4:5], vcc
	s_cbranch_execz .LBB218_66
.LBB218_63:
	s_waitcnt vmcnt(0)
	v_cmp_o_f16_e32 vcc, v3, v3
	v_mov_b32_e32 v1, v3
	s_and_saveexec_b64 s[8:9], vcc
; %bb.64:
	v_cmp_lt_f16_e32 vcc, v11, v3
	v_cndmask_b32_e32 v1, v11, v3, vcc
; %bb.65:
	s_or_b64 exec, exec, s[8:9]
	v_mov_b32_e32 v11, v1
.LBB218_66:
	s_or_b64 exec, exec, s[4:5]
	s_add_u32 s4, s44, 0x2000
	v_mov_b32_e32 v1, s42
	s_addc_u32 s5, s45, 0
	v_mov_b32_e32 v2, s43
	v_cmp_ge_i64_e32 vcc, s[4:5], v[1:2]
	s_cbranch_vccnz .LBB218_134
; %bb.67:
	s_add_u32 s2, s36, s2
	s_addc_u32 s3, s37, s3
	v_mov_b32_e32 v1, s3
	v_add_co_u32_e32 v2, vcc, s2, v20
	s_waitcnt vmcnt(0)
	v_addc_co_u32_e32 v3, vcc, 0, v1, vcc
	v_add_co_u32_e32 v1, vcc, 0x2000, v2
	v_addc_co_u32_e32 v2, vcc, 0, v3, vcc
.LBB218_68:                             ; =>This Inner Loop Header: Depth=1
	v_add_co_u32_e32 v21, vcc, 0x1000, v1
	v_addc_co_u32_e32 v22, vcc, 0, v2, vcc
	global_load_ushort v19, v[1:2], off
	global_load_ushort v18, v[1:2], off offset:512
	global_load_ushort v17, v[1:2], off offset:1024
	;; [unrolled: 1-line block ×7, first 2 shown]
	global_load_ushort v10, v[21:22], off
	global_load_ushort v9, v[21:22], off offset:512
	global_load_ushort v8, v[21:22], off offset:1024
	global_load_ushort v7, v[21:22], off offset:1536
	global_load_ushort v6, v[21:22], off offset:2048
	global_load_ushort v5, v[21:22], off offset:2560
	global_load_ushort v4, v[21:22], off offset:3072
	global_load_ushort v3, v[21:22], off offset:3584
	v_cmp_o_f16_e32 vcc, v11, v11
	v_mov_b32_e32 v21, v11
	s_and_saveexec_b64 s[2:3], vcc
	s_cbranch_execnz .LBB218_84
; %bb.69:                               ;   in Loop: Header=BB218_68 Depth=1
	s_or_b64 exec, exec, s[2:3]
	v_cmp_o_f16_e32 vcc, v21, v21
	s_and_saveexec_b64 s[2:3], vcc
	s_cbranch_execnz .LBB218_87
.LBB218_70:                             ;   in Loop: Header=BB218_68 Depth=1
	s_or_b64 exec, exec, s[2:3]
	v_cmp_o_f16_e32 vcc, v21, v21
	s_and_saveexec_b64 s[2:3], vcc
	s_cbranch_execnz .LBB218_90
.LBB218_71:                             ;   in Loop: Header=BB218_68 Depth=1
	s_or_b64 exec, exec, s[2:3]
	v_cmp_o_f16_e32 vcc, v21, v21
	s_and_saveexec_b64 s[2:3], vcc
	s_cbranch_execnz .LBB218_93
.LBB218_72:                             ;   in Loop: Header=BB218_68 Depth=1
	s_or_b64 exec, exec, s[2:3]
	v_cmp_o_f16_e32 vcc, v21, v21
	s_and_saveexec_b64 s[2:3], vcc
	s_cbranch_execnz .LBB218_96
.LBB218_73:                             ;   in Loop: Header=BB218_68 Depth=1
	s_or_b64 exec, exec, s[2:3]
	v_cmp_o_f16_e32 vcc, v21, v21
	s_and_saveexec_b64 s[2:3], vcc
	s_cbranch_execnz .LBB218_99
.LBB218_74:                             ;   in Loop: Header=BB218_68 Depth=1
	s_or_b64 exec, exec, s[2:3]
	v_cmp_o_f16_e32 vcc, v21, v21
	s_and_saveexec_b64 s[2:3], vcc
	s_cbranch_execnz .LBB218_102
.LBB218_75:                             ;   in Loop: Header=BB218_68 Depth=1
	s_or_b64 exec, exec, s[2:3]
	v_cmp_o_f16_e32 vcc, v21, v21
	s_and_saveexec_b64 s[2:3], vcc
	s_cbranch_execnz .LBB218_105
.LBB218_76:                             ;   in Loop: Header=BB218_68 Depth=1
	s_or_b64 exec, exec, s[2:3]
	v_cmp_o_f16_e32 vcc, v21, v21
	s_and_saveexec_b64 s[2:3], vcc
	s_cbranch_execnz .LBB218_108
.LBB218_77:                             ;   in Loop: Header=BB218_68 Depth=1
	s_or_b64 exec, exec, s[2:3]
	v_cmp_o_f16_e32 vcc, v21, v21
	s_and_saveexec_b64 s[2:3], vcc
	s_cbranch_execnz .LBB218_111
.LBB218_78:                             ;   in Loop: Header=BB218_68 Depth=1
	s_or_b64 exec, exec, s[2:3]
	v_cmp_o_f16_e32 vcc, v21, v21
	s_and_saveexec_b64 s[2:3], vcc
	s_cbranch_execnz .LBB218_114
.LBB218_79:                             ;   in Loop: Header=BB218_68 Depth=1
	s_or_b64 exec, exec, s[2:3]
	v_cmp_o_f16_e32 vcc, v21, v21
	s_and_saveexec_b64 s[2:3], vcc
	s_cbranch_execnz .LBB218_117
.LBB218_80:                             ;   in Loop: Header=BB218_68 Depth=1
	s_or_b64 exec, exec, s[2:3]
	v_cmp_o_f16_e32 vcc, v21, v21
	s_and_saveexec_b64 s[2:3], vcc
	s_cbranch_execnz .LBB218_120
.LBB218_81:                             ;   in Loop: Header=BB218_68 Depth=1
	s_or_b64 exec, exec, s[2:3]
	v_cmp_o_f16_e32 vcc, v21, v21
	s_and_saveexec_b64 s[2:3], vcc
	s_cbranch_execnz .LBB218_123
.LBB218_82:                             ;   in Loop: Header=BB218_68 Depth=1
	s_or_b64 exec, exec, s[2:3]
	v_cmp_o_f16_e32 vcc, v21, v21
	s_and_saveexec_b64 s[2:3], vcc
	s_cbranch_execnz .LBB218_126
.LBB218_83:                             ;   in Loop: Header=BB218_68 Depth=1
	s_or_b64 exec, exec, s[2:3]
	v_cmp_o_f16_e32 vcc, v21, v21
	s_and_saveexec_b64 s[2:3], vcc
	s_cbranch_execnz .LBB218_129
	s_branch .LBB218_132
.LBB218_84:                             ;   in Loop: Header=BB218_68 Depth=1
	s_waitcnt vmcnt(15)
	v_cmp_o_f16_e32 vcc, v19, v19
	v_mov_b32_e32 v21, v19
	s_and_saveexec_b64 s[4:5], vcc
; %bb.85:                               ;   in Loop: Header=BB218_68 Depth=1
	v_cmp_gt_f16_e32 vcc, v19, v11
	v_cndmask_b32_e32 v21, v11, v19, vcc
; %bb.86:                               ;   in Loop: Header=BB218_68 Depth=1
	s_or_b64 exec, exec, s[4:5]
	v_mov_b32_e32 v11, v21
	s_or_b64 exec, exec, s[2:3]
	v_cmp_o_f16_e32 vcc, v21, v21
	s_and_saveexec_b64 s[2:3], vcc
	s_cbranch_execz .LBB218_70
.LBB218_87:                             ;   in Loop: Header=BB218_68 Depth=1
	s_waitcnt vmcnt(14)
	v_cmp_o_f16_e32 vcc, v18, v18
	v_mov_b32_e32 v22, v18
	s_and_saveexec_b64 s[4:5], vcc
; %bb.88:                               ;   in Loop: Header=BB218_68 Depth=1
	v_cmp_lt_f16_e32 vcc, v21, v18
	v_cndmask_b32_e32 v22, v11, v18, vcc
; %bb.89:                               ;   in Loop: Header=BB218_68 Depth=1
	s_or_b64 exec, exec, s[4:5]
	v_mov_b32_e32 v21, v22
	v_mov_b32_e32 v11, v22
	s_or_b64 exec, exec, s[2:3]
	v_cmp_o_f16_e32 vcc, v21, v21
	s_and_saveexec_b64 s[2:3], vcc
	s_cbranch_execz .LBB218_71
.LBB218_90:                             ;   in Loop: Header=BB218_68 Depth=1
	s_waitcnt vmcnt(13)
	v_cmp_o_f16_e32 vcc, v17, v17
	v_mov_b32_e32 v22, v17
	s_and_saveexec_b64 s[4:5], vcc
; %bb.91:                               ;   in Loop: Header=BB218_68 Depth=1
	v_cmp_lt_f16_e32 vcc, v21, v17
	v_cndmask_b32_e32 v22, v11, v17, vcc
; %bb.92:                               ;   in Loop: Header=BB218_68 Depth=1
	s_or_b64 exec, exec, s[4:5]
	v_mov_b32_e32 v21, v22
	v_mov_b32_e32 v11, v22
	s_or_b64 exec, exec, s[2:3]
	v_cmp_o_f16_e32 vcc, v21, v21
	s_and_saveexec_b64 s[2:3], vcc
	s_cbranch_execz .LBB218_72
.LBB218_93:                             ;   in Loop: Header=BB218_68 Depth=1
	s_waitcnt vmcnt(12)
	v_cmp_o_f16_e32 vcc, v16, v16
	v_mov_b32_e32 v22, v16
	s_and_saveexec_b64 s[4:5], vcc
; %bb.94:                               ;   in Loop: Header=BB218_68 Depth=1
	v_cmp_lt_f16_e32 vcc, v21, v16
	v_cndmask_b32_e32 v22, v11, v16, vcc
; %bb.95:                               ;   in Loop: Header=BB218_68 Depth=1
	s_or_b64 exec, exec, s[4:5]
	v_mov_b32_e32 v21, v22
	v_mov_b32_e32 v11, v22
	s_or_b64 exec, exec, s[2:3]
	v_cmp_o_f16_e32 vcc, v21, v21
	s_and_saveexec_b64 s[2:3], vcc
	s_cbranch_execz .LBB218_73
.LBB218_96:                             ;   in Loop: Header=BB218_68 Depth=1
	s_waitcnt vmcnt(11)
	v_cmp_o_f16_e32 vcc, v15, v15
	v_mov_b32_e32 v22, v15
	s_and_saveexec_b64 s[4:5], vcc
; %bb.97:                               ;   in Loop: Header=BB218_68 Depth=1
	v_cmp_lt_f16_e32 vcc, v21, v15
	v_cndmask_b32_e32 v22, v11, v15, vcc
; %bb.98:                               ;   in Loop: Header=BB218_68 Depth=1
	s_or_b64 exec, exec, s[4:5]
	v_mov_b32_e32 v21, v22
	v_mov_b32_e32 v11, v22
	s_or_b64 exec, exec, s[2:3]
	v_cmp_o_f16_e32 vcc, v21, v21
	s_and_saveexec_b64 s[2:3], vcc
	s_cbranch_execz .LBB218_74
.LBB218_99:                             ;   in Loop: Header=BB218_68 Depth=1
	s_waitcnt vmcnt(10)
	v_cmp_o_f16_e32 vcc, v14, v14
	v_mov_b32_e32 v22, v14
	s_and_saveexec_b64 s[4:5], vcc
; %bb.100:                              ;   in Loop: Header=BB218_68 Depth=1
	v_cmp_lt_f16_e32 vcc, v21, v14
	v_cndmask_b32_e32 v22, v11, v14, vcc
; %bb.101:                              ;   in Loop: Header=BB218_68 Depth=1
	s_or_b64 exec, exec, s[4:5]
	v_mov_b32_e32 v21, v22
	v_mov_b32_e32 v11, v22
	s_or_b64 exec, exec, s[2:3]
	v_cmp_o_f16_e32 vcc, v21, v21
	s_and_saveexec_b64 s[2:3], vcc
	s_cbranch_execz .LBB218_75
.LBB218_102:                            ;   in Loop: Header=BB218_68 Depth=1
	s_waitcnt vmcnt(9)
	v_cmp_o_f16_e32 vcc, v13, v13
	v_mov_b32_e32 v22, v13
	s_and_saveexec_b64 s[4:5], vcc
; %bb.103:                              ;   in Loop: Header=BB218_68 Depth=1
	v_cmp_lt_f16_e32 vcc, v21, v13
	v_cndmask_b32_e32 v22, v11, v13, vcc
; %bb.104:                              ;   in Loop: Header=BB218_68 Depth=1
	s_or_b64 exec, exec, s[4:5]
	v_mov_b32_e32 v21, v22
	v_mov_b32_e32 v11, v22
	s_or_b64 exec, exec, s[2:3]
	v_cmp_o_f16_e32 vcc, v21, v21
	s_and_saveexec_b64 s[2:3], vcc
	s_cbranch_execz .LBB218_76
.LBB218_105:                            ;   in Loop: Header=BB218_68 Depth=1
	s_waitcnt vmcnt(8)
	v_cmp_o_f16_e32 vcc, v12, v12
	v_mov_b32_e32 v22, v12
	s_and_saveexec_b64 s[4:5], vcc
; %bb.106:                              ;   in Loop: Header=BB218_68 Depth=1
	v_cmp_lt_f16_e32 vcc, v21, v12
	v_cndmask_b32_e32 v22, v11, v12, vcc
; %bb.107:                              ;   in Loop: Header=BB218_68 Depth=1
	s_or_b64 exec, exec, s[4:5]
	v_mov_b32_e32 v21, v22
	v_mov_b32_e32 v11, v22
	s_or_b64 exec, exec, s[2:3]
	v_cmp_o_f16_e32 vcc, v21, v21
	s_and_saveexec_b64 s[2:3], vcc
	s_cbranch_execz .LBB218_77
.LBB218_108:                            ;   in Loop: Header=BB218_68 Depth=1
	s_waitcnt vmcnt(7)
	v_cmp_o_f16_e32 vcc, v10, v10
	v_mov_b32_e32 v22, v10
	s_and_saveexec_b64 s[4:5], vcc
; %bb.109:                              ;   in Loop: Header=BB218_68 Depth=1
	v_cmp_lt_f16_e32 vcc, v21, v10
	v_cndmask_b32_e32 v22, v11, v10, vcc
; %bb.110:                              ;   in Loop: Header=BB218_68 Depth=1
	s_or_b64 exec, exec, s[4:5]
	v_mov_b32_e32 v21, v22
	v_mov_b32_e32 v11, v22
	s_or_b64 exec, exec, s[2:3]
	v_cmp_o_f16_e32 vcc, v21, v21
	s_and_saveexec_b64 s[2:3], vcc
	s_cbranch_execz .LBB218_78
.LBB218_111:                            ;   in Loop: Header=BB218_68 Depth=1
	s_waitcnt vmcnt(6)
	v_cmp_o_f16_e32 vcc, v9, v9
	v_mov_b32_e32 v22, v9
	s_and_saveexec_b64 s[4:5], vcc
; %bb.112:                              ;   in Loop: Header=BB218_68 Depth=1
	v_cmp_lt_f16_e32 vcc, v21, v9
	v_cndmask_b32_e32 v22, v11, v9, vcc
; %bb.113:                              ;   in Loop: Header=BB218_68 Depth=1
	s_or_b64 exec, exec, s[4:5]
	v_mov_b32_e32 v21, v22
	v_mov_b32_e32 v11, v22
	s_or_b64 exec, exec, s[2:3]
	v_cmp_o_f16_e32 vcc, v21, v21
	s_and_saveexec_b64 s[2:3], vcc
	s_cbranch_execz .LBB218_79
.LBB218_114:                            ;   in Loop: Header=BB218_68 Depth=1
	s_waitcnt vmcnt(5)
	v_cmp_o_f16_e32 vcc, v8, v8
	v_mov_b32_e32 v22, v8
	s_and_saveexec_b64 s[4:5], vcc
; %bb.115:                              ;   in Loop: Header=BB218_68 Depth=1
	v_cmp_lt_f16_e32 vcc, v21, v8
	v_cndmask_b32_e32 v22, v11, v8, vcc
; %bb.116:                              ;   in Loop: Header=BB218_68 Depth=1
	s_or_b64 exec, exec, s[4:5]
	v_mov_b32_e32 v21, v22
	v_mov_b32_e32 v11, v22
	s_or_b64 exec, exec, s[2:3]
	v_cmp_o_f16_e32 vcc, v21, v21
	s_and_saveexec_b64 s[2:3], vcc
	s_cbranch_execz .LBB218_80
.LBB218_117:                            ;   in Loop: Header=BB218_68 Depth=1
	s_waitcnt vmcnt(4)
	v_cmp_o_f16_e32 vcc, v7, v7
	v_mov_b32_e32 v22, v7
	s_and_saveexec_b64 s[4:5], vcc
; %bb.118:                              ;   in Loop: Header=BB218_68 Depth=1
	v_cmp_lt_f16_e32 vcc, v21, v7
	v_cndmask_b32_e32 v22, v11, v7, vcc
; %bb.119:                              ;   in Loop: Header=BB218_68 Depth=1
	s_or_b64 exec, exec, s[4:5]
	v_mov_b32_e32 v21, v22
	v_mov_b32_e32 v11, v22
	s_or_b64 exec, exec, s[2:3]
	v_cmp_o_f16_e32 vcc, v21, v21
	s_and_saveexec_b64 s[2:3], vcc
	s_cbranch_execz .LBB218_81
.LBB218_120:                            ;   in Loop: Header=BB218_68 Depth=1
	s_waitcnt vmcnt(3)
	v_cmp_o_f16_e32 vcc, v6, v6
	v_mov_b32_e32 v22, v6
	s_and_saveexec_b64 s[4:5], vcc
; %bb.121:                              ;   in Loop: Header=BB218_68 Depth=1
	v_cmp_lt_f16_e32 vcc, v21, v6
	v_cndmask_b32_e32 v22, v11, v6, vcc
; %bb.122:                              ;   in Loop: Header=BB218_68 Depth=1
	s_or_b64 exec, exec, s[4:5]
	v_mov_b32_e32 v21, v22
	v_mov_b32_e32 v11, v22
	s_or_b64 exec, exec, s[2:3]
	v_cmp_o_f16_e32 vcc, v21, v21
	s_and_saveexec_b64 s[2:3], vcc
	s_cbranch_execz .LBB218_82
.LBB218_123:                            ;   in Loop: Header=BB218_68 Depth=1
	s_waitcnt vmcnt(2)
	v_cmp_o_f16_e32 vcc, v5, v5
	v_mov_b32_e32 v22, v5
	s_and_saveexec_b64 s[4:5], vcc
; %bb.124:                              ;   in Loop: Header=BB218_68 Depth=1
	v_cmp_lt_f16_e32 vcc, v21, v5
	v_cndmask_b32_e32 v22, v11, v5, vcc
; %bb.125:                              ;   in Loop: Header=BB218_68 Depth=1
	s_or_b64 exec, exec, s[4:5]
	v_mov_b32_e32 v21, v22
	v_mov_b32_e32 v11, v22
	s_or_b64 exec, exec, s[2:3]
	v_cmp_o_f16_e32 vcc, v21, v21
	s_and_saveexec_b64 s[2:3], vcc
	s_cbranch_execz .LBB218_83
.LBB218_126:                            ;   in Loop: Header=BB218_68 Depth=1
	s_waitcnt vmcnt(1)
	v_cmp_o_f16_e32 vcc, v4, v4
	v_mov_b32_e32 v22, v4
	s_and_saveexec_b64 s[4:5], vcc
; %bb.127:                              ;   in Loop: Header=BB218_68 Depth=1
	v_cmp_lt_f16_e32 vcc, v21, v4
	v_cndmask_b32_e32 v22, v11, v4, vcc
; %bb.128:                              ;   in Loop: Header=BB218_68 Depth=1
	s_or_b64 exec, exec, s[4:5]
	v_mov_b32_e32 v21, v22
	v_mov_b32_e32 v11, v22
	s_or_b64 exec, exec, s[2:3]
	v_cmp_o_f16_e32 vcc, v21, v21
	s_and_saveexec_b64 s[2:3], vcc
	s_cbranch_execz .LBB218_132
.LBB218_129:                            ;   in Loop: Header=BB218_68 Depth=1
	s_waitcnt vmcnt(0)
	v_cmp_o_f16_e32 vcc, v3, v3
	v_mov_b32_e32 v22, v3
	s_and_saveexec_b64 s[4:5], vcc
; %bb.130:                              ;   in Loop: Header=BB218_68 Depth=1
	v_cmp_lt_f16_e32 vcc, v21, v3
	v_cndmask_b32_e32 v22, v11, v3, vcc
; %bb.131:                              ;   in Loop: Header=BB218_68 Depth=1
	s_or_b64 exec, exec, s[4:5]
	v_mov_b32_e32 v11, v22
.LBB218_132:                            ;   in Loop: Header=BB218_68 Depth=1
	s_or_b64 exec, exec, s[2:3]
	s_add_u32 s2, s0, 0x1000
	s_addc_u32 s3, s1, 0
	s_add_u32 s0, s0, 0x2000
	v_mov_b32_e32 v21, s42
	s_addc_u32 s1, s1, 0
	v_mov_b32_e32 v22, s43
	v_add_co_u32_e32 v1, vcc, 0x2000, v1
	v_cmp_lt_i64_e64 s[0:1], s[0:1], v[21:22]
	v_addc_co_u32_e32 v2, vcc, 0, v2, vcc
	s_and_b64 vcc, exec, s[0:1]
	s_cbranch_vccz .LBB218_135
; %bb.133:                              ;   in Loop: Header=BB218_68 Depth=1
	s_mov_b64 s[0:1], s[2:3]
	s_branch .LBB218_68
.LBB218_134:
	s_mov_b64 s[2:3], s[0:1]
.LBB218_135:
	s_sub_i32 s50, s42, s2
	s_lshl_b64 s[0:1], s[2:3], 1
	s_add_u32 s46, s36, s0
	s_addc_u32 s47, s37, s1
	v_cmp_gt_u32_e64 s[30:31], s50, v0
	s_and_saveexec_b64 s[0:1], s[30:31]
	s_cbranch_execz .LBB218_137
; %bb.136:
	global_load_ushort v19, v20, s[46:47]
.LBB218_137:
	s_or_b64 exec, exec, s[0:1]
	v_or_b32_e32 v1, 0x100, v0
	v_cmp_gt_u32_e64 s[28:29], s50, v1
	s_and_saveexec_b64 s[0:1], s[28:29]
	s_cbranch_execz .LBB218_139
; %bb.138:
	global_load_ushort v18, v20, s[46:47] offset:512
.LBB218_139:
	s_or_b64 exec, exec, s[0:1]
	v_or_b32_e32 v1, 0x200, v0
	v_cmp_gt_u32_e64 s[26:27], s50, v1
	s_and_saveexec_b64 s[0:1], s[26:27]
	s_cbranch_execz .LBB218_141
; %bb.140:
	global_load_ushort v17, v20, s[46:47] offset:1024
.LBB218_141:
	;; [unrolled: 8-line block ×7, first 2 shown]
	s_or_b64 exec, exec, s[0:1]
	v_or_b32_e32 v1, 0x800, v0
	v_cmp_gt_u32_e64 s[14:15], s50, v1
	s_and_saveexec_b64 s[0:1], s[14:15]
	s_cbranch_execz .LBB218_153
; %bb.152:
	v_lshlrev_b32_e32 v1, 1, v1
	global_load_ushort v10, v1, s[46:47]
.LBB218_153:
	s_or_b64 exec, exec, s[0:1]
	v_or_b32_e32 v1, 0x900, v0
	v_cmp_gt_u32_e64 s[12:13], s50, v1
	s_and_saveexec_b64 s[0:1], s[12:13]
	s_cbranch_execz .LBB218_155
; %bb.154:
	v_lshlrev_b32_e32 v1, 1, v1
	global_load_ushort v9, v1, s[46:47]
.LBB218_155:
	;; [unrolled: 9-line block ×7, first 2 shown]
	s_or_b64 exec, exec, s[48:49]
	v_or_b32_e32 v1, 0xf00, v0
	v_cmp_gt_u32_e32 vcc, s50, v1
	s_and_saveexec_b64 s[48:49], vcc
	s_cbranch_execnz .LBB218_182
; %bb.166:
	s_or_b64 exec, exec, s[48:49]
	s_and_saveexec_b64 s[46:47], s[30:31]
	s_cbranch_execnz .LBB218_183
.LBB218_167:
	s_or_b64 exec, exec, s[46:47]
	s_and_saveexec_b64 s[30:31], s[28:29]
	s_cbranch_execnz .LBB218_188
.LBB218_168:
	s_or_b64 exec, exec, s[30:31]
	s_and_saveexec_b64 s[28:29], s[26:27]
	s_cbranch_execnz .LBB218_193
.LBB218_169:
	s_or_b64 exec, exec, s[28:29]
	s_and_saveexec_b64 s[26:27], s[24:25]
	s_cbranch_execnz .LBB218_198
.LBB218_170:
	s_or_b64 exec, exec, s[26:27]
	s_and_saveexec_b64 s[24:25], s[22:23]
	s_cbranch_execnz .LBB218_203
.LBB218_171:
	s_or_b64 exec, exec, s[24:25]
	s_and_saveexec_b64 s[22:23], s[20:21]
	s_cbranch_execnz .LBB218_208
.LBB218_172:
	s_or_b64 exec, exec, s[22:23]
	s_and_saveexec_b64 s[20:21], s[18:19]
	s_cbranch_execnz .LBB218_213
.LBB218_173:
	s_or_b64 exec, exec, s[20:21]
	s_and_saveexec_b64 s[18:19], s[16:17]
	s_cbranch_execnz .LBB218_218
.LBB218_174:
	s_or_b64 exec, exec, s[18:19]
	s_and_saveexec_b64 s[16:17], s[14:15]
	s_cbranch_execnz .LBB218_223
.LBB218_175:
	s_or_b64 exec, exec, s[16:17]
	s_and_saveexec_b64 s[14:15], s[12:13]
	s_cbranch_execnz .LBB218_228
.LBB218_176:
	s_or_b64 exec, exec, s[14:15]
	s_and_saveexec_b64 s[12:13], s[10:11]
	s_cbranch_execnz .LBB218_233
.LBB218_177:
	s_or_b64 exec, exec, s[12:13]
	s_and_saveexec_b64 s[10:11], s[8:9]
	s_cbranch_execnz .LBB218_238
.LBB218_178:
	s_or_b64 exec, exec, s[10:11]
	s_and_saveexec_b64 s[8:9], s[4:5]
	s_cbranch_execnz .LBB218_243
.LBB218_179:
	s_or_b64 exec, exec, s[8:9]
	s_and_saveexec_b64 s[4:5], s[2:3]
	s_cbranch_execnz .LBB218_248
.LBB218_180:
	s_or_b64 exec, exec, s[4:5]
	s_and_saveexec_b64 s[2:3], s[0:1]
	s_cbranch_execnz .LBB218_253
.LBB218_181:
	s_or_b64 exec, exec, s[2:3]
	s_and_saveexec_b64 s[0:1], vcc
	s_cbranch_execnz .LBB218_258
	s_branch .LBB218_263
.LBB218_182:
	v_lshlrev_b32_e32 v1, 1, v1
	global_load_ushort v3, v1, s[46:47]
	s_or_b64 exec, exec, s[48:49]
	s_and_saveexec_b64 s[46:47], s[30:31]
	s_cbranch_execz .LBB218_167
.LBB218_183:
	v_cmp_o_f16_e64 s[30:31], v11, v11
	s_and_saveexec_b64 s[48:49], s[30:31]
	s_cbranch_execz .LBB218_187
; %bb.184:
	s_waitcnt vmcnt(0)
	v_cmp_o_f16_e64 s[30:31], v19, v19
	s_and_saveexec_b64 s[50:51], s[30:31]
; %bb.185:
	v_cmp_gt_f16_e64 s[30:31], v19, v11
	v_cndmask_b32_e64 v19, v11, v19, s[30:31]
; %bb.186:
	s_or_b64 exec, exec, s[50:51]
	v_mov_b32_e32 v11, v19
.LBB218_187:
	s_or_b64 exec, exec, s[48:49]
	s_or_b64 exec, exec, s[46:47]
	s_and_saveexec_b64 s[30:31], s[28:29]
	s_cbranch_execz .LBB218_168
.LBB218_188:
	v_cmp_o_f16_e64 s[28:29], v11, v11
	s_and_saveexec_b64 s[46:47], s[28:29]
	s_cbranch_execz .LBB218_192
; %bb.189:
	s_waitcnt vmcnt(0)
	v_cmp_o_f16_e64 s[28:29], v18, v18
	s_and_saveexec_b64 s[48:49], s[28:29]
; %bb.190:
	v_cmp_gt_f16_e64 s[28:29], v18, v11
	v_cndmask_b32_e64 v18, v11, v18, s[28:29]
; %bb.191:
	s_or_b64 exec, exec, s[48:49]
	v_mov_b32_e32 v11, v18
.LBB218_192:
	s_or_b64 exec, exec, s[46:47]
	s_or_b64 exec, exec, s[30:31]
	s_and_saveexec_b64 s[28:29], s[26:27]
	s_cbranch_execz .LBB218_169
.LBB218_193:
	v_cmp_o_f16_e64 s[26:27], v11, v11
	s_and_saveexec_b64 s[30:31], s[26:27]
	s_cbranch_execz .LBB218_197
; %bb.194:
	s_waitcnt vmcnt(0)
	v_cmp_o_f16_e64 s[26:27], v17, v17
	s_and_saveexec_b64 s[46:47], s[26:27]
; %bb.195:
	v_cmp_gt_f16_e64 s[26:27], v17, v11
	v_cndmask_b32_e64 v17, v11, v17, s[26:27]
; %bb.196:
	s_or_b64 exec, exec, s[46:47]
	v_mov_b32_e32 v11, v17
.LBB218_197:
	s_or_b64 exec, exec, s[30:31]
	s_or_b64 exec, exec, s[28:29]
	s_and_saveexec_b64 s[26:27], s[24:25]
	s_cbranch_execz .LBB218_170
.LBB218_198:
	v_cmp_o_f16_e64 s[24:25], v11, v11
	s_and_saveexec_b64 s[28:29], s[24:25]
	s_cbranch_execz .LBB218_202
; %bb.199:
	s_waitcnt vmcnt(0)
	v_cmp_o_f16_e64 s[24:25], v16, v16
	s_and_saveexec_b64 s[30:31], s[24:25]
; %bb.200:
	v_cmp_gt_f16_e64 s[24:25], v16, v11
	v_cndmask_b32_e64 v16, v11, v16, s[24:25]
; %bb.201:
	s_or_b64 exec, exec, s[30:31]
	v_mov_b32_e32 v11, v16
.LBB218_202:
	s_or_b64 exec, exec, s[28:29]
	s_or_b64 exec, exec, s[26:27]
	s_and_saveexec_b64 s[24:25], s[22:23]
	s_cbranch_execz .LBB218_171
.LBB218_203:
	v_cmp_o_f16_e64 s[22:23], v11, v11
	s_and_saveexec_b64 s[26:27], s[22:23]
	s_cbranch_execz .LBB218_207
; %bb.204:
	s_waitcnt vmcnt(0)
	v_cmp_o_f16_e64 s[22:23], v15, v15
	s_and_saveexec_b64 s[28:29], s[22:23]
; %bb.205:
	v_cmp_gt_f16_e64 s[22:23], v15, v11
	v_cndmask_b32_e64 v15, v11, v15, s[22:23]
; %bb.206:
	s_or_b64 exec, exec, s[28:29]
	v_mov_b32_e32 v11, v15
.LBB218_207:
	s_or_b64 exec, exec, s[26:27]
	s_or_b64 exec, exec, s[24:25]
	s_and_saveexec_b64 s[22:23], s[20:21]
	s_cbranch_execz .LBB218_172
.LBB218_208:
	v_cmp_o_f16_e64 s[20:21], v11, v11
	s_and_saveexec_b64 s[24:25], s[20:21]
	s_cbranch_execz .LBB218_212
; %bb.209:
	s_waitcnt vmcnt(0)
	v_cmp_o_f16_e64 s[20:21], v14, v14
	s_and_saveexec_b64 s[26:27], s[20:21]
; %bb.210:
	v_cmp_gt_f16_e64 s[20:21], v14, v11
	v_cndmask_b32_e64 v14, v11, v14, s[20:21]
; %bb.211:
	s_or_b64 exec, exec, s[26:27]
	v_mov_b32_e32 v11, v14
.LBB218_212:
	s_or_b64 exec, exec, s[24:25]
	s_or_b64 exec, exec, s[22:23]
	s_and_saveexec_b64 s[20:21], s[18:19]
	s_cbranch_execz .LBB218_173
.LBB218_213:
	v_cmp_o_f16_e64 s[18:19], v11, v11
	s_and_saveexec_b64 s[22:23], s[18:19]
	s_cbranch_execz .LBB218_217
; %bb.214:
	s_waitcnt vmcnt(0)
	v_cmp_o_f16_e64 s[18:19], v13, v13
	s_and_saveexec_b64 s[24:25], s[18:19]
; %bb.215:
	v_cmp_gt_f16_e64 s[18:19], v13, v11
	v_cndmask_b32_e64 v13, v11, v13, s[18:19]
; %bb.216:
	s_or_b64 exec, exec, s[24:25]
	v_mov_b32_e32 v11, v13
.LBB218_217:
	s_or_b64 exec, exec, s[22:23]
	s_or_b64 exec, exec, s[20:21]
	s_and_saveexec_b64 s[18:19], s[16:17]
	s_cbranch_execz .LBB218_174
.LBB218_218:
	v_cmp_o_f16_e64 s[16:17], v11, v11
	s_and_saveexec_b64 s[20:21], s[16:17]
	s_cbranch_execz .LBB218_222
; %bb.219:
	s_waitcnt vmcnt(0)
	v_cmp_o_f16_e64 s[16:17], v12, v12
	s_and_saveexec_b64 s[22:23], s[16:17]
; %bb.220:
	v_cmp_gt_f16_e64 s[16:17], v12, v11
	v_cndmask_b32_e64 v12, v11, v12, s[16:17]
; %bb.221:
	s_or_b64 exec, exec, s[22:23]
	v_mov_b32_e32 v11, v12
.LBB218_222:
	s_or_b64 exec, exec, s[20:21]
	s_or_b64 exec, exec, s[18:19]
	s_and_saveexec_b64 s[16:17], s[14:15]
	s_cbranch_execz .LBB218_175
.LBB218_223:
	v_cmp_o_f16_e64 s[14:15], v11, v11
	s_and_saveexec_b64 s[18:19], s[14:15]
	s_cbranch_execz .LBB218_227
; %bb.224:
	s_waitcnt vmcnt(0)
	v_cmp_o_f16_e64 s[14:15], v10, v10
	s_and_saveexec_b64 s[20:21], s[14:15]
; %bb.225:
	v_cmp_gt_f16_e64 s[14:15], v10, v11
	v_cndmask_b32_e64 v10, v11, v10, s[14:15]
; %bb.226:
	s_or_b64 exec, exec, s[20:21]
	v_mov_b32_e32 v11, v10
.LBB218_227:
	s_or_b64 exec, exec, s[18:19]
	s_or_b64 exec, exec, s[16:17]
	s_and_saveexec_b64 s[14:15], s[12:13]
	s_cbranch_execz .LBB218_176
.LBB218_228:
	v_cmp_o_f16_e64 s[12:13], v11, v11
	s_and_saveexec_b64 s[16:17], s[12:13]
	s_cbranch_execz .LBB218_232
; %bb.229:
	s_waitcnt vmcnt(0)
	v_cmp_o_f16_e64 s[12:13], v9, v9
	s_and_saveexec_b64 s[18:19], s[12:13]
; %bb.230:
	v_cmp_gt_f16_e64 s[12:13], v9, v11
	v_cndmask_b32_e64 v9, v11, v9, s[12:13]
; %bb.231:
	s_or_b64 exec, exec, s[18:19]
	v_mov_b32_e32 v11, v9
.LBB218_232:
	s_or_b64 exec, exec, s[16:17]
	s_or_b64 exec, exec, s[14:15]
	s_and_saveexec_b64 s[12:13], s[10:11]
	s_cbranch_execz .LBB218_177
.LBB218_233:
	v_cmp_o_f16_e64 s[10:11], v11, v11
	s_and_saveexec_b64 s[14:15], s[10:11]
	s_cbranch_execz .LBB218_237
; %bb.234:
	s_waitcnt vmcnt(0)
	v_cmp_o_f16_e64 s[10:11], v8, v8
	s_and_saveexec_b64 s[16:17], s[10:11]
; %bb.235:
	v_cmp_gt_f16_e64 s[10:11], v8, v11
	v_cndmask_b32_e64 v8, v11, v8, s[10:11]
; %bb.236:
	s_or_b64 exec, exec, s[16:17]
	v_mov_b32_e32 v11, v8
.LBB218_237:
	s_or_b64 exec, exec, s[14:15]
	s_or_b64 exec, exec, s[12:13]
	s_and_saveexec_b64 s[10:11], s[8:9]
	s_cbranch_execz .LBB218_178
.LBB218_238:
	v_cmp_o_f16_e64 s[8:9], v11, v11
	s_and_saveexec_b64 s[12:13], s[8:9]
	s_cbranch_execz .LBB218_242
; %bb.239:
	s_waitcnt vmcnt(0)
	v_cmp_o_f16_e64 s[8:9], v7, v7
	s_and_saveexec_b64 s[14:15], s[8:9]
; %bb.240:
	v_cmp_gt_f16_e64 s[8:9], v7, v11
	v_cndmask_b32_e64 v7, v11, v7, s[8:9]
; %bb.241:
	s_or_b64 exec, exec, s[14:15]
	v_mov_b32_e32 v11, v7
.LBB218_242:
	s_or_b64 exec, exec, s[12:13]
	s_or_b64 exec, exec, s[10:11]
	s_and_saveexec_b64 s[8:9], s[4:5]
	s_cbranch_execz .LBB218_179
.LBB218_243:
	v_cmp_o_f16_e64 s[4:5], v11, v11
	s_and_saveexec_b64 s[10:11], s[4:5]
	s_cbranch_execz .LBB218_247
; %bb.244:
	s_waitcnt vmcnt(0)
	v_cmp_o_f16_e64 s[4:5], v6, v6
	s_and_saveexec_b64 s[12:13], s[4:5]
; %bb.245:
	v_cmp_gt_f16_e64 s[4:5], v6, v11
	v_cndmask_b32_e64 v6, v11, v6, s[4:5]
; %bb.246:
	s_or_b64 exec, exec, s[12:13]
	v_mov_b32_e32 v11, v6
.LBB218_247:
	s_or_b64 exec, exec, s[10:11]
	s_or_b64 exec, exec, s[8:9]
	s_and_saveexec_b64 s[4:5], s[2:3]
	s_cbranch_execz .LBB218_180
.LBB218_248:
	v_cmp_o_f16_e64 s[2:3], v11, v11
	s_and_saveexec_b64 s[8:9], s[2:3]
	s_cbranch_execz .LBB218_252
; %bb.249:
	s_waitcnt vmcnt(0)
	v_cmp_o_f16_e64 s[2:3], v5, v5
	s_and_saveexec_b64 s[10:11], s[2:3]
; %bb.250:
	v_cmp_gt_f16_e64 s[2:3], v5, v11
	v_cndmask_b32_e64 v5, v11, v5, s[2:3]
; %bb.251:
	s_or_b64 exec, exec, s[10:11]
	v_mov_b32_e32 v11, v5
.LBB218_252:
	s_or_b64 exec, exec, s[8:9]
	s_or_b64 exec, exec, s[4:5]
	s_and_saveexec_b64 s[2:3], s[0:1]
	s_cbranch_execz .LBB218_181
.LBB218_253:
	v_cmp_o_f16_e64 s[0:1], v11, v11
	s_and_saveexec_b64 s[4:5], s[0:1]
	s_cbranch_execz .LBB218_257
; %bb.254:
	s_waitcnt vmcnt(0)
	v_cmp_o_f16_e64 s[0:1], v4, v4
	s_and_saveexec_b64 s[8:9], s[0:1]
; %bb.255:
	v_cmp_gt_f16_e64 s[0:1], v4, v11
	v_cndmask_b32_e64 v4, v11, v4, s[0:1]
; %bb.256:
	s_or_b64 exec, exec, s[8:9]
	v_mov_b32_e32 v11, v4
.LBB218_257:
	s_or_b64 exec, exec, s[4:5]
	s_or_b64 exec, exec, s[2:3]
	s_and_saveexec_b64 s[0:1], vcc
	s_cbranch_execz .LBB218_263
.LBB218_258:
	v_cmp_o_f16_e32 vcc, v11, v11
	s_and_saveexec_b64 s[2:3], vcc
	s_cbranch_execz .LBB218_262
; %bb.259:
	s_waitcnt vmcnt(0)
	v_cmp_o_f16_e32 vcc, v3, v3
	s_and_saveexec_b64 s[4:5], vcc
; %bb.260:
	v_cmp_gt_f16_e32 vcc, v3, v11
	v_cndmask_b32_e32 v3, v11, v3, vcc
; %bb.261:
	s_or_b64 exec, exec, s[4:5]
	v_mov_b32_e32 v11, v3
.LBB218_262:
	s_or_b64 exec, exec, s[2:3]
.LBB218_263:
	s_or_b64 exec, exec, s[0:1]
	v_and_b32_e32 v1, 0xffff, v11
	s_nop 1
	v_mov_b32_dpp v1, v1 quad_perm:[1,0,3,2] row_mask:0xf bank_mask:0xf bound_ctrl:1
	v_cmp_o_f16_e32 vcc, v1, v1
	s_and_saveexec_b64 s[0:1], vcc
	s_xor_b64 s[0:1], exec, s[0:1]
	s_cbranch_execz .LBB218_267
; %bb.264:
	v_cmp_o_f16_e32 vcc, v11, v11
	s_and_saveexec_b64 s[2:3], vcc
; %bb.265:
	v_cmp_gt_f16_e32 vcc, v11, v1
	v_cndmask_b32_e32 v11, v1, v11, vcc
; %bb.266:
	s_or_b64 exec, exec, s[2:3]
	v_mov_b32_e32 v1, v11
.LBB218_267:
	s_or_b64 exec, exec, s[0:1]
	v_and_b32_e32 v2, 0xffff, v1
	s_nop 1
	v_mov_b32_dpp v2, v2 quad_perm:[2,3,0,1] row_mask:0xf bank_mask:0xf bound_ctrl:1
	v_cmp_o_f16_e32 vcc, v2, v2
	s_and_saveexec_b64 s[0:1], vcc
	s_cbranch_execz .LBB218_271
; %bb.268:
	v_cmp_o_f16_e32 vcc, v1, v1
	s_and_saveexec_b64 s[2:3], vcc
; %bb.269:
	v_cmp_gt_f16_e32 vcc, v1, v2
	v_cndmask_b32_e32 v1, v2, v1, vcc
; %bb.270:
	s_or_b64 exec, exec, s[2:3]
	v_mov_b32_e32 v2, v1
.LBB218_271:
	s_or_b64 exec, exec, s[0:1]
	v_and_b32_e32 v1, 0xffff, v2
	s_nop 1
	v_mov_b32_dpp v1, v1 row_ror:4 row_mask:0xf bank_mask:0xf bound_ctrl:1
	v_cmp_o_f16_e32 vcc, v1, v1
	s_and_saveexec_b64 s[0:1], vcc
	s_cbranch_execz .LBB218_275
; %bb.272:
	v_cmp_o_f16_e32 vcc, v2, v2
	s_and_saveexec_b64 s[2:3], vcc
; %bb.273:
	v_cmp_gt_f16_e32 vcc, v2, v1
	v_cndmask_b32_e32 v2, v1, v2, vcc
; %bb.274:
	s_or_b64 exec, exec, s[2:3]
	v_mov_b32_e32 v1, v2
.LBB218_275:
	s_or_b64 exec, exec, s[0:1]
	v_and_b32_e32 v2, 0xffff, v1
	s_nop 1
	v_mov_b32_dpp v2, v2 row_ror:8 row_mask:0xf bank_mask:0xf bound_ctrl:1
	v_cmp_o_f16_e32 vcc, v2, v2
	s_and_saveexec_b64 s[0:1], vcc
	s_cbranch_execz .LBB218_279
; %bb.276:
	v_cmp_o_f16_e32 vcc, v1, v1
	s_and_saveexec_b64 s[2:3], vcc
; %bb.277:
	v_cmp_gt_f16_e32 vcc, v1, v2
	v_cndmask_b32_e32 v1, v2, v1, vcc
; %bb.278:
	s_or_b64 exec, exec, s[2:3]
	v_mov_b32_e32 v2, v1
.LBB218_279:
	s_or_b64 exec, exec, s[0:1]
	v_and_b32_e32 v1, 0xffff, v2
	s_nop 1
	v_mov_b32_dpp v1, v1 row_bcast:15 row_mask:0xf bank_mask:0xf bound_ctrl:1
	v_cmp_o_f16_e32 vcc, v1, v1
	s_and_saveexec_b64 s[0:1], vcc
	s_cbranch_execz .LBB218_283
; %bb.280:
	v_cmp_o_f16_e32 vcc, v2, v2
	s_and_saveexec_b64 s[2:3], vcc
; %bb.281:
	v_cmp_gt_f16_e32 vcc, v2, v1
	v_cndmask_b32_e32 v2, v1, v2, vcc
; %bb.282:
	s_or_b64 exec, exec, s[2:3]
	v_mov_b32_e32 v1, v2
.LBB218_283:
	s_or_b64 exec, exec, s[0:1]
	v_and_b32_e32 v2, 0xffff, v1
	s_waitcnt vmcnt(0)
	s_nop 0
	v_mov_b32_dpp v3, v2 row_bcast:31 row_mask:0xf bank_mask:0xf bound_ctrl:1
	v_cmp_o_f16_e32 vcc, v3, v3
	s_and_saveexec_b64 s[0:1], vcc
	s_cbranch_execz .LBB218_287
; %bb.284:
	v_cmp_o_f16_e32 vcc, v1, v1
	s_and_saveexec_b64 s[2:3], vcc
; %bb.285:
	v_cmp_gt_f16_e32 vcc, v1, v3
	v_cndmask_b32_e32 v1, v3, v1, vcc
; %bb.286:
	s_or_b64 exec, exec, s[2:3]
	v_mov_b32_e32 v3, v1
.LBB218_287:
	s_or_b64 exec, exec, s[0:1]
	v_mbcnt_lo_u32_b32 v1, -1, 0
	v_mbcnt_hi_u32_b32 v2, -1, v1
	v_lshlrev_b32_e32 v1, 2, v2
	v_or_b32_e32 v4, 0xfc, v1
	v_and_b32_e32 v3, 0xffff, v3
	ds_bpermute_b32 v3, v4, v3
	v_cmp_eq_u32_e32 vcc, 0, v2
	s_and_saveexec_b64 s[0:1], vcc
	s_cbranch_execz .LBB218_289
; %bb.288:
	v_lshrrev_b32_e32 v4, 5, v0
	v_and_b32_e32 v4, 6, v4
	s_waitcnt lgkmcnt(0)
	ds_write_b16 v4, v3
.LBB218_289:
	s_or_b64 exec, exec, s[0:1]
	v_cmp_gt_u32_e32 vcc, 64, v0
	s_waitcnt lgkmcnt(0)
	s_barrier
	s_and_saveexec_b64 s[0:1], vcc
	s_cbranch_execz .LBB218_299
; %bb.290:
	v_and_b32_e32 v4, 3, v2
	v_lshlrev_b32_e32 v3, 1, v4
	ds_read_u16 v3, v3
	v_cmp_ne_u32_e32 vcc, 3, v4
	v_addc_co_u32_e32 v2, vcc, 0, v2, vcc
	v_lshlrev_b32_e32 v2, 2, v2
	s_waitcnt lgkmcnt(0)
	v_and_b32_e32 v4, 0xffff, v3
	ds_bpermute_b32 v2, v2, v4
	v_cmp_o_f16_e32 vcc, v3, v3
	s_and_saveexec_b64 s[2:3], vcc
	s_cbranch_execz .LBB218_294
; %bb.291:
	s_waitcnt lgkmcnt(0)
	v_cmp_o_f16_e32 vcc, v2, v2
	s_and_saveexec_b64 s[4:5], vcc
; %bb.292:
	v_cmp_lt_f16_e32 vcc, v3, v2
	v_cndmask_b32_e32 v2, v3, v2, vcc
; %bb.293:
	s_or_b64 exec, exec, s[4:5]
	v_mov_b32_e32 v3, v2
.LBB218_294:
	s_or_b64 exec, exec, s[2:3]
	v_or_b32_e32 v1, 8, v1
	s_waitcnt lgkmcnt(0)
	v_and_b32_e32 v2, 0xffff, v3
	ds_bpermute_b32 v1, v1, v2
	v_cmp_o_f16_e32 vcc, v3, v3
	s_and_saveexec_b64 s[2:3], vcc
	s_cbranch_execz .LBB218_298
; %bb.295:
	s_waitcnt lgkmcnt(0)
	v_cmp_o_f16_e32 vcc, v1, v1
	s_and_saveexec_b64 s[4:5], vcc
; %bb.296:
	v_cmp_lt_f16_e32 vcc, v3, v1
	v_cndmask_b32_e32 v1, v3, v1, vcc
; %bb.297:
	s_or_b64 exec, exec, s[4:5]
	v_mov_b32_e32 v3, v1
.LBB218_298:
	s_or_b64 exec, exec, s[2:3]
.LBB218_299:
	s_or_b64 exec, exec, s[0:1]
	s_branch .LBB218_402
.LBB218_300:
	s_sub_i32 s12, s42, s44
	v_cmp_gt_u32_e32 vcc, s12, v0
                                        ; implicit-def: $vgpr5
	s_and_saveexec_b64 s[2:3], vcc
	s_cbranch_execz .LBB218_310
; %bb.301:
	s_waitcnt lgkmcnt(0)
	v_mov_b32_e32 v1, s45
	v_add_co_u32_e32 v6, vcc, s44, v0
	v_addc_co_u32_e32 v7, vcc, 0, v1, vcc
	v_lshlrev_b64 v[2:3], 1, v[6:7]
	v_mov_b32_e32 v1, s37
	v_add_co_u32_e64 v4, s[0:1], s36, v2
	v_addc_co_u32_e64 v5, vcc, v1, v3, s[0:1]
	global_load_ushort v5, v[4:5], off
	v_add_co_u32_e32 v1, vcc, 0x100, v6
	v_addc_co_u32_e32 v2, vcc, 0, v7, vcc
	v_cmp_gt_i64_e32 vcc, s[42:43], v[1:2]
	s_and_saveexec_b64 s[4:5], vcc
	s_cbranch_execz .LBB218_309
; %bb.302:
	v_mov_b32_e32 v6, s37
	v_addc_co_u32_e64 v6, vcc, v6, v3, s[0:1]
	v_add_co_u32_e32 v3, vcc, 0x200, v4
	v_addc_co_u32_e32 v4, vcc, 0, v6, vcc
	s_mov_b64 s[8:9], 0
	s_branch .LBB218_305
.LBB218_303:                            ;   in Loop: Header=BB218_305 Depth=1
	s_or_b64 exec, exec, s[10:11]
	v_mov_b32_e32 v5, v6
.LBB218_304:                            ;   in Loop: Header=BB218_305 Depth=1
	s_or_b64 exec, exec, s[0:1]
	v_add_co_u32_e32 v1, vcc, 0x100, v1
	v_addc_co_u32_e32 v2, vcc, 0, v2, vcc
	v_cmp_le_i64_e64 s[0:1], s[42:43], v[1:2]
	v_add_co_u32_e32 v3, vcc, 0x200, v3
	s_or_b64 s[8:9], s[0:1], s[8:9]
	v_addc_co_u32_e32 v4, vcc, 0, v4, vcc
	s_andn2_b64 exec, exec, s[8:9]
	s_cbranch_execz .LBB218_308
.LBB218_305:                            ; =>This Inner Loop Header: Depth=1
	s_waitcnt vmcnt(0)
	v_cmp_o_f16_e32 vcc, v5, v5
	s_and_saveexec_b64 s[0:1], vcc
	s_cbranch_execz .LBB218_304
; %bb.306:                              ;   in Loop: Header=BB218_305 Depth=1
	global_load_ushort v6, v[3:4], off
	s_waitcnt vmcnt(0)
	v_cmp_o_f16_e32 vcc, v6, v6
	s_and_saveexec_b64 s[10:11], vcc
	s_cbranch_execz .LBB218_303
; %bb.307:                              ;   in Loop: Header=BB218_305 Depth=1
	v_cmp_lt_f16_e32 vcc, v5, v6
	v_cndmask_b32_e32 v6, v5, v6, vcc
	s_branch .LBB218_303
.LBB218_308:
	s_or_b64 exec, exec, s[8:9]
.LBB218_309:
	s_or_b64 exec, exec, s[4:5]
.LBB218_310:
	s_or_b64 exec, exec, s[2:3]
	s_waitcnt lgkmcnt(0)
	v_mbcnt_lo_u32_b32 v1, -1, 0
	s_cmpk_lt_u32 s12, 0x100
	v_lshrrev_b32_e32 v2, 6, v0
	v_mbcnt_hi_u32_b32 v1, -1, v1
	s_cbranch_scc0 .LBB218_364
; %bb.311:
	v_and_b32_e32 v4, 63, v1
	v_cmp_ne_u32_e32 vcc, 63, v4
	v_addc_co_u32_e32 v6, vcc, 0, v1, vcc
	v_lshlrev_b32_e32 v6, 2, v6
	s_waitcnt vmcnt(0)
	v_and_b32_e32 v8, 0xffff, v5
	ds_bpermute_b32 v7, v6, v8
	v_and_b32_e32 v3, 0xc0, v0
	v_sub_u32_e64 v6, s12, v3 clamp
	v_add_u32_e32 v3, 1, v4
	v_cmp_lt_u32_e32 vcc, v3, v6
	v_mov_b32_e32 v3, v5
	s_and_saveexec_b64 s[0:1], vcc
	s_cbranch_execz .LBB218_317
; %bb.312:
	v_cmp_o_f16_e32 vcc, v5, v5
	v_mov_b32_e32 v3, v5
	s_and_saveexec_b64 s[2:3], vcc
	s_cbranch_execz .LBB218_316
; %bb.313:
	s_waitcnt lgkmcnt(0)
	v_cmp_o_f16_e32 vcc, v7, v7
	s_and_saveexec_b64 s[4:5], vcc
; %bb.314:
	v_cmp_lt_f16_e32 vcc, v5, v7
	v_cndmask_b32_e32 v7, v5, v7, vcc
; %bb.315:
	s_or_b64 exec, exec, s[4:5]
	v_mov_b32_e32 v3, v7
.LBB218_316:
	s_or_b64 exec, exec, s[2:3]
	v_and_b32_e32 v8, 0xffff, v3
.LBB218_317:
	s_or_b64 exec, exec, s[0:1]
	v_cmp_gt_u32_e32 vcc, 62, v4
	s_waitcnt lgkmcnt(0)
	v_cndmask_b32_e64 v7, 0, 2, vcc
	v_add_lshl_u32 v7, v7, v1, 2
	ds_bpermute_b32 v7, v7, v8
	v_add_u32_e32 v9, 2, v4
	v_cmp_lt_u32_e32 vcc, v9, v6
	s_and_saveexec_b64 s[0:1], vcc
	s_cbranch_execz .LBB218_323
; %bb.318:
	v_cmp_o_f16_e32 vcc, v3, v3
	s_and_saveexec_b64 s[2:3], vcc
	s_cbranch_execz .LBB218_322
; %bb.319:
	s_waitcnt lgkmcnt(0)
	v_cmp_o_f16_e32 vcc, v7, v7
	s_and_saveexec_b64 s[4:5], vcc
; %bb.320:
	v_cmp_lt_f16_e32 vcc, v3, v7
	v_cndmask_b32_e32 v7, v3, v7, vcc
; %bb.321:
	s_or_b64 exec, exec, s[4:5]
	v_mov_b32_e32 v3, v7
.LBB218_322:
	s_or_b64 exec, exec, s[2:3]
	v_and_b32_e32 v8, 0xffff, v3
.LBB218_323:
	s_or_b64 exec, exec, s[0:1]
	v_cmp_gt_u32_e32 vcc, 60, v4
	s_waitcnt lgkmcnt(0)
	v_cndmask_b32_e64 v7, 0, 4, vcc
	v_add_lshl_u32 v7, v7, v1, 2
	ds_bpermute_b32 v7, v7, v8
	v_add_u32_e32 v9, 4, v4
	v_cmp_lt_u32_e32 vcc, v9, v6
	s_and_saveexec_b64 s[0:1], vcc
	s_cbranch_execz .LBB218_329
; %bb.324:
	v_cmp_o_f16_e32 vcc, v3, v3
	s_and_saveexec_b64 s[2:3], vcc
	s_cbranch_execz .LBB218_328
; %bb.325:
	s_waitcnt lgkmcnt(0)
	v_cmp_o_f16_e32 vcc, v7, v7
	s_and_saveexec_b64 s[4:5], vcc
; %bb.326:
	v_cmp_lt_f16_e32 vcc, v3, v7
	v_cndmask_b32_e32 v7, v3, v7, vcc
; %bb.327:
	s_or_b64 exec, exec, s[4:5]
	v_mov_b32_e32 v3, v7
.LBB218_328:
	s_or_b64 exec, exec, s[2:3]
	v_and_b32_e32 v8, 0xffff, v3
.LBB218_329:
	;; [unrolled: 28-line block ×4, first 2 shown]
	s_or_b64 exec, exec, s[0:1]
	s_waitcnt lgkmcnt(0)
	v_lshlrev_b32_e32 v7, 2, v1
	v_or_b32_e32 v9, 0x80, v7
	ds_bpermute_b32 v8, v9, v8
	v_add_u32_e32 v4, 32, v4
	v_cmp_lt_u32_e32 vcc, v4, v6
	s_and_saveexec_b64 s[0:1], vcc
	s_cbranch_execz .LBB218_347
; %bb.342:
	v_cmp_o_f16_e32 vcc, v3, v3
	s_and_saveexec_b64 s[2:3], vcc
	s_cbranch_execz .LBB218_346
; %bb.343:
	s_waitcnt lgkmcnt(0)
	v_cmp_o_f16_e32 vcc, v8, v8
	s_and_saveexec_b64 s[4:5], vcc
; %bb.344:
	v_cmp_lt_f16_e32 vcc, v3, v8
	v_cndmask_b32_e32 v8, v3, v8, vcc
; %bb.345:
	s_or_b64 exec, exec, s[4:5]
	v_mov_b32_e32 v3, v8
.LBB218_346:
	s_or_b64 exec, exec, s[2:3]
.LBB218_347:
	s_or_b64 exec, exec, s[0:1]
	v_cmp_eq_u32_e32 vcc, 0, v1
	s_and_saveexec_b64 s[0:1], vcc
; %bb.348:
	v_lshlrev_b32_e32 v4, 1, v2
	ds_write_b16 v4, v3
; %bb.349:
	s_or_b64 exec, exec, s[0:1]
	v_cmp_gt_u32_e32 vcc, 4, v0
	s_waitcnt lgkmcnt(0)
	s_barrier
	s_and_saveexec_b64 s[0:1], vcc
	s_cbranch_execz .LBB218_363
; %bb.350:
	v_lshlrev_b32_e32 v3, 1, v1
	ds_read_u16 v3, v3
	v_and_b32_e32 v4, 3, v1
	v_cmp_ne_u32_e32 vcc, 3, v4
	v_addc_co_u32_e32 v6, vcc, 0, v1, vcc
	v_lshlrev_b32_e32 v6, 2, v6
	s_waitcnt lgkmcnt(0)
	v_and_b32_e32 v8, 0xffff, v3
	ds_bpermute_b32 v6, v6, v8
	s_add_i32 s12, s12, 63
	s_lshr_b32 s10, s12, 6
	v_add_u32_e32 v9, 1, v4
	v_cmp_gt_u32_e32 vcc, s10, v9
	s_and_saveexec_b64 s[2:3], vcc
	s_cbranch_execz .LBB218_356
; %bb.351:
	v_cmp_o_f16_e32 vcc, v3, v3
	s_and_saveexec_b64 s[4:5], vcc
	s_cbranch_execz .LBB218_355
; %bb.352:
	s_waitcnt lgkmcnt(0)
	v_cmp_o_f16_e32 vcc, v6, v6
	s_and_saveexec_b64 s[8:9], vcc
; %bb.353:
	v_cmp_lt_f16_e32 vcc, v3, v6
	v_cndmask_b32_e32 v6, v3, v6, vcc
; %bb.354:
	s_or_b64 exec, exec, s[8:9]
	v_mov_b32_e32 v3, v6
.LBB218_355:
	s_or_b64 exec, exec, s[4:5]
	v_and_b32_e32 v8, 0xffff, v3
.LBB218_356:
	s_or_b64 exec, exec, s[2:3]
	s_waitcnt lgkmcnt(0)
	v_or_b32_e32 v6, 8, v7
	ds_bpermute_b32 v6, v6, v8
	v_add_u32_e32 v4, 2, v4
	v_cmp_gt_u32_e32 vcc, s10, v4
	s_and_saveexec_b64 s[2:3], vcc
	s_cbranch_execz .LBB218_362
; %bb.357:
	v_cmp_o_f16_e32 vcc, v3, v3
	s_and_saveexec_b64 s[4:5], vcc
	s_cbranch_execz .LBB218_361
; %bb.358:
	s_waitcnt lgkmcnt(0)
	v_cmp_o_f16_e32 vcc, v6, v6
	s_and_saveexec_b64 s[8:9], vcc
; %bb.359:
	v_cmp_lt_f16_e32 vcc, v3, v6
	v_cndmask_b32_e32 v6, v3, v6, vcc
; %bb.360:
	s_or_b64 exec, exec, s[8:9]
	v_mov_b32_e32 v3, v6
.LBB218_361:
	s_or_b64 exec, exec, s[4:5]
.LBB218_362:
	s_or_b64 exec, exec, s[2:3]
.LBB218_363:
	s_or_b64 exec, exec, s[0:1]
	s_branch .LBB218_402
.LBB218_364:
                                        ; implicit-def: $vgpr3
	s_cbranch_execz .LBB218_402
; %bb.365:
	s_waitcnt vmcnt(0)
	v_and_b32_e32 v3, 0xffff, v5
	s_nop 1
	v_mov_b32_dpp v3, v3 quad_perm:[1,0,3,2] row_mask:0xf bank_mask:0xf bound_ctrl:1
	v_cmp_o_f16_e32 vcc, v3, v3
	s_and_saveexec_b64 s[0:1], vcc
	s_cbranch_execz .LBB218_369
; %bb.366:
	v_cmp_o_f16_e32 vcc, v5, v5
	s_and_saveexec_b64 s[2:3], vcc
; %bb.367:
	v_cmp_gt_f16_e32 vcc, v5, v3
	v_cndmask_b32_e32 v5, v3, v5, vcc
; %bb.368:
	s_or_b64 exec, exec, s[2:3]
	v_mov_b32_e32 v3, v5
.LBB218_369:
	s_or_b64 exec, exec, s[0:1]
	v_and_b32_e32 v4, 0xffff, v3
	s_nop 1
	v_mov_b32_dpp v4, v4 quad_perm:[2,3,0,1] row_mask:0xf bank_mask:0xf bound_ctrl:1
	v_cmp_o_f16_e32 vcc, v4, v4
	s_and_saveexec_b64 s[0:1], vcc
	s_cbranch_execz .LBB218_373
; %bb.370:
	v_cmp_o_f16_e32 vcc, v3, v3
	s_and_saveexec_b64 s[2:3], vcc
; %bb.371:
	v_cmp_gt_f16_e32 vcc, v3, v4
	v_cndmask_b32_e32 v3, v4, v3, vcc
; %bb.372:
	s_or_b64 exec, exec, s[2:3]
	v_mov_b32_e32 v4, v3
.LBB218_373:
	s_or_b64 exec, exec, s[0:1]
	v_and_b32_e32 v3, 0xffff, v4
	s_nop 1
	v_mov_b32_dpp v3, v3 row_ror:4 row_mask:0xf bank_mask:0xf bound_ctrl:1
	v_cmp_o_f16_e32 vcc, v3, v3
	s_and_saveexec_b64 s[0:1], vcc
	s_cbranch_execz .LBB218_377
; %bb.374:
	v_cmp_o_f16_e32 vcc, v4, v4
	s_and_saveexec_b64 s[2:3], vcc
; %bb.375:
	v_cmp_gt_f16_e32 vcc, v4, v3
	v_cndmask_b32_e32 v4, v3, v4, vcc
; %bb.376:
	s_or_b64 exec, exec, s[2:3]
	v_mov_b32_e32 v3, v4
.LBB218_377:
	s_or_b64 exec, exec, s[0:1]
	v_and_b32_e32 v4, 0xffff, v3
	s_nop 1
	v_mov_b32_dpp v4, v4 row_ror:8 row_mask:0xf bank_mask:0xf bound_ctrl:1
	v_cmp_o_f16_e32 vcc, v4, v4
	s_and_saveexec_b64 s[0:1], vcc
	s_cbranch_execz .LBB218_381
; %bb.378:
	v_cmp_o_f16_e32 vcc, v3, v3
	s_and_saveexec_b64 s[2:3], vcc
; %bb.379:
	v_cmp_gt_f16_e32 vcc, v3, v4
	v_cndmask_b32_e32 v3, v4, v3, vcc
; %bb.380:
	s_or_b64 exec, exec, s[2:3]
	v_mov_b32_e32 v4, v3
.LBB218_381:
	s_or_b64 exec, exec, s[0:1]
	v_and_b32_e32 v3, 0xffff, v4
	s_nop 1
	v_mov_b32_dpp v3, v3 row_bcast:15 row_mask:0xf bank_mask:0xf bound_ctrl:1
	v_cmp_o_f16_e32 vcc, v3, v3
	s_and_saveexec_b64 s[0:1], vcc
	s_cbranch_execz .LBB218_385
; %bb.382:
	v_cmp_o_f16_e32 vcc, v4, v4
	s_and_saveexec_b64 s[2:3], vcc
; %bb.383:
	v_cmp_gt_f16_e32 vcc, v4, v3
	v_cndmask_b32_e32 v4, v3, v4, vcc
; %bb.384:
	s_or_b64 exec, exec, s[2:3]
	v_mov_b32_e32 v3, v4
.LBB218_385:
	s_or_b64 exec, exec, s[0:1]
	v_and_b32_e32 v4, 0xffff, v3
	s_nop 1
	v_mov_b32_dpp v5, v4 row_bcast:31 row_mask:0xf bank_mask:0xf bound_ctrl:1
	v_cmp_o_f16_e32 vcc, v5, v5
	s_and_saveexec_b64 s[0:1], vcc
	s_cbranch_execz .LBB218_389
; %bb.386:
	v_cmp_o_f16_e32 vcc, v3, v3
	s_and_saveexec_b64 s[2:3], vcc
; %bb.387:
	v_cmp_gt_f16_e32 vcc, v3, v5
	v_cndmask_b32_e32 v3, v5, v3, vcc
; %bb.388:
	s_or_b64 exec, exec, s[2:3]
	v_mov_b32_e32 v5, v3
.LBB218_389:
	s_or_b64 exec, exec, s[0:1]
	v_lshlrev_b32_e32 v4, 2, v1
	v_or_b32_e32 v3, 0xfc, v4
	v_and_b32_e32 v5, 0xffff, v5
	ds_bpermute_b32 v3, v3, v5
	v_cmp_eq_u32_e32 vcc, 0, v1
	s_and_saveexec_b64 s[0:1], vcc
	s_cbranch_execz .LBB218_391
; %bb.390:
	v_lshlrev_b32_e32 v2, 1, v2
	s_waitcnt lgkmcnt(0)
	ds_write_b16 v2, v3
.LBB218_391:
	s_or_b64 exec, exec, s[0:1]
	v_cmp_gt_u32_e32 vcc, 64, v0
	s_waitcnt lgkmcnt(0)
	s_barrier
	s_and_saveexec_b64 s[0:1], vcc
	s_cbranch_execz .LBB218_401
; %bb.392:
	v_and_b32_e32 v2, 3, v1
	v_lshlrev_b32_e32 v3, 1, v2
	ds_read_u16 v3, v3
	v_cmp_ne_u32_e32 vcc, 3, v2
	v_addc_co_u32_e32 v1, vcc, 0, v1, vcc
	v_lshlrev_b32_e32 v1, 2, v1
	s_waitcnt lgkmcnt(0)
	v_and_b32_e32 v2, 0xffff, v3
	ds_bpermute_b32 v1, v1, v2
	v_cmp_o_f16_e32 vcc, v3, v3
	s_and_saveexec_b64 s[2:3], vcc
	s_cbranch_execz .LBB218_396
; %bb.393:
	s_waitcnt lgkmcnt(0)
	v_cmp_o_f16_e32 vcc, v1, v1
	s_and_saveexec_b64 s[4:5], vcc
; %bb.394:
	v_cmp_lt_f16_e32 vcc, v3, v1
	v_cndmask_b32_e32 v1, v3, v1, vcc
; %bb.395:
	s_or_b64 exec, exec, s[4:5]
	v_mov_b32_e32 v3, v1
.LBB218_396:
	s_or_b64 exec, exec, s[2:3]
	s_waitcnt lgkmcnt(0)
	v_or_b32_e32 v1, 8, v4
	v_and_b32_e32 v2, 0xffff, v3
	ds_bpermute_b32 v1, v1, v2
	v_cmp_o_f16_e32 vcc, v3, v3
	s_and_saveexec_b64 s[2:3], vcc
	s_cbranch_execz .LBB218_400
; %bb.397:
	s_waitcnt lgkmcnt(0)
	v_cmp_o_f16_e32 vcc, v1, v1
	s_and_saveexec_b64 s[4:5], vcc
; %bb.398:
	v_cmp_lt_f16_e32 vcc, v3, v1
	v_cndmask_b32_e32 v1, v3, v1, vcc
; %bb.399:
	s_or_b64 exec, exec, s[4:5]
	v_mov_b32_e32 v3, v1
.LBB218_400:
	s_or_b64 exec, exec, s[2:3]
.LBB218_401:
	s_or_b64 exec, exec, s[0:1]
.LBB218_402:
	v_cmp_eq_u32_e32 vcc, 0, v0
                                        ; implicit-def: $vgpr1
	s_and_saveexec_b64 s[0:1], vcc
	s_cbranch_execz .LBB218_408
; %bb.403:
	v_cmp_u_f16_e64 s[2:3], s33, s33
	s_and_b64 vcc, exec, s[2:3]
	s_waitcnt lgkmcnt(0)
	v_mov_b32_e32 v1, s33
	s_cbranch_vccnz .LBB218_407
; %bb.404:
	v_cmp_o_f16_e32 vcc, v3, v3
	s_and_saveexec_b64 s[2:3], vcc
; %bb.405:
	v_mov_b32_e32 v0, s33
	v_cmp_lt_f16_e32 vcc, s33, v3
	v_cndmask_b32_e32 v3, v0, v3, vcc
; %bb.406:
	s_or_b64 exec, exec, s[2:3]
	v_mov_b32_e32 v1, v3
.LBB218_407:
	s_or_b64 s[34:35], s[34:35], exec
.LBB218_408:
	s_or_b64 exec, exec, s[0:1]
	s_and_saveexec_b64 s[0:1], s[34:35]
	s_cbranch_execz .LBB218_410
.LBB218_409:
	s_lshl_b64 s[0:1], s[40:41], 1
	s_add_u32 s2, s38, s0
	s_addc_u32 s3, s39, s1
	s_lshl_b64 s[0:1], s[6:7], 1
	s_add_u32 s0, s2, s0
	s_addc_u32 s1, s3, s1
	v_mov_b32_e32 v0, 0
	s_waitcnt lgkmcnt(0)
	global_store_short v0, v1, s[0:1]
.LBB218_410:
	s_endpgm
	.section	.rodata,"a",@progbits
	.p2align	6, 0x0
	.amdhsa_kernel _ZN7rocprim17ROCPRIM_400000_NS6detail17trampoline_kernelINS0_14default_configENS1_32segmented_reduce_config_selectorIN3c104HalfEEEZNS1_21segmented_reduce_implIS3_PKS6_PS6_PKlS6_N6hipcub16HIPCUB_304000_NS6detail27convert_result_type_wrapperISA_SB_N2at6native12_GLOBAL__N_19CustomMaxEEEEE10hipError_tPvRmT0_T1_jT2_SS_T4_T3_P12ihipStream_tbEUlT_E_NS1_11comp_targetILNS1_3genE2ELNS1_11target_archE906ELNS1_3gpuE6ELNS1_3repE0EEENS1_30default_config_static_selectorELNS0_4arch9wavefront6targetE1EEEvSR_
		.amdhsa_group_segment_fixed_size 8
		.amdhsa_private_segment_fixed_size 0
		.amdhsa_kernarg_size 48
		.amdhsa_user_sgpr_count 6
		.amdhsa_user_sgpr_private_segment_buffer 1
		.amdhsa_user_sgpr_dispatch_ptr 0
		.amdhsa_user_sgpr_queue_ptr 0
		.amdhsa_user_sgpr_kernarg_segment_ptr 1
		.amdhsa_user_sgpr_dispatch_id 0
		.amdhsa_user_sgpr_flat_scratch_init 0
		.amdhsa_user_sgpr_private_segment_size 0
		.amdhsa_uses_dynamic_stack 0
		.amdhsa_system_sgpr_private_segment_wavefront_offset 0
		.amdhsa_system_sgpr_workgroup_id_x 1
		.amdhsa_system_sgpr_workgroup_id_y 0
		.amdhsa_system_sgpr_workgroup_id_z 0
		.amdhsa_system_sgpr_workgroup_info 0
		.amdhsa_system_vgpr_workitem_id 0
		.amdhsa_next_free_vgpr 23
		.amdhsa_next_free_sgpr 52
		.amdhsa_reserve_vcc 1
		.amdhsa_reserve_flat_scratch 0
		.amdhsa_float_round_mode_32 0
		.amdhsa_float_round_mode_16_64 0
		.amdhsa_float_denorm_mode_32 3
		.amdhsa_float_denorm_mode_16_64 3
		.amdhsa_dx10_clamp 1
		.amdhsa_ieee_mode 1
		.amdhsa_fp16_overflow 0
		.amdhsa_exception_fp_ieee_invalid_op 0
		.amdhsa_exception_fp_denorm_src 0
		.amdhsa_exception_fp_ieee_div_zero 0
		.amdhsa_exception_fp_ieee_overflow 0
		.amdhsa_exception_fp_ieee_underflow 0
		.amdhsa_exception_fp_ieee_inexact 0
		.amdhsa_exception_int_div_zero 0
	.end_amdhsa_kernel
	.section	.text._ZN7rocprim17ROCPRIM_400000_NS6detail17trampoline_kernelINS0_14default_configENS1_32segmented_reduce_config_selectorIN3c104HalfEEEZNS1_21segmented_reduce_implIS3_PKS6_PS6_PKlS6_N6hipcub16HIPCUB_304000_NS6detail27convert_result_type_wrapperISA_SB_N2at6native12_GLOBAL__N_19CustomMaxEEEEE10hipError_tPvRmT0_T1_jT2_SS_T4_T3_P12ihipStream_tbEUlT_E_NS1_11comp_targetILNS1_3genE2ELNS1_11target_archE906ELNS1_3gpuE6ELNS1_3repE0EEENS1_30default_config_static_selectorELNS0_4arch9wavefront6targetE1EEEvSR_,"axG",@progbits,_ZN7rocprim17ROCPRIM_400000_NS6detail17trampoline_kernelINS0_14default_configENS1_32segmented_reduce_config_selectorIN3c104HalfEEEZNS1_21segmented_reduce_implIS3_PKS6_PS6_PKlS6_N6hipcub16HIPCUB_304000_NS6detail27convert_result_type_wrapperISA_SB_N2at6native12_GLOBAL__N_19CustomMaxEEEEE10hipError_tPvRmT0_T1_jT2_SS_T4_T3_P12ihipStream_tbEUlT_E_NS1_11comp_targetILNS1_3genE2ELNS1_11target_archE906ELNS1_3gpuE6ELNS1_3repE0EEENS1_30default_config_static_selectorELNS0_4arch9wavefront6targetE1EEEvSR_,comdat
.Lfunc_end218:
	.size	_ZN7rocprim17ROCPRIM_400000_NS6detail17trampoline_kernelINS0_14default_configENS1_32segmented_reduce_config_selectorIN3c104HalfEEEZNS1_21segmented_reduce_implIS3_PKS6_PS6_PKlS6_N6hipcub16HIPCUB_304000_NS6detail27convert_result_type_wrapperISA_SB_N2at6native12_GLOBAL__N_19CustomMaxEEEEE10hipError_tPvRmT0_T1_jT2_SS_T4_T3_P12ihipStream_tbEUlT_E_NS1_11comp_targetILNS1_3genE2ELNS1_11target_archE906ELNS1_3gpuE6ELNS1_3repE0EEENS1_30default_config_static_selectorELNS0_4arch9wavefront6targetE1EEEvSR_, .Lfunc_end218-_ZN7rocprim17ROCPRIM_400000_NS6detail17trampoline_kernelINS0_14default_configENS1_32segmented_reduce_config_selectorIN3c104HalfEEEZNS1_21segmented_reduce_implIS3_PKS6_PS6_PKlS6_N6hipcub16HIPCUB_304000_NS6detail27convert_result_type_wrapperISA_SB_N2at6native12_GLOBAL__N_19CustomMaxEEEEE10hipError_tPvRmT0_T1_jT2_SS_T4_T3_P12ihipStream_tbEUlT_E_NS1_11comp_targetILNS1_3genE2ELNS1_11target_archE906ELNS1_3gpuE6ELNS1_3repE0EEENS1_30default_config_static_selectorELNS0_4arch9wavefront6targetE1EEEvSR_
                                        ; -- End function
	.set _ZN7rocprim17ROCPRIM_400000_NS6detail17trampoline_kernelINS0_14default_configENS1_32segmented_reduce_config_selectorIN3c104HalfEEEZNS1_21segmented_reduce_implIS3_PKS6_PS6_PKlS6_N6hipcub16HIPCUB_304000_NS6detail27convert_result_type_wrapperISA_SB_N2at6native12_GLOBAL__N_19CustomMaxEEEEE10hipError_tPvRmT0_T1_jT2_SS_T4_T3_P12ihipStream_tbEUlT_E_NS1_11comp_targetILNS1_3genE2ELNS1_11target_archE906ELNS1_3gpuE6ELNS1_3repE0EEENS1_30default_config_static_selectorELNS0_4arch9wavefront6targetE1EEEvSR_.num_vgpr, 23
	.set _ZN7rocprim17ROCPRIM_400000_NS6detail17trampoline_kernelINS0_14default_configENS1_32segmented_reduce_config_selectorIN3c104HalfEEEZNS1_21segmented_reduce_implIS3_PKS6_PS6_PKlS6_N6hipcub16HIPCUB_304000_NS6detail27convert_result_type_wrapperISA_SB_N2at6native12_GLOBAL__N_19CustomMaxEEEEE10hipError_tPvRmT0_T1_jT2_SS_T4_T3_P12ihipStream_tbEUlT_E_NS1_11comp_targetILNS1_3genE2ELNS1_11target_archE906ELNS1_3gpuE6ELNS1_3repE0EEENS1_30default_config_static_selectorELNS0_4arch9wavefront6targetE1EEEvSR_.num_agpr, 0
	.set _ZN7rocprim17ROCPRIM_400000_NS6detail17trampoline_kernelINS0_14default_configENS1_32segmented_reduce_config_selectorIN3c104HalfEEEZNS1_21segmented_reduce_implIS3_PKS6_PS6_PKlS6_N6hipcub16HIPCUB_304000_NS6detail27convert_result_type_wrapperISA_SB_N2at6native12_GLOBAL__N_19CustomMaxEEEEE10hipError_tPvRmT0_T1_jT2_SS_T4_T3_P12ihipStream_tbEUlT_E_NS1_11comp_targetILNS1_3genE2ELNS1_11target_archE906ELNS1_3gpuE6ELNS1_3repE0EEENS1_30default_config_static_selectorELNS0_4arch9wavefront6targetE1EEEvSR_.numbered_sgpr, 52
	.set _ZN7rocprim17ROCPRIM_400000_NS6detail17trampoline_kernelINS0_14default_configENS1_32segmented_reduce_config_selectorIN3c104HalfEEEZNS1_21segmented_reduce_implIS3_PKS6_PS6_PKlS6_N6hipcub16HIPCUB_304000_NS6detail27convert_result_type_wrapperISA_SB_N2at6native12_GLOBAL__N_19CustomMaxEEEEE10hipError_tPvRmT0_T1_jT2_SS_T4_T3_P12ihipStream_tbEUlT_E_NS1_11comp_targetILNS1_3genE2ELNS1_11target_archE906ELNS1_3gpuE6ELNS1_3repE0EEENS1_30default_config_static_selectorELNS0_4arch9wavefront6targetE1EEEvSR_.num_named_barrier, 0
	.set _ZN7rocprim17ROCPRIM_400000_NS6detail17trampoline_kernelINS0_14default_configENS1_32segmented_reduce_config_selectorIN3c104HalfEEEZNS1_21segmented_reduce_implIS3_PKS6_PS6_PKlS6_N6hipcub16HIPCUB_304000_NS6detail27convert_result_type_wrapperISA_SB_N2at6native12_GLOBAL__N_19CustomMaxEEEEE10hipError_tPvRmT0_T1_jT2_SS_T4_T3_P12ihipStream_tbEUlT_E_NS1_11comp_targetILNS1_3genE2ELNS1_11target_archE906ELNS1_3gpuE6ELNS1_3repE0EEENS1_30default_config_static_selectorELNS0_4arch9wavefront6targetE1EEEvSR_.private_seg_size, 0
	.set _ZN7rocprim17ROCPRIM_400000_NS6detail17trampoline_kernelINS0_14default_configENS1_32segmented_reduce_config_selectorIN3c104HalfEEEZNS1_21segmented_reduce_implIS3_PKS6_PS6_PKlS6_N6hipcub16HIPCUB_304000_NS6detail27convert_result_type_wrapperISA_SB_N2at6native12_GLOBAL__N_19CustomMaxEEEEE10hipError_tPvRmT0_T1_jT2_SS_T4_T3_P12ihipStream_tbEUlT_E_NS1_11comp_targetILNS1_3genE2ELNS1_11target_archE906ELNS1_3gpuE6ELNS1_3repE0EEENS1_30default_config_static_selectorELNS0_4arch9wavefront6targetE1EEEvSR_.uses_vcc, 1
	.set _ZN7rocprim17ROCPRIM_400000_NS6detail17trampoline_kernelINS0_14default_configENS1_32segmented_reduce_config_selectorIN3c104HalfEEEZNS1_21segmented_reduce_implIS3_PKS6_PS6_PKlS6_N6hipcub16HIPCUB_304000_NS6detail27convert_result_type_wrapperISA_SB_N2at6native12_GLOBAL__N_19CustomMaxEEEEE10hipError_tPvRmT0_T1_jT2_SS_T4_T3_P12ihipStream_tbEUlT_E_NS1_11comp_targetILNS1_3genE2ELNS1_11target_archE906ELNS1_3gpuE6ELNS1_3repE0EEENS1_30default_config_static_selectorELNS0_4arch9wavefront6targetE1EEEvSR_.uses_flat_scratch, 0
	.set _ZN7rocprim17ROCPRIM_400000_NS6detail17trampoline_kernelINS0_14default_configENS1_32segmented_reduce_config_selectorIN3c104HalfEEEZNS1_21segmented_reduce_implIS3_PKS6_PS6_PKlS6_N6hipcub16HIPCUB_304000_NS6detail27convert_result_type_wrapperISA_SB_N2at6native12_GLOBAL__N_19CustomMaxEEEEE10hipError_tPvRmT0_T1_jT2_SS_T4_T3_P12ihipStream_tbEUlT_E_NS1_11comp_targetILNS1_3genE2ELNS1_11target_archE906ELNS1_3gpuE6ELNS1_3repE0EEENS1_30default_config_static_selectorELNS0_4arch9wavefront6targetE1EEEvSR_.has_dyn_sized_stack, 0
	.set _ZN7rocprim17ROCPRIM_400000_NS6detail17trampoline_kernelINS0_14default_configENS1_32segmented_reduce_config_selectorIN3c104HalfEEEZNS1_21segmented_reduce_implIS3_PKS6_PS6_PKlS6_N6hipcub16HIPCUB_304000_NS6detail27convert_result_type_wrapperISA_SB_N2at6native12_GLOBAL__N_19CustomMaxEEEEE10hipError_tPvRmT0_T1_jT2_SS_T4_T3_P12ihipStream_tbEUlT_E_NS1_11comp_targetILNS1_3genE2ELNS1_11target_archE906ELNS1_3gpuE6ELNS1_3repE0EEENS1_30default_config_static_selectorELNS0_4arch9wavefront6targetE1EEEvSR_.has_recursion, 0
	.set _ZN7rocprim17ROCPRIM_400000_NS6detail17trampoline_kernelINS0_14default_configENS1_32segmented_reduce_config_selectorIN3c104HalfEEEZNS1_21segmented_reduce_implIS3_PKS6_PS6_PKlS6_N6hipcub16HIPCUB_304000_NS6detail27convert_result_type_wrapperISA_SB_N2at6native12_GLOBAL__N_19CustomMaxEEEEE10hipError_tPvRmT0_T1_jT2_SS_T4_T3_P12ihipStream_tbEUlT_E_NS1_11comp_targetILNS1_3genE2ELNS1_11target_archE906ELNS1_3gpuE6ELNS1_3repE0EEENS1_30default_config_static_selectorELNS0_4arch9wavefront6targetE1EEEvSR_.has_indirect_call, 0
	.section	.AMDGPU.csdata,"",@progbits
; Kernel info:
; codeLenInByte = 7140
; TotalNumSgprs: 56
; NumVgprs: 23
; ScratchSize: 0
; MemoryBound: 0
; FloatMode: 240
; IeeeMode: 1
; LDSByteSize: 8 bytes/workgroup (compile time only)
; SGPRBlocks: 6
; VGPRBlocks: 5
; NumSGPRsForWavesPerEU: 56
; NumVGPRsForWavesPerEU: 23
; Occupancy: 10
; WaveLimiterHint : 1
; COMPUTE_PGM_RSRC2:SCRATCH_EN: 0
; COMPUTE_PGM_RSRC2:USER_SGPR: 6
; COMPUTE_PGM_RSRC2:TRAP_HANDLER: 0
; COMPUTE_PGM_RSRC2:TGID_X_EN: 1
; COMPUTE_PGM_RSRC2:TGID_Y_EN: 0
; COMPUTE_PGM_RSRC2:TGID_Z_EN: 0
; COMPUTE_PGM_RSRC2:TIDIG_COMP_CNT: 0
	.section	.text._ZN7rocprim17ROCPRIM_400000_NS6detail17trampoline_kernelINS0_14default_configENS1_32segmented_reduce_config_selectorIN3c104HalfEEEZNS1_21segmented_reduce_implIS3_PKS6_PS6_PKlS6_N6hipcub16HIPCUB_304000_NS6detail27convert_result_type_wrapperISA_SB_N2at6native12_GLOBAL__N_19CustomMaxEEEEE10hipError_tPvRmT0_T1_jT2_SS_T4_T3_P12ihipStream_tbEUlT_E_NS1_11comp_targetILNS1_3genE9ELNS1_11target_archE1100ELNS1_3gpuE3ELNS1_3repE0EEENS1_30default_config_static_selectorELNS0_4arch9wavefront6targetE1EEEvSR_,"axG",@progbits,_ZN7rocprim17ROCPRIM_400000_NS6detail17trampoline_kernelINS0_14default_configENS1_32segmented_reduce_config_selectorIN3c104HalfEEEZNS1_21segmented_reduce_implIS3_PKS6_PS6_PKlS6_N6hipcub16HIPCUB_304000_NS6detail27convert_result_type_wrapperISA_SB_N2at6native12_GLOBAL__N_19CustomMaxEEEEE10hipError_tPvRmT0_T1_jT2_SS_T4_T3_P12ihipStream_tbEUlT_E_NS1_11comp_targetILNS1_3genE9ELNS1_11target_archE1100ELNS1_3gpuE3ELNS1_3repE0EEENS1_30default_config_static_selectorELNS0_4arch9wavefront6targetE1EEEvSR_,comdat
	.globl	_ZN7rocprim17ROCPRIM_400000_NS6detail17trampoline_kernelINS0_14default_configENS1_32segmented_reduce_config_selectorIN3c104HalfEEEZNS1_21segmented_reduce_implIS3_PKS6_PS6_PKlS6_N6hipcub16HIPCUB_304000_NS6detail27convert_result_type_wrapperISA_SB_N2at6native12_GLOBAL__N_19CustomMaxEEEEE10hipError_tPvRmT0_T1_jT2_SS_T4_T3_P12ihipStream_tbEUlT_E_NS1_11comp_targetILNS1_3genE9ELNS1_11target_archE1100ELNS1_3gpuE3ELNS1_3repE0EEENS1_30default_config_static_selectorELNS0_4arch9wavefront6targetE1EEEvSR_ ; -- Begin function _ZN7rocprim17ROCPRIM_400000_NS6detail17trampoline_kernelINS0_14default_configENS1_32segmented_reduce_config_selectorIN3c104HalfEEEZNS1_21segmented_reduce_implIS3_PKS6_PS6_PKlS6_N6hipcub16HIPCUB_304000_NS6detail27convert_result_type_wrapperISA_SB_N2at6native12_GLOBAL__N_19CustomMaxEEEEE10hipError_tPvRmT0_T1_jT2_SS_T4_T3_P12ihipStream_tbEUlT_E_NS1_11comp_targetILNS1_3genE9ELNS1_11target_archE1100ELNS1_3gpuE3ELNS1_3repE0EEENS1_30default_config_static_selectorELNS0_4arch9wavefront6targetE1EEEvSR_
	.p2align	8
	.type	_ZN7rocprim17ROCPRIM_400000_NS6detail17trampoline_kernelINS0_14default_configENS1_32segmented_reduce_config_selectorIN3c104HalfEEEZNS1_21segmented_reduce_implIS3_PKS6_PS6_PKlS6_N6hipcub16HIPCUB_304000_NS6detail27convert_result_type_wrapperISA_SB_N2at6native12_GLOBAL__N_19CustomMaxEEEEE10hipError_tPvRmT0_T1_jT2_SS_T4_T3_P12ihipStream_tbEUlT_E_NS1_11comp_targetILNS1_3genE9ELNS1_11target_archE1100ELNS1_3gpuE3ELNS1_3repE0EEENS1_30default_config_static_selectorELNS0_4arch9wavefront6targetE1EEEvSR_,@function
_ZN7rocprim17ROCPRIM_400000_NS6detail17trampoline_kernelINS0_14default_configENS1_32segmented_reduce_config_selectorIN3c104HalfEEEZNS1_21segmented_reduce_implIS3_PKS6_PS6_PKlS6_N6hipcub16HIPCUB_304000_NS6detail27convert_result_type_wrapperISA_SB_N2at6native12_GLOBAL__N_19CustomMaxEEEEE10hipError_tPvRmT0_T1_jT2_SS_T4_T3_P12ihipStream_tbEUlT_E_NS1_11comp_targetILNS1_3genE9ELNS1_11target_archE1100ELNS1_3gpuE3ELNS1_3repE0EEENS1_30default_config_static_selectorELNS0_4arch9wavefront6targetE1EEEvSR_: ; @_ZN7rocprim17ROCPRIM_400000_NS6detail17trampoline_kernelINS0_14default_configENS1_32segmented_reduce_config_selectorIN3c104HalfEEEZNS1_21segmented_reduce_implIS3_PKS6_PS6_PKlS6_N6hipcub16HIPCUB_304000_NS6detail27convert_result_type_wrapperISA_SB_N2at6native12_GLOBAL__N_19CustomMaxEEEEE10hipError_tPvRmT0_T1_jT2_SS_T4_T3_P12ihipStream_tbEUlT_E_NS1_11comp_targetILNS1_3genE9ELNS1_11target_archE1100ELNS1_3gpuE3ELNS1_3repE0EEENS1_30default_config_static_selectorELNS0_4arch9wavefront6targetE1EEEvSR_
; %bb.0:
	.section	.rodata,"a",@progbits
	.p2align	6, 0x0
	.amdhsa_kernel _ZN7rocprim17ROCPRIM_400000_NS6detail17trampoline_kernelINS0_14default_configENS1_32segmented_reduce_config_selectorIN3c104HalfEEEZNS1_21segmented_reduce_implIS3_PKS6_PS6_PKlS6_N6hipcub16HIPCUB_304000_NS6detail27convert_result_type_wrapperISA_SB_N2at6native12_GLOBAL__N_19CustomMaxEEEEE10hipError_tPvRmT0_T1_jT2_SS_T4_T3_P12ihipStream_tbEUlT_E_NS1_11comp_targetILNS1_3genE9ELNS1_11target_archE1100ELNS1_3gpuE3ELNS1_3repE0EEENS1_30default_config_static_selectorELNS0_4arch9wavefront6targetE1EEEvSR_
		.amdhsa_group_segment_fixed_size 0
		.amdhsa_private_segment_fixed_size 0
		.amdhsa_kernarg_size 48
		.amdhsa_user_sgpr_count 6
		.amdhsa_user_sgpr_private_segment_buffer 1
		.amdhsa_user_sgpr_dispatch_ptr 0
		.amdhsa_user_sgpr_queue_ptr 0
		.amdhsa_user_sgpr_kernarg_segment_ptr 1
		.amdhsa_user_sgpr_dispatch_id 0
		.amdhsa_user_sgpr_flat_scratch_init 0
		.amdhsa_user_sgpr_private_segment_size 0
		.amdhsa_uses_dynamic_stack 0
		.amdhsa_system_sgpr_private_segment_wavefront_offset 0
		.amdhsa_system_sgpr_workgroup_id_x 1
		.amdhsa_system_sgpr_workgroup_id_y 0
		.amdhsa_system_sgpr_workgroup_id_z 0
		.amdhsa_system_sgpr_workgroup_info 0
		.amdhsa_system_vgpr_workitem_id 0
		.amdhsa_next_free_vgpr 1
		.amdhsa_next_free_sgpr 0
		.amdhsa_reserve_vcc 0
		.amdhsa_reserve_flat_scratch 0
		.amdhsa_float_round_mode_32 0
		.amdhsa_float_round_mode_16_64 0
		.amdhsa_float_denorm_mode_32 3
		.amdhsa_float_denorm_mode_16_64 3
		.amdhsa_dx10_clamp 1
		.amdhsa_ieee_mode 1
		.amdhsa_fp16_overflow 0
		.amdhsa_exception_fp_ieee_invalid_op 0
		.amdhsa_exception_fp_denorm_src 0
		.amdhsa_exception_fp_ieee_div_zero 0
		.amdhsa_exception_fp_ieee_overflow 0
		.amdhsa_exception_fp_ieee_underflow 0
		.amdhsa_exception_fp_ieee_inexact 0
		.amdhsa_exception_int_div_zero 0
	.end_amdhsa_kernel
	.section	.text._ZN7rocprim17ROCPRIM_400000_NS6detail17trampoline_kernelINS0_14default_configENS1_32segmented_reduce_config_selectorIN3c104HalfEEEZNS1_21segmented_reduce_implIS3_PKS6_PS6_PKlS6_N6hipcub16HIPCUB_304000_NS6detail27convert_result_type_wrapperISA_SB_N2at6native12_GLOBAL__N_19CustomMaxEEEEE10hipError_tPvRmT0_T1_jT2_SS_T4_T3_P12ihipStream_tbEUlT_E_NS1_11comp_targetILNS1_3genE9ELNS1_11target_archE1100ELNS1_3gpuE3ELNS1_3repE0EEENS1_30default_config_static_selectorELNS0_4arch9wavefront6targetE1EEEvSR_,"axG",@progbits,_ZN7rocprim17ROCPRIM_400000_NS6detail17trampoline_kernelINS0_14default_configENS1_32segmented_reduce_config_selectorIN3c104HalfEEEZNS1_21segmented_reduce_implIS3_PKS6_PS6_PKlS6_N6hipcub16HIPCUB_304000_NS6detail27convert_result_type_wrapperISA_SB_N2at6native12_GLOBAL__N_19CustomMaxEEEEE10hipError_tPvRmT0_T1_jT2_SS_T4_T3_P12ihipStream_tbEUlT_E_NS1_11comp_targetILNS1_3genE9ELNS1_11target_archE1100ELNS1_3gpuE3ELNS1_3repE0EEENS1_30default_config_static_selectorELNS0_4arch9wavefront6targetE1EEEvSR_,comdat
.Lfunc_end219:
	.size	_ZN7rocprim17ROCPRIM_400000_NS6detail17trampoline_kernelINS0_14default_configENS1_32segmented_reduce_config_selectorIN3c104HalfEEEZNS1_21segmented_reduce_implIS3_PKS6_PS6_PKlS6_N6hipcub16HIPCUB_304000_NS6detail27convert_result_type_wrapperISA_SB_N2at6native12_GLOBAL__N_19CustomMaxEEEEE10hipError_tPvRmT0_T1_jT2_SS_T4_T3_P12ihipStream_tbEUlT_E_NS1_11comp_targetILNS1_3genE9ELNS1_11target_archE1100ELNS1_3gpuE3ELNS1_3repE0EEENS1_30default_config_static_selectorELNS0_4arch9wavefront6targetE1EEEvSR_, .Lfunc_end219-_ZN7rocprim17ROCPRIM_400000_NS6detail17trampoline_kernelINS0_14default_configENS1_32segmented_reduce_config_selectorIN3c104HalfEEEZNS1_21segmented_reduce_implIS3_PKS6_PS6_PKlS6_N6hipcub16HIPCUB_304000_NS6detail27convert_result_type_wrapperISA_SB_N2at6native12_GLOBAL__N_19CustomMaxEEEEE10hipError_tPvRmT0_T1_jT2_SS_T4_T3_P12ihipStream_tbEUlT_E_NS1_11comp_targetILNS1_3genE9ELNS1_11target_archE1100ELNS1_3gpuE3ELNS1_3repE0EEENS1_30default_config_static_selectorELNS0_4arch9wavefront6targetE1EEEvSR_
                                        ; -- End function
	.set _ZN7rocprim17ROCPRIM_400000_NS6detail17trampoline_kernelINS0_14default_configENS1_32segmented_reduce_config_selectorIN3c104HalfEEEZNS1_21segmented_reduce_implIS3_PKS6_PS6_PKlS6_N6hipcub16HIPCUB_304000_NS6detail27convert_result_type_wrapperISA_SB_N2at6native12_GLOBAL__N_19CustomMaxEEEEE10hipError_tPvRmT0_T1_jT2_SS_T4_T3_P12ihipStream_tbEUlT_E_NS1_11comp_targetILNS1_3genE9ELNS1_11target_archE1100ELNS1_3gpuE3ELNS1_3repE0EEENS1_30default_config_static_selectorELNS0_4arch9wavefront6targetE1EEEvSR_.num_vgpr, 0
	.set _ZN7rocprim17ROCPRIM_400000_NS6detail17trampoline_kernelINS0_14default_configENS1_32segmented_reduce_config_selectorIN3c104HalfEEEZNS1_21segmented_reduce_implIS3_PKS6_PS6_PKlS6_N6hipcub16HIPCUB_304000_NS6detail27convert_result_type_wrapperISA_SB_N2at6native12_GLOBAL__N_19CustomMaxEEEEE10hipError_tPvRmT0_T1_jT2_SS_T4_T3_P12ihipStream_tbEUlT_E_NS1_11comp_targetILNS1_3genE9ELNS1_11target_archE1100ELNS1_3gpuE3ELNS1_3repE0EEENS1_30default_config_static_selectorELNS0_4arch9wavefront6targetE1EEEvSR_.num_agpr, 0
	.set _ZN7rocprim17ROCPRIM_400000_NS6detail17trampoline_kernelINS0_14default_configENS1_32segmented_reduce_config_selectorIN3c104HalfEEEZNS1_21segmented_reduce_implIS3_PKS6_PS6_PKlS6_N6hipcub16HIPCUB_304000_NS6detail27convert_result_type_wrapperISA_SB_N2at6native12_GLOBAL__N_19CustomMaxEEEEE10hipError_tPvRmT0_T1_jT2_SS_T4_T3_P12ihipStream_tbEUlT_E_NS1_11comp_targetILNS1_3genE9ELNS1_11target_archE1100ELNS1_3gpuE3ELNS1_3repE0EEENS1_30default_config_static_selectorELNS0_4arch9wavefront6targetE1EEEvSR_.numbered_sgpr, 0
	.set _ZN7rocprim17ROCPRIM_400000_NS6detail17trampoline_kernelINS0_14default_configENS1_32segmented_reduce_config_selectorIN3c104HalfEEEZNS1_21segmented_reduce_implIS3_PKS6_PS6_PKlS6_N6hipcub16HIPCUB_304000_NS6detail27convert_result_type_wrapperISA_SB_N2at6native12_GLOBAL__N_19CustomMaxEEEEE10hipError_tPvRmT0_T1_jT2_SS_T4_T3_P12ihipStream_tbEUlT_E_NS1_11comp_targetILNS1_3genE9ELNS1_11target_archE1100ELNS1_3gpuE3ELNS1_3repE0EEENS1_30default_config_static_selectorELNS0_4arch9wavefront6targetE1EEEvSR_.num_named_barrier, 0
	.set _ZN7rocprim17ROCPRIM_400000_NS6detail17trampoline_kernelINS0_14default_configENS1_32segmented_reduce_config_selectorIN3c104HalfEEEZNS1_21segmented_reduce_implIS3_PKS6_PS6_PKlS6_N6hipcub16HIPCUB_304000_NS6detail27convert_result_type_wrapperISA_SB_N2at6native12_GLOBAL__N_19CustomMaxEEEEE10hipError_tPvRmT0_T1_jT2_SS_T4_T3_P12ihipStream_tbEUlT_E_NS1_11comp_targetILNS1_3genE9ELNS1_11target_archE1100ELNS1_3gpuE3ELNS1_3repE0EEENS1_30default_config_static_selectorELNS0_4arch9wavefront6targetE1EEEvSR_.private_seg_size, 0
	.set _ZN7rocprim17ROCPRIM_400000_NS6detail17trampoline_kernelINS0_14default_configENS1_32segmented_reduce_config_selectorIN3c104HalfEEEZNS1_21segmented_reduce_implIS3_PKS6_PS6_PKlS6_N6hipcub16HIPCUB_304000_NS6detail27convert_result_type_wrapperISA_SB_N2at6native12_GLOBAL__N_19CustomMaxEEEEE10hipError_tPvRmT0_T1_jT2_SS_T4_T3_P12ihipStream_tbEUlT_E_NS1_11comp_targetILNS1_3genE9ELNS1_11target_archE1100ELNS1_3gpuE3ELNS1_3repE0EEENS1_30default_config_static_selectorELNS0_4arch9wavefront6targetE1EEEvSR_.uses_vcc, 0
	.set _ZN7rocprim17ROCPRIM_400000_NS6detail17trampoline_kernelINS0_14default_configENS1_32segmented_reduce_config_selectorIN3c104HalfEEEZNS1_21segmented_reduce_implIS3_PKS6_PS6_PKlS6_N6hipcub16HIPCUB_304000_NS6detail27convert_result_type_wrapperISA_SB_N2at6native12_GLOBAL__N_19CustomMaxEEEEE10hipError_tPvRmT0_T1_jT2_SS_T4_T3_P12ihipStream_tbEUlT_E_NS1_11comp_targetILNS1_3genE9ELNS1_11target_archE1100ELNS1_3gpuE3ELNS1_3repE0EEENS1_30default_config_static_selectorELNS0_4arch9wavefront6targetE1EEEvSR_.uses_flat_scratch, 0
	.set _ZN7rocprim17ROCPRIM_400000_NS6detail17trampoline_kernelINS0_14default_configENS1_32segmented_reduce_config_selectorIN3c104HalfEEEZNS1_21segmented_reduce_implIS3_PKS6_PS6_PKlS6_N6hipcub16HIPCUB_304000_NS6detail27convert_result_type_wrapperISA_SB_N2at6native12_GLOBAL__N_19CustomMaxEEEEE10hipError_tPvRmT0_T1_jT2_SS_T4_T3_P12ihipStream_tbEUlT_E_NS1_11comp_targetILNS1_3genE9ELNS1_11target_archE1100ELNS1_3gpuE3ELNS1_3repE0EEENS1_30default_config_static_selectorELNS0_4arch9wavefront6targetE1EEEvSR_.has_dyn_sized_stack, 0
	.set _ZN7rocprim17ROCPRIM_400000_NS6detail17trampoline_kernelINS0_14default_configENS1_32segmented_reduce_config_selectorIN3c104HalfEEEZNS1_21segmented_reduce_implIS3_PKS6_PS6_PKlS6_N6hipcub16HIPCUB_304000_NS6detail27convert_result_type_wrapperISA_SB_N2at6native12_GLOBAL__N_19CustomMaxEEEEE10hipError_tPvRmT0_T1_jT2_SS_T4_T3_P12ihipStream_tbEUlT_E_NS1_11comp_targetILNS1_3genE9ELNS1_11target_archE1100ELNS1_3gpuE3ELNS1_3repE0EEENS1_30default_config_static_selectorELNS0_4arch9wavefront6targetE1EEEvSR_.has_recursion, 0
	.set _ZN7rocprim17ROCPRIM_400000_NS6detail17trampoline_kernelINS0_14default_configENS1_32segmented_reduce_config_selectorIN3c104HalfEEEZNS1_21segmented_reduce_implIS3_PKS6_PS6_PKlS6_N6hipcub16HIPCUB_304000_NS6detail27convert_result_type_wrapperISA_SB_N2at6native12_GLOBAL__N_19CustomMaxEEEEE10hipError_tPvRmT0_T1_jT2_SS_T4_T3_P12ihipStream_tbEUlT_E_NS1_11comp_targetILNS1_3genE9ELNS1_11target_archE1100ELNS1_3gpuE3ELNS1_3repE0EEENS1_30default_config_static_selectorELNS0_4arch9wavefront6targetE1EEEvSR_.has_indirect_call, 0
	.section	.AMDGPU.csdata,"",@progbits
; Kernel info:
; codeLenInByte = 0
; TotalNumSgprs: 4
; NumVgprs: 0
; ScratchSize: 0
; MemoryBound: 0
; FloatMode: 240
; IeeeMode: 1
; LDSByteSize: 0 bytes/workgroup (compile time only)
; SGPRBlocks: 0
; VGPRBlocks: 0
; NumSGPRsForWavesPerEU: 4
; NumVGPRsForWavesPerEU: 1
; Occupancy: 10
; WaveLimiterHint : 0
; COMPUTE_PGM_RSRC2:SCRATCH_EN: 0
; COMPUTE_PGM_RSRC2:USER_SGPR: 6
; COMPUTE_PGM_RSRC2:TRAP_HANDLER: 0
; COMPUTE_PGM_RSRC2:TGID_X_EN: 1
; COMPUTE_PGM_RSRC2:TGID_Y_EN: 0
; COMPUTE_PGM_RSRC2:TGID_Z_EN: 0
; COMPUTE_PGM_RSRC2:TIDIG_COMP_CNT: 0
	.section	.text._ZN7rocprim17ROCPRIM_400000_NS6detail17trampoline_kernelINS0_14default_configENS1_32segmented_reduce_config_selectorIN3c104HalfEEEZNS1_21segmented_reduce_implIS3_PKS6_PS6_PKlS6_N6hipcub16HIPCUB_304000_NS6detail27convert_result_type_wrapperISA_SB_N2at6native12_GLOBAL__N_19CustomMaxEEEEE10hipError_tPvRmT0_T1_jT2_SS_T4_T3_P12ihipStream_tbEUlT_E_NS1_11comp_targetILNS1_3genE8ELNS1_11target_archE1030ELNS1_3gpuE2ELNS1_3repE0EEENS1_30default_config_static_selectorELNS0_4arch9wavefront6targetE1EEEvSR_,"axG",@progbits,_ZN7rocprim17ROCPRIM_400000_NS6detail17trampoline_kernelINS0_14default_configENS1_32segmented_reduce_config_selectorIN3c104HalfEEEZNS1_21segmented_reduce_implIS3_PKS6_PS6_PKlS6_N6hipcub16HIPCUB_304000_NS6detail27convert_result_type_wrapperISA_SB_N2at6native12_GLOBAL__N_19CustomMaxEEEEE10hipError_tPvRmT0_T1_jT2_SS_T4_T3_P12ihipStream_tbEUlT_E_NS1_11comp_targetILNS1_3genE8ELNS1_11target_archE1030ELNS1_3gpuE2ELNS1_3repE0EEENS1_30default_config_static_selectorELNS0_4arch9wavefront6targetE1EEEvSR_,comdat
	.globl	_ZN7rocprim17ROCPRIM_400000_NS6detail17trampoline_kernelINS0_14default_configENS1_32segmented_reduce_config_selectorIN3c104HalfEEEZNS1_21segmented_reduce_implIS3_PKS6_PS6_PKlS6_N6hipcub16HIPCUB_304000_NS6detail27convert_result_type_wrapperISA_SB_N2at6native12_GLOBAL__N_19CustomMaxEEEEE10hipError_tPvRmT0_T1_jT2_SS_T4_T3_P12ihipStream_tbEUlT_E_NS1_11comp_targetILNS1_3genE8ELNS1_11target_archE1030ELNS1_3gpuE2ELNS1_3repE0EEENS1_30default_config_static_selectorELNS0_4arch9wavefront6targetE1EEEvSR_ ; -- Begin function _ZN7rocprim17ROCPRIM_400000_NS6detail17trampoline_kernelINS0_14default_configENS1_32segmented_reduce_config_selectorIN3c104HalfEEEZNS1_21segmented_reduce_implIS3_PKS6_PS6_PKlS6_N6hipcub16HIPCUB_304000_NS6detail27convert_result_type_wrapperISA_SB_N2at6native12_GLOBAL__N_19CustomMaxEEEEE10hipError_tPvRmT0_T1_jT2_SS_T4_T3_P12ihipStream_tbEUlT_E_NS1_11comp_targetILNS1_3genE8ELNS1_11target_archE1030ELNS1_3gpuE2ELNS1_3repE0EEENS1_30default_config_static_selectorELNS0_4arch9wavefront6targetE1EEEvSR_
	.p2align	8
	.type	_ZN7rocprim17ROCPRIM_400000_NS6detail17trampoline_kernelINS0_14default_configENS1_32segmented_reduce_config_selectorIN3c104HalfEEEZNS1_21segmented_reduce_implIS3_PKS6_PS6_PKlS6_N6hipcub16HIPCUB_304000_NS6detail27convert_result_type_wrapperISA_SB_N2at6native12_GLOBAL__N_19CustomMaxEEEEE10hipError_tPvRmT0_T1_jT2_SS_T4_T3_P12ihipStream_tbEUlT_E_NS1_11comp_targetILNS1_3genE8ELNS1_11target_archE1030ELNS1_3gpuE2ELNS1_3repE0EEENS1_30default_config_static_selectorELNS0_4arch9wavefront6targetE1EEEvSR_,@function
_ZN7rocprim17ROCPRIM_400000_NS6detail17trampoline_kernelINS0_14default_configENS1_32segmented_reduce_config_selectorIN3c104HalfEEEZNS1_21segmented_reduce_implIS3_PKS6_PS6_PKlS6_N6hipcub16HIPCUB_304000_NS6detail27convert_result_type_wrapperISA_SB_N2at6native12_GLOBAL__N_19CustomMaxEEEEE10hipError_tPvRmT0_T1_jT2_SS_T4_T3_P12ihipStream_tbEUlT_E_NS1_11comp_targetILNS1_3genE8ELNS1_11target_archE1030ELNS1_3gpuE2ELNS1_3repE0EEENS1_30default_config_static_selectorELNS0_4arch9wavefront6targetE1EEEvSR_: ; @_ZN7rocprim17ROCPRIM_400000_NS6detail17trampoline_kernelINS0_14default_configENS1_32segmented_reduce_config_selectorIN3c104HalfEEEZNS1_21segmented_reduce_implIS3_PKS6_PS6_PKlS6_N6hipcub16HIPCUB_304000_NS6detail27convert_result_type_wrapperISA_SB_N2at6native12_GLOBAL__N_19CustomMaxEEEEE10hipError_tPvRmT0_T1_jT2_SS_T4_T3_P12ihipStream_tbEUlT_E_NS1_11comp_targetILNS1_3genE8ELNS1_11target_archE1030ELNS1_3gpuE2ELNS1_3repE0EEENS1_30default_config_static_selectorELNS0_4arch9wavefront6targetE1EEEvSR_
; %bb.0:
	.section	.rodata,"a",@progbits
	.p2align	6, 0x0
	.amdhsa_kernel _ZN7rocprim17ROCPRIM_400000_NS6detail17trampoline_kernelINS0_14default_configENS1_32segmented_reduce_config_selectorIN3c104HalfEEEZNS1_21segmented_reduce_implIS3_PKS6_PS6_PKlS6_N6hipcub16HIPCUB_304000_NS6detail27convert_result_type_wrapperISA_SB_N2at6native12_GLOBAL__N_19CustomMaxEEEEE10hipError_tPvRmT0_T1_jT2_SS_T4_T3_P12ihipStream_tbEUlT_E_NS1_11comp_targetILNS1_3genE8ELNS1_11target_archE1030ELNS1_3gpuE2ELNS1_3repE0EEENS1_30default_config_static_selectorELNS0_4arch9wavefront6targetE1EEEvSR_
		.amdhsa_group_segment_fixed_size 0
		.amdhsa_private_segment_fixed_size 0
		.amdhsa_kernarg_size 48
		.amdhsa_user_sgpr_count 6
		.amdhsa_user_sgpr_private_segment_buffer 1
		.amdhsa_user_sgpr_dispatch_ptr 0
		.amdhsa_user_sgpr_queue_ptr 0
		.amdhsa_user_sgpr_kernarg_segment_ptr 1
		.amdhsa_user_sgpr_dispatch_id 0
		.amdhsa_user_sgpr_flat_scratch_init 0
		.amdhsa_user_sgpr_private_segment_size 0
		.amdhsa_uses_dynamic_stack 0
		.amdhsa_system_sgpr_private_segment_wavefront_offset 0
		.amdhsa_system_sgpr_workgroup_id_x 1
		.amdhsa_system_sgpr_workgroup_id_y 0
		.amdhsa_system_sgpr_workgroup_id_z 0
		.amdhsa_system_sgpr_workgroup_info 0
		.amdhsa_system_vgpr_workitem_id 0
		.amdhsa_next_free_vgpr 1
		.amdhsa_next_free_sgpr 0
		.amdhsa_reserve_vcc 0
		.amdhsa_reserve_flat_scratch 0
		.amdhsa_float_round_mode_32 0
		.amdhsa_float_round_mode_16_64 0
		.amdhsa_float_denorm_mode_32 3
		.amdhsa_float_denorm_mode_16_64 3
		.amdhsa_dx10_clamp 1
		.amdhsa_ieee_mode 1
		.amdhsa_fp16_overflow 0
		.amdhsa_exception_fp_ieee_invalid_op 0
		.amdhsa_exception_fp_denorm_src 0
		.amdhsa_exception_fp_ieee_div_zero 0
		.amdhsa_exception_fp_ieee_overflow 0
		.amdhsa_exception_fp_ieee_underflow 0
		.amdhsa_exception_fp_ieee_inexact 0
		.amdhsa_exception_int_div_zero 0
	.end_amdhsa_kernel
	.section	.text._ZN7rocprim17ROCPRIM_400000_NS6detail17trampoline_kernelINS0_14default_configENS1_32segmented_reduce_config_selectorIN3c104HalfEEEZNS1_21segmented_reduce_implIS3_PKS6_PS6_PKlS6_N6hipcub16HIPCUB_304000_NS6detail27convert_result_type_wrapperISA_SB_N2at6native12_GLOBAL__N_19CustomMaxEEEEE10hipError_tPvRmT0_T1_jT2_SS_T4_T3_P12ihipStream_tbEUlT_E_NS1_11comp_targetILNS1_3genE8ELNS1_11target_archE1030ELNS1_3gpuE2ELNS1_3repE0EEENS1_30default_config_static_selectorELNS0_4arch9wavefront6targetE1EEEvSR_,"axG",@progbits,_ZN7rocprim17ROCPRIM_400000_NS6detail17trampoline_kernelINS0_14default_configENS1_32segmented_reduce_config_selectorIN3c104HalfEEEZNS1_21segmented_reduce_implIS3_PKS6_PS6_PKlS6_N6hipcub16HIPCUB_304000_NS6detail27convert_result_type_wrapperISA_SB_N2at6native12_GLOBAL__N_19CustomMaxEEEEE10hipError_tPvRmT0_T1_jT2_SS_T4_T3_P12ihipStream_tbEUlT_E_NS1_11comp_targetILNS1_3genE8ELNS1_11target_archE1030ELNS1_3gpuE2ELNS1_3repE0EEENS1_30default_config_static_selectorELNS0_4arch9wavefront6targetE1EEEvSR_,comdat
.Lfunc_end220:
	.size	_ZN7rocprim17ROCPRIM_400000_NS6detail17trampoline_kernelINS0_14default_configENS1_32segmented_reduce_config_selectorIN3c104HalfEEEZNS1_21segmented_reduce_implIS3_PKS6_PS6_PKlS6_N6hipcub16HIPCUB_304000_NS6detail27convert_result_type_wrapperISA_SB_N2at6native12_GLOBAL__N_19CustomMaxEEEEE10hipError_tPvRmT0_T1_jT2_SS_T4_T3_P12ihipStream_tbEUlT_E_NS1_11comp_targetILNS1_3genE8ELNS1_11target_archE1030ELNS1_3gpuE2ELNS1_3repE0EEENS1_30default_config_static_selectorELNS0_4arch9wavefront6targetE1EEEvSR_, .Lfunc_end220-_ZN7rocprim17ROCPRIM_400000_NS6detail17trampoline_kernelINS0_14default_configENS1_32segmented_reduce_config_selectorIN3c104HalfEEEZNS1_21segmented_reduce_implIS3_PKS6_PS6_PKlS6_N6hipcub16HIPCUB_304000_NS6detail27convert_result_type_wrapperISA_SB_N2at6native12_GLOBAL__N_19CustomMaxEEEEE10hipError_tPvRmT0_T1_jT2_SS_T4_T3_P12ihipStream_tbEUlT_E_NS1_11comp_targetILNS1_3genE8ELNS1_11target_archE1030ELNS1_3gpuE2ELNS1_3repE0EEENS1_30default_config_static_selectorELNS0_4arch9wavefront6targetE1EEEvSR_
                                        ; -- End function
	.set _ZN7rocprim17ROCPRIM_400000_NS6detail17trampoline_kernelINS0_14default_configENS1_32segmented_reduce_config_selectorIN3c104HalfEEEZNS1_21segmented_reduce_implIS3_PKS6_PS6_PKlS6_N6hipcub16HIPCUB_304000_NS6detail27convert_result_type_wrapperISA_SB_N2at6native12_GLOBAL__N_19CustomMaxEEEEE10hipError_tPvRmT0_T1_jT2_SS_T4_T3_P12ihipStream_tbEUlT_E_NS1_11comp_targetILNS1_3genE8ELNS1_11target_archE1030ELNS1_3gpuE2ELNS1_3repE0EEENS1_30default_config_static_selectorELNS0_4arch9wavefront6targetE1EEEvSR_.num_vgpr, 0
	.set _ZN7rocprim17ROCPRIM_400000_NS6detail17trampoline_kernelINS0_14default_configENS1_32segmented_reduce_config_selectorIN3c104HalfEEEZNS1_21segmented_reduce_implIS3_PKS6_PS6_PKlS6_N6hipcub16HIPCUB_304000_NS6detail27convert_result_type_wrapperISA_SB_N2at6native12_GLOBAL__N_19CustomMaxEEEEE10hipError_tPvRmT0_T1_jT2_SS_T4_T3_P12ihipStream_tbEUlT_E_NS1_11comp_targetILNS1_3genE8ELNS1_11target_archE1030ELNS1_3gpuE2ELNS1_3repE0EEENS1_30default_config_static_selectorELNS0_4arch9wavefront6targetE1EEEvSR_.num_agpr, 0
	.set _ZN7rocprim17ROCPRIM_400000_NS6detail17trampoline_kernelINS0_14default_configENS1_32segmented_reduce_config_selectorIN3c104HalfEEEZNS1_21segmented_reduce_implIS3_PKS6_PS6_PKlS6_N6hipcub16HIPCUB_304000_NS6detail27convert_result_type_wrapperISA_SB_N2at6native12_GLOBAL__N_19CustomMaxEEEEE10hipError_tPvRmT0_T1_jT2_SS_T4_T3_P12ihipStream_tbEUlT_E_NS1_11comp_targetILNS1_3genE8ELNS1_11target_archE1030ELNS1_3gpuE2ELNS1_3repE0EEENS1_30default_config_static_selectorELNS0_4arch9wavefront6targetE1EEEvSR_.numbered_sgpr, 0
	.set _ZN7rocprim17ROCPRIM_400000_NS6detail17trampoline_kernelINS0_14default_configENS1_32segmented_reduce_config_selectorIN3c104HalfEEEZNS1_21segmented_reduce_implIS3_PKS6_PS6_PKlS6_N6hipcub16HIPCUB_304000_NS6detail27convert_result_type_wrapperISA_SB_N2at6native12_GLOBAL__N_19CustomMaxEEEEE10hipError_tPvRmT0_T1_jT2_SS_T4_T3_P12ihipStream_tbEUlT_E_NS1_11comp_targetILNS1_3genE8ELNS1_11target_archE1030ELNS1_3gpuE2ELNS1_3repE0EEENS1_30default_config_static_selectorELNS0_4arch9wavefront6targetE1EEEvSR_.num_named_barrier, 0
	.set _ZN7rocprim17ROCPRIM_400000_NS6detail17trampoline_kernelINS0_14default_configENS1_32segmented_reduce_config_selectorIN3c104HalfEEEZNS1_21segmented_reduce_implIS3_PKS6_PS6_PKlS6_N6hipcub16HIPCUB_304000_NS6detail27convert_result_type_wrapperISA_SB_N2at6native12_GLOBAL__N_19CustomMaxEEEEE10hipError_tPvRmT0_T1_jT2_SS_T4_T3_P12ihipStream_tbEUlT_E_NS1_11comp_targetILNS1_3genE8ELNS1_11target_archE1030ELNS1_3gpuE2ELNS1_3repE0EEENS1_30default_config_static_selectorELNS0_4arch9wavefront6targetE1EEEvSR_.private_seg_size, 0
	.set _ZN7rocprim17ROCPRIM_400000_NS6detail17trampoline_kernelINS0_14default_configENS1_32segmented_reduce_config_selectorIN3c104HalfEEEZNS1_21segmented_reduce_implIS3_PKS6_PS6_PKlS6_N6hipcub16HIPCUB_304000_NS6detail27convert_result_type_wrapperISA_SB_N2at6native12_GLOBAL__N_19CustomMaxEEEEE10hipError_tPvRmT0_T1_jT2_SS_T4_T3_P12ihipStream_tbEUlT_E_NS1_11comp_targetILNS1_3genE8ELNS1_11target_archE1030ELNS1_3gpuE2ELNS1_3repE0EEENS1_30default_config_static_selectorELNS0_4arch9wavefront6targetE1EEEvSR_.uses_vcc, 0
	.set _ZN7rocprim17ROCPRIM_400000_NS6detail17trampoline_kernelINS0_14default_configENS1_32segmented_reduce_config_selectorIN3c104HalfEEEZNS1_21segmented_reduce_implIS3_PKS6_PS6_PKlS6_N6hipcub16HIPCUB_304000_NS6detail27convert_result_type_wrapperISA_SB_N2at6native12_GLOBAL__N_19CustomMaxEEEEE10hipError_tPvRmT0_T1_jT2_SS_T4_T3_P12ihipStream_tbEUlT_E_NS1_11comp_targetILNS1_3genE8ELNS1_11target_archE1030ELNS1_3gpuE2ELNS1_3repE0EEENS1_30default_config_static_selectorELNS0_4arch9wavefront6targetE1EEEvSR_.uses_flat_scratch, 0
	.set _ZN7rocprim17ROCPRIM_400000_NS6detail17trampoline_kernelINS0_14default_configENS1_32segmented_reduce_config_selectorIN3c104HalfEEEZNS1_21segmented_reduce_implIS3_PKS6_PS6_PKlS6_N6hipcub16HIPCUB_304000_NS6detail27convert_result_type_wrapperISA_SB_N2at6native12_GLOBAL__N_19CustomMaxEEEEE10hipError_tPvRmT0_T1_jT2_SS_T4_T3_P12ihipStream_tbEUlT_E_NS1_11comp_targetILNS1_3genE8ELNS1_11target_archE1030ELNS1_3gpuE2ELNS1_3repE0EEENS1_30default_config_static_selectorELNS0_4arch9wavefront6targetE1EEEvSR_.has_dyn_sized_stack, 0
	.set _ZN7rocprim17ROCPRIM_400000_NS6detail17trampoline_kernelINS0_14default_configENS1_32segmented_reduce_config_selectorIN3c104HalfEEEZNS1_21segmented_reduce_implIS3_PKS6_PS6_PKlS6_N6hipcub16HIPCUB_304000_NS6detail27convert_result_type_wrapperISA_SB_N2at6native12_GLOBAL__N_19CustomMaxEEEEE10hipError_tPvRmT0_T1_jT2_SS_T4_T3_P12ihipStream_tbEUlT_E_NS1_11comp_targetILNS1_3genE8ELNS1_11target_archE1030ELNS1_3gpuE2ELNS1_3repE0EEENS1_30default_config_static_selectorELNS0_4arch9wavefront6targetE1EEEvSR_.has_recursion, 0
	.set _ZN7rocprim17ROCPRIM_400000_NS6detail17trampoline_kernelINS0_14default_configENS1_32segmented_reduce_config_selectorIN3c104HalfEEEZNS1_21segmented_reduce_implIS3_PKS6_PS6_PKlS6_N6hipcub16HIPCUB_304000_NS6detail27convert_result_type_wrapperISA_SB_N2at6native12_GLOBAL__N_19CustomMaxEEEEE10hipError_tPvRmT0_T1_jT2_SS_T4_T3_P12ihipStream_tbEUlT_E_NS1_11comp_targetILNS1_3genE8ELNS1_11target_archE1030ELNS1_3gpuE2ELNS1_3repE0EEENS1_30default_config_static_selectorELNS0_4arch9wavefront6targetE1EEEvSR_.has_indirect_call, 0
	.section	.AMDGPU.csdata,"",@progbits
; Kernel info:
; codeLenInByte = 0
; TotalNumSgprs: 4
; NumVgprs: 0
; ScratchSize: 0
; MemoryBound: 0
; FloatMode: 240
; IeeeMode: 1
; LDSByteSize: 0 bytes/workgroup (compile time only)
; SGPRBlocks: 0
; VGPRBlocks: 0
; NumSGPRsForWavesPerEU: 4
; NumVGPRsForWavesPerEU: 1
; Occupancy: 10
; WaveLimiterHint : 0
; COMPUTE_PGM_RSRC2:SCRATCH_EN: 0
; COMPUTE_PGM_RSRC2:USER_SGPR: 6
; COMPUTE_PGM_RSRC2:TRAP_HANDLER: 0
; COMPUTE_PGM_RSRC2:TGID_X_EN: 1
; COMPUTE_PGM_RSRC2:TGID_Y_EN: 0
; COMPUTE_PGM_RSRC2:TGID_Z_EN: 0
; COMPUTE_PGM_RSRC2:TIDIG_COMP_CNT: 0
	.section	.text._ZN7rocprim17ROCPRIM_400000_NS6detail17trampoline_kernelINS0_14default_configENS1_32segmented_reduce_config_selectorIN3c104HalfEEEZNS1_21segmented_reduce_implIS3_PKS6_PS6_PKlS6_N6hipcub16HIPCUB_304000_NS6detail27convert_result_type_wrapperISA_SB_N2at6native12_GLOBAL__N_19CustomSumEEEEE10hipError_tPvRmT0_T1_jT2_SS_T4_T3_P12ihipStream_tbEUlT_E_NS1_11comp_targetILNS1_3genE0ELNS1_11target_archE4294967295ELNS1_3gpuE0ELNS1_3repE0EEENS1_30default_config_static_selectorELNS0_4arch9wavefront6targetE1EEEvSR_,"axG",@progbits,_ZN7rocprim17ROCPRIM_400000_NS6detail17trampoline_kernelINS0_14default_configENS1_32segmented_reduce_config_selectorIN3c104HalfEEEZNS1_21segmented_reduce_implIS3_PKS6_PS6_PKlS6_N6hipcub16HIPCUB_304000_NS6detail27convert_result_type_wrapperISA_SB_N2at6native12_GLOBAL__N_19CustomSumEEEEE10hipError_tPvRmT0_T1_jT2_SS_T4_T3_P12ihipStream_tbEUlT_E_NS1_11comp_targetILNS1_3genE0ELNS1_11target_archE4294967295ELNS1_3gpuE0ELNS1_3repE0EEENS1_30default_config_static_selectorELNS0_4arch9wavefront6targetE1EEEvSR_,comdat
	.globl	_ZN7rocprim17ROCPRIM_400000_NS6detail17trampoline_kernelINS0_14default_configENS1_32segmented_reduce_config_selectorIN3c104HalfEEEZNS1_21segmented_reduce_implIS3_PKS6_PS6_PKlS6_N6hipcub16HIPCUB_304000_NS6detail27convert_result_type_wrapperISA_SB_N2at6native12_GLOBAL__N_19CustomSumEEEEE10hipError_tPvRmT0_T1_jT2_SS_T4_T3_P12ihipStream_tbEUlT_E_NS1_11comp_targetILNS1_3genE0ELNS1_11target_archE4294967295ELNS1_3gpuE0ELNS1_3repE0EEENS1_30default_config_static_selectorELNS0_4arch9wavefront6targetE1EEEvSR_ ; -- Begin function _ZN7rocprim17ROCPRIM_400000_NS6detail17trampoline_kernelINS0_14default_configENS1_32segmented_reduce_config_selectorIN3c104HalfEEEZNS1_21segmented_reduce_implIS3_PKS6_PS6_PKlS6_N6hipcub16HIPCUB_304000_NS6detail27convert_result_type_wrapperISA_SB_N2at6native12_GLOBAL__N_19CustomSumEEEEE10hipError_tPvRmT0_T1_jT2_SS_T4_T3_P12ihipStream_tbEUlT_E_NS1_11comp_targetILNS1_3genE0ELNS1_11target_archE4294967295ELNS1_3gpuE0ELNS1_3repE0EEENS1_30default_config_static_selectorELNS0_4arch9wavefront6targetE1EEEvSR_
	.p2align	8
	.type	_ZN7rocprim17ROCPRIM_400000_NS6detail17trampoline_kernelINS0_14default_configENS1_32segmented_reduce_config_selectorIN3c104HalfEEEZNS1_21segmented_reduce_implIS3_PKS6_PS6_PKlS6_N6hipcub16HIPCUB_304000_NS6detail27convert_result_type_wrapperISA_SB_N2at6native12_GLOBAL__N_19CustomSumEEEEE10hipError_tPvRmT0_T1_jT2_SS_T4_T3_P12ihipStream_tbEUlT_E_NS1_11comp_targetILNS1_3genE0ELNS1_11target_archE4294967295ELNS1_3gpuE0ELNS1_3repE0EEENS1_30default_config_static_selectorELNS0_4arch9wavefront6targetE1EEEvSR_,@function
_ZN7rocprim17ROCPRIM_400000_NS6detail17trampoline_kernelINS0_14default_configENS1_32segmented_reduce_config_selectorIN3c104HalfEEEZNS1_21segmented_reduce_implIS3_PKS6_PS6_PKlS6_N6hipcub16HIPCUB_304000_NS6detail27convert_result_type_wrapperISA_SB_N2at6native12_GLOBAL__N_19CustomSumEEEEE10hipError_tPvRmT0_T1_jT2_SS_T4_T3_P12ihipStream_tbEUlT_E_NS1_11comp_targetILNS1_3genE0ELNS1_11target_archE4294967295ELNS1_3gpuE0ELNS1_3repE0EEENS1_30default_config_static_selectorELNS0_4arch9wavefront6targetE1EEEvSR_: ; @_ZN7rocprim17ROCPRIM_400000_NS6detail17trampoline_kernelINS0_14default_configENS1_32segmented_reduce_config_selectorIN3c104HalfEEEZNS1_21segmented_reduce_implIS3_PKS6_PS6_PKlS6_N6hipcub16HIPCUB_304000_NS6detail27convert_result_type_wrapperISA_SB_N2at6native12_GLOBAL__N_19CustomSumEEEEE10hipError_tPvRmT0_T1_jT2_SS_T4_T3_P12ihipStream_tbEUlT_E_NS1_11comp_targetILNS1_3genE0ELNS1_11target_archE4294967295ELNS1_3gpuE0ELNS1_3repE0EEENS1_30default_config_static_selectorELNS0_4arch9wavefront6targetE1EEEvSR_
; %bb.0:
	.section	.rodata,"a",@progbits
	.p2align	6, 0x0
	.amdhsa_kernel _ZN7rocprim17ROCPRIM_400000_NS6detail17trampoline_kernelINS0_14default_configENS1_32segmented_reduce_config_selectorIN3c104HalfEEEZNS1_21segmented_reduce_implIS3_PKS6_PS6_PKlS6_N6hipcub16HIPCUB_304000_NS6detail27convert_result_type_wrapperISA_SB_N2at6native12_GLOBAL__N_19CustomSumEEEEE10hipError_tPvRmT0_T1_jT2_SS_T4_T3_P12ihipStream_tbEUlT_E_NS1_11comp_targetILNS1_3genE0ELNS1_11target_archE4294967295ELNS1_3gpuE0ELNS1_3repE0EEENS1_30default_config_static_selectorELNS0_4arch9wavefront6targetE1EEEvSR_
		.amdhsa_group_segment_fixed_size 0
		.amdhsa_private_segment_fixed_size 0
		.amdhsa_kernarg_size 48
		.amdhsa_user_sgpr_count 6
		.amdhsa_user_sgpr_private_segment_buffer 1
		.amdhsa_user_sgpr_dispatch_ptr 0
		.amdhsa_user_sgpr_queue_ptr 0
		.amdhsa_user_sgpr_kernarg_segment_ptr 1
		.amdhsa_user_sgpr_dispatch_id 0
		.amdhsa_user_sgpr_flat_scratch_init 0
		.amdhsa_user_sgpr_private_segment_size 0
		.amdhsa_uses_dynamic_stack 0
		.amdhsa_system_sgpr_private_segment_wavefront_offset 0
		.amdhsa_system_sgpr_workgroup_id_x 1
		.amdhsa_system_sgpr_workgroup_id_y 0
		.amdhsa_system_sgpr_workgroup_id_z 0
		.amdhsa_system_sgpr_workgroup_info 0
		.amdhsa_system_vgpr_workitem_id 0
		.amdhsa_next_free_vgpr 1
		.amdhsa_next_free_sgpr 0
		.amdhsa_reserve_vcc 0
		.amdhsa_reserve_flat_scratch 0
		.amdhsa_float_round_mode_32 0
		.amdhsa_float_round_mode_16_64 0
		.amdhsa_float_denorm_mode_32 3
		.amdhsa_float_denorm_mode_16_64 3
		.amdhsa_dx10_clamp 1
		.amdhsa_ieee_mode 1
		.amdhsa_fp16_overflow 0
		.amdhsa_exception_fp_ieee_invalid_op 0
		.amdhsa_exception_fp_denorm_src 0
		.amdhsa_exception_fp_ieee_div_zero 0
		.amdhsa_exception_fp_ieee_overflow 0
		.amdhsa_exception_fp_ieee_underflow 0
		.amdhsa_exception_fp_ieee_inexact 0
		.amdhsa_exception_int_div_zero 0
	.end_amdhsa_kernel
	.section	.text._ZN7rocprim17ROCPRIM_400000_NS6detail17trampoline_kernelINS0_14default_configENS1_32segmented_reduce_config_selectorIN3c104HalfEEEZNS1_21segmented_reduce_implIS3_PKS6_PS6_PKlS6_N6hipcub16HIPCUB_304000_NS6detail27convert_result_type_wrapperISA_SB_N2at6native12_GLOBAL__N_19CustomSumEEEEE10hipError_tPvRmT0_T1_jT2_SS_T4_T3_P12ihipStream_tbEUlT_E_NS1_11comp_targetILNS1_3genE0ELNS1_11target_archE4294967295ELNS1_3gpuE0ELNS1_3repE0EEENS1_30default_config_static_selectorELNS0_4arch9wavefront6targetE1EEEvSR_,"axG",@progbits,_ZN7rocprim17ROCPRIM_400000_NS6detail17trampoline_kernelINS0_14default_configENS1_32segmented_reduce_config_selectorIN3c104HalfEEEZNS1_21segmented_reduce_implIS3_PKS6_PS6_PKlS6_N6hipcub16HIPCUB_304000_NS6detail27convert_result_type_wrapperISA_SB_N2at6native12_GLOBAL__N_19CustomSumEEEEE10hipError_tPvRmT0_T1_jT2_SS_T4_T3_P12ihipStream_tbEUlT_E_NS1_11comp_targetILNS1_3genE0ELNS1_11target_archE4294967295ELNS1_3gpuE0ELNS1_3repE0EEENS1_30default_config_static_selectorELNS0_4arch9wavefront6targetE1EEEvSR_,comdat
.Lfunc_end221:
	.size	_ZN7rocprim17ROCPRIM_400000_NS6detail17trampoline_kernelINS0_14default_configENS1_32segmented_reduce_config_selectorIN3c104HalfEEEZNS1_21segmented_reduce_implIS3_PKS6_PS6_PKlS6_N6hipcub16HIPCUB_304000_NS6detail27convert_result_type_wrapperISA_SB_N2at6native12_GLOBAL__N_19CustomSumEEEEE10hipError_tPvRmT0_T1_jT2_SS_T4_T3_P12ihipStream_tbEUlT_E_NS1_11comp_targetILNS1_3genE0ELNS1_11target_archE4294967295ELNS1_3gpuE0ELNS1_3repE0EEENS1_30default_config_static_selectorELNS0_4arch9wavefront6targetE1EEEvSR_, .Lfunc_end221-_ZN7rocprim17ROCPRIM_400000_NS6detail17trampoline_kernelINS0_14default_configENS1_32segmented_reduce_config_selectorIN3c104HalfEEEZNS1_21segmented_reduce_implIS3_PKS6_PS6_PKlS6_N6hipcub16HIPCUB_304000_NS6detail27convert_result_type_wrapperISA_SB_N2at6native12_GLOBAL__N_19CustomSumEEEEE10hipError_tPvRmT0_T1_jT2_SS_T4_T3_P12ihipStream_tbEUlT_E_NS1_11comp_targetILNS1_3genE0ELNS1_11target_archE4294967295ELNS1_3gpuE0ELNS1_3repE0EEENS1_30default_config_static_selectorELNS0_4arch9wavefront6targetE1EEEvSR_
                                        ; -- End function
	.set _ZN7rocprim17ROCPRIM_400000_NS6detail17trampoline_kernelINS0_14default_configENS1_32segmented_reduce_config_selectorIN3c104HalfEEEZNS1_21segmented_reduce_implIS3_PKS6_PS6_PKlS6_N6hipcub16HIPCUB_304000_NS6detail27convert_result_type_wrapperISA_SB_N2at6native12_GLOBAL__N_19CustomSumEEEEE10hipError_tPvRmT0_T1_jT2_SS_T4_T3_P12ihipStream_tbEUlT_E_NS1_11comp_targetILNS1_3genE0ELNS1_11target_archE4294967295ELNS1_3gpuE0ELNS1_3repE0EEENS1_30default_config_static_selectorELNS0_4arch9wavefront6targetE1EEEvSR_.num_vgpr, 0
	.set _ZN7rocprim17ROCPRIM_400000_NS6detail17trampoline_kernelINS0_14default_configENS1_32segmented_reduce_config_selectorIN3c104HalfEEEZNS1_21segmented_reduce_implIS3_PKS6_PS6_PKlS6_N6hipcub16HIPCUB_304000_NS6detail27convert_result_type_wrapperISA_SB_N2at6native12_GLOBAL__N_19CustomSumEEEEE10hipError_tPvRmT0_T1_jT2_SS_T4_T3_P12ihipStream_tbEUlT_E_NS1_11comp_targetILNS1_3genE0ELNS1_11target_archE4294967295ELNS1_3gpuE0ELNS1_3repE0EEENS1_30default_config_static_selectorELNS0_4arch9wavefront6targetE1EEEvSR_.num_agpr, 0
	.set _ZN7rocprim17ROCPRIM_400000_NS6detail17trampoline_kernelINS0_14default_configENS1_32segmented_reduce_config_selectorIN3c104HalfEEEZNS1_21segmented_reduce_implIS3_PKS6_PS6_PKlS6_N6hipcub16HIPCUB_304000_NS6detail27convert_result_type_wrapperISA_SB_N2at6native12_GLOBAL__N_19CustomSumEEEEE10hipError_tPvRmT0_T1_jT2_SS_T4_T3_P12ihipStream_tbEUlT_E_NS1_11comp_targetILNS1_3genE0ELNS1_11target_archE4294967295ELNS1_3gpuE0ELNS1_3repE0EEENS1_30default_config_static_selectorELNS0_4arch9wavefront6targetE1EEEvSR_.numbered_sgpr, 0
	.set _ZN7rocprim17ROCPRIM_400000_NS6detail17trampoline_kernelINS0_14default_configENS1_32segmented_reduce_config_selectorIN3c104HalfEEEZNS1_21segmented_reduce_implIS3_PKS6_PS6_PKlS6_N6hipcub16HIPCUB_304000_NS6detail27convert_result_type_wrapperISA_SB_N2at6native12_GLOBAL__N_19CustomSumEEEEE10hipError_tPvRmT0_T1_jT2_SS_T4_T3_P12ihipStream_tbEUlT_E_NS1_11comp_targetILNS1_3genE0ELNS1_11target_archE4294967295ELNS1_3gpuE0ELNS1_3repE0EEENS1_30default_config_static_selectorELNS0_4arch9wavefront6targetE1EEEvSR_.num_named_barrier, 0
	.set _ZN7rocprim17ROCPRIM_400000_NS6detail17trampoline_kernelINS0_14default_configENS1_32segmented_reduce_config_selectorIN3c104HalfEEEZNS1_21segmented_reduce_implIS3_PKS6_PS6_PKlS6_N6hipcub16HIPCUB_304000_NS6detail27convert_result_type_wrapperISA_SB_N2at6native12_GLOBAL__N_19CustomSumEEEEE10hipError_tPvRmT0_T1_jT2_SS_T4_T3_P12ihipStream_tbEUlT_E_NS1_11comp_targetILNS1_3genE0ELNS1_11target_archE4294967295ELNS1_3gpuE0ELNS1_3repE0EEENS1_30default_config_static_selectorELNS0_4arch9wavefront6targetE1EEEvSR_.private_seg_size, 0
	.set _ZN7rocprim17ROCPRIM_400000_NS6detail17trampoline_kernelINS0_14default_configENS1_32segmented_reduce_config_selectorIN3c104HalfEEEZNS1_21segmented_reduce_implIS3_PKS6_PS6_PKlS6_N6hipcub16HIPCUB_304000_NS6detail27convert_result_type_wrapperISA_SB_N2at6native12_GLOBAL__N_19CustomSumEEEEE10hipError_tPvRmT0_T1_jT2_SS_T4_T3_P12ihipStream_tbEUlT_E_NS1_11comp_targetILNS1_3genE0ELNS1_11target_archE4294967295ELNS1_3gpuE0ELNS1_3repE0EEENS1_30default_config_static_selectorELNS0_4arch9wavefront6targetE1EEEvSR_.uses_vcc, 0
	.set _ZN7rocprim17ROCPRIM_400000_NS6detail17trampoline_kernelINS0_14default_configENS1_32segmented_reduce_config_selectorIN3c104HalfEEEZNS1_21segmented_reduce_implIS3_PKS6_PS6_PKlS6_N6hipcub16HIPCUB_304000_NS6detail27convert_result_type_wrapperISA_SB_N2at6native12_GLOBAL__N_19CustomSumEEEEE10hipError_tPvRmT0_T1_jT2_SS_T4_T3_P12ihipStream_tbEUlT_E_NS1_11comp_targetILNS1_3genE0ELNS1_11target_archE4294967295ELNS1_3gpuE0ELNS1_3repE0EEENS1_30default_config_static_selectorELNS0_4arch9wavefront6targetE1EEEvSR_.uses_flat_scratch, 0
	.set _ZN7rocprim17ROCPRIM_400000_NS6detail17trampoline_kernelINS0_14default_configENS1_32segmented_reduce_config_selectorIN3c104HalfEEEZNS1_21segmented_reduce_implIS3_PKS6_PS6_PKlS6_N6hipcub16HIPCUB_304000_NS6detail27convert_result_type_wrapperISA_SB_N2at6native12_GLOBAL__N_19CustomSumEEEEE10hipError_tPvRmT0_T1_jT2_SS_T4_T3_P12ihipStream_tbEUlT_E_NS1_11comp_targetILNS1_3genE0ELNS1_11target_archE4294967295ELNS1_3gpuE0ELNS1_3repE0EEENS1_30default_config_static_selectorELNS0_4arch9wavefront6targetE1EEEvSR_.has_dyn_sized_stack, 0
	.set _ZN7rocprim17ROCPRIM_400000_NS6detail17trampoline_kernelINS0_14default_configENS1_32segmented_reduce_config_selectorIN3c104HalfEEEZNS1_21segmented_reduce_implIS3_PKS6_PS6_PKlS6_N6hipcub16HIPCUB_304000_NS6detail27convert_result_type_wrapperISA_SB_N2at6native12_GLOBAL__N_19CustomSumEEEEE10hipError_tPvRmT0_T1_jT2_SS_T4_T3_P12ihipStream_tbEUlT_E_NS1_11comp_targetILNS1_3genE0ELNS1_11target_archE4294967295ELNS1_3gpuE0ELNS1_3repE0EEENS1_30default_config_static_selectorELNS0_4arch9wavefront6targetE1EEEvSR_.has_recursion, 0
	.set _ZN7rocprim17ROCPRIM_400000_NS6detail17trampoline_kernelINS0_14default_configENS1_32segmented_reduce_config_selectorIN3c104HalfEEEZNS1_21segmented_reduce_implIS3_PKS6_PS6_PKlS6_N6hipcub16HIPCUB_304000_NS6detail27convert_result_type_wrapperISA_SB_N2at6native12_GLOBAL__N_19CustomSumEEEEE10hipError_tPvRmT0_T1_jT2_SS_T4_T3_P12ihipStream_tbEUlT_E_NS1_11comp_targetILNS1_3genE0ELNS1_11target_archE4294967295ELNS1_3gpuE0ELNS1_3repE0EEENS1_30default_config_static_selectorELNS0_4arch9wavefront6targetE1EEEvSR_.has_indirect_call, 0
	.section	.AMDGPU.csdata,"",@progbits
; Kernel info:
; codeLenInByte = 0
; TotalNumSgprs: 4
; NumVgprs: 0
; ScratchSize: 0
; MemoryBound: 0
; FloatMode: 240
; IeeeMode: 1
; LDSByteSize: 0 bytes/workgroup (compile time only)
; SGPRBlocks: 0
; VGPRBlocks: 0
; NumSGPRsForWavesPerEU: 4
; NumVGPRsForWavesPerEU: 1
; Occupancy: 10
; WaveLimiterHint : 0
; COMPUTE_PGM_RSRC2:SCRATCH_EN: 0
; COMPUTE_PGM_RSRC2:USER_SGPR: 6
; COMPUTE_PGM_RSRC2:TRAP_HANDLER: 0
; COMPUTE_PGM_RSRC2:TGID_X_EN: 1
; COMPUTE_PGM_RSRC2:TGID_Y_EN: 0
; COMPUTE_PGM_RSRC2:TGID_Z_EN: 0
; COMPUTE_PGM_RSRC2:TIDIG_COMP_CNT: 0
	.section	.text._ZN7rocprim17ROCPRIM_400000_NS6detail17trampoline_kernelINS0_14default_configENS1_32segmented_reduce_config_selectorIN3c104HalfEEEZNS1_21segmented_reduce_implIS3_PKS6_PS6_PKlS6_N6hipcub16HIPCUB_304000_NS6detail27convert_result_type_wrapperISA_SB_N2at6native12_GLOBAL__N_19CustomSumEEEEE10hipError_tPvRmT0_T1_jT2_SS_T4_T3_P12ihipStream_tbEUlT_E_NS1_11comp_targetILNS1_3genE5ELNS1_11target_archE942ELNS1_3gpuE9ELNS1_3repE0EEENS1_30default_config_static_selectorELNS0_4arch9wavefront6targetE1EEEvSR_,"axG",@progbits,_ZN7rocprim17ROCPRIM_400000_NS6detail17trampoline_kernelINS0_14default_configENS1_32segmented_reduce_config_selectorIN3c104HalfEEEZNS1_21segmented_reduce_implIS3_PKS6_PS6_PKlS6_N6hipcub16HIPCUB_304000_NS6detail27convert_result_type_wrapperISA_SB_N2at6native12_GLOBAL__N_19CustomSumEEEEE10hipError_tPvRmT0_T1_jT2_SS_T4_T3_P12ihipStream_tbEUlT_E_NS1_11comp_targetILNS1_3genE5ELNS1_11target_archE942ELNS1_3gpuE9ELNS1_3repE0EEENS1_30default_config_static_selectorELNS0_4arch9wavefront6targetE1EEEvSR_,comdat
	.globl	_ZN7rocprim17ROCPRIM_400000_NS6detail17trampoline_kernelINS0_14default_configENS1_32segmented_reduce_config_selectorIN3c104HalfEEEZNS1_21segmented_reduce_implIS3_PKS6_PS6_PKlS6_N6hipcub16HIPCUB_304000_NS6detail27convert_result_type_wrapperISA_SB_N2at6native12_GLOBAL__N_19CustomSumEEEEE10hipError_tPvRmT0_T1_jT2_SS_T4_T3_P12ihipStream_tbEUlT_E_NS1_11comp_targetILNS1_3genE5ELNS1_11target_archE942ELNS1_3gpuE9ELNS1_3repE0EEENS1_30default_config_static_selectorELNS0_4arch9wavefront6targetE1EEEvSR_ ; -- Begin function _ZN7rocprim17ROCPRIM_400000_NS6detail17trampoline_kernelINS0_14default_configENS1_32segmented_reduce_config_selectorIN3c104HalfEEEZNS1_21segmented_reduce_implIS3_PKS6_PS6_PKlS6_N6hipcub16HIPCUB_304000_NS6detail27convert_result_type_wrapperISA_SB_N2at6native12_GLOBAL__N_19CustomSumEEEEE10hipError_tPvRmT0_T1_jT2_SS_T4_T3_P12ihipStream_tbEUlT_E_NS1_11comp_targetILNS1_3genE5ELNS1_11target_archE942ELNS1_3gpuE9ELNS1_3repE0EEENS1_30default_config_static_selectorELNS0_4arch9wavefront6targetE1EEEvSR_
	.p2align	8
	.type	_ZN7rocprim17ROCPRIM_400000_NS6detail17trampoline_kernelINS0_14default_configENS1_32segmented_reduce_config_selectorIN3c104HalfEEEZNS1_21segmented_reduce_implIS3_PKS6_PS6_PKlS6_N6hipcub16HIPCUB_304000_NS6detail27convert_result_type_wrapperISA_SB_N2at6native12_GLOBAL__N_19CustomSumEEEEE10hipError_tPvRmT0_T1_jT2_SS_T4_T3_P12ihipStream_tbEUlT_E_NS1_11comp_targetILNS1_3genE5ELNS1_11target_archE942ELNS1_3gpuE9ELNS1_3repE0EEENS1_30default_config_static_selectorELNS0_4arch9wavefront6targetE1EEEvSR_,@function
_ZN7rocprim17ROCPRIM_400000_NS6detail17trampoline_kernelINS0_14default_configENS1_32segmented_reduce_config_selectorIN3c104HalfEEEZNS1_21segmented_reduce_implIS3_PKS6_PS6_PKlS6_N6hipcub16HIPCUB_304000_NS6detail27convert_result_type_wrapperISA_SB_N2at6native12_GLOBAL__N_19CustomSumEEEEE10hipError_tPvRmT0_T1_jT2_SS_T4_T3_P12ihipStream_tbEUlT_E_NS1_11comp_targetILNS1_3genE5ELNS1_11target_archE942ELNS1_3gpuE9ELNS1_3repE0EEENS1_30default_config_static_selectorELNS0_4arch9wavefront6targetE1EEEvSR_: ; @_ZN7rocprim17ROCPRIM_400000_NS6detail17trampoline_kernelINS0_14default_configENS1_32segmented_reduce_config_selectorIN3c104HalfEEEZNS1_21segmented_reduce_implIS3_PKS6_PS6_PKlS6_N6hipcub16HIPCUB_304000_NS6detail27convert_result_type_wrapperISA_SB_N2at6native12_GLOBAL__N_19CustomSumEEEEE10hipError_tPvRmT0_T1_jT2_SS_T4_T3_P12ihipStream_tbEUlT_E_NS1_11comp_targetILNS1_3genE5ELNS1_11target_archE942ELNS1_3gpuE9ELNS1_3repE0EEENS1_30default_config_static_selectorELNS0_4arch9wavefront6targetE1EEEvSR_
; %bb.0:
	.section	.rodata,"a",@progbits
	.p2align	6, 0x0
	.amdhsa_kernel _ZN7rocprim17ROCPRIM_400000_NS6detail17trampoline_kernelINS0_14default_configENS1_32segmented_reduce_config_selectorIN3c104HalfEEEZNS1_21segmented_reduce_implIS3_PKS6_PS6_PKlS6_N6hipcub16HIPCUB_304000_NS6detail27convert_result_type_wrapperISA_SB_N2at6native12_GLOBAL__N_19CustomSumEEEEE10hipError_tPvRmT0_T1_jT2_SS_T4_T3_P12ihipStream_tbEUlT_E_NS1_11comp_targetILNS1_3genE5ELNS1_11target_archE942ELNS1_3gpuE9ELNS1_3repE0EEENS1_30default_config_static_selectorELNS0_4arch9wavefront6targetE1EEEvSR_
		.amdhsa_group_segment_fixed_size 0
		.amdhsa_private_segment_fixed_size 0
		.amdhsa_kernarg_size 48
		.amdhsa_user_sgpr_count 6
		.amdhsa_user_sgpr_private_segment_buffer 1
		.amdhsa_user_sgpr_dispatch_ptr 0
		.amdhsa_user_sgpr_queue_ptr 0
		.amdhsa_user_sgpr_kernarg_segment_ptr 1
		.amdhsa_user_sgpr_dispatch_id 0
		.amdhsa_user_sgpr_flat_scratch_init 0
		.amdhsa_user_sgpr_private_segment_size 0
		.amdhsa_uses_dynamic_stack 0
		.amdhsa_system_sgpr_private_segment_wavefront_offset 0
		.amdhsa_system_sgpr_workgroup_id_x 1
		.amdhsa_system_sgpr_workgroup_id_y 0
		.amdhsa_system_sgpr_workgroup_id_z 0
		.amdhsa_system_sgpr_workgroup_info 0
		.amdhsa_system_vgpr_workitem_id 0
		.amdhsa_next_free_vgpr 1
		.amdhsa_next_free_sgpr 0
		.amdhsa_reserve_vcc 0
		.amdhsa_reserve_flat_scratch 0
		.amdhsa_float_round_mode_32 0
		.amdhsa_float_round_mode_16_64 0
		.amdhsa_float_denorm_mode_32 3
		.amdhsa_float_denorm_mode_16_64 3
		.amdhsa_dx10_clamp 1
		.amdhsa_ieee_mode 1
		.amdhsa_fp16_overflow 0
		.amdhsa_exception_fp_ieee_invalid_op 0
		.amdhsa_exception_fp_denorm_src 0
		.amdhsa_exception_fp_ieee_div_zero 0
		.amdhsa_exception_fp_ieee_overflow 0
		.amdhsa_exception_fp_ieee_underflow 0
		.amdhsa_exception_fp_ieee_inexact 0
		.amdhsa_exception_int_div_zero 0
	.end_amdhsa_kernel
	.section	.text._ZN7rocprim17ROCPRIM_400000_NS6detail17trampoline_kernelINS0_14default_configENS1_32segmented_reduce_config_selectorIN3c104HalfEEEZNS1_21segmented_reduce_implIS3_PKS6_PS6_PKlS6_N6hipcub16HIPCUB_304000_NS6detail27convert_result_type_wrapperISA_SB_N2at6native12_GLOBAL__N_19CustomSumEEEEE10hipError_tPvRmT0_T1_jT2_SS_T4_T3_P12ihipStream_tbEUlT_E_NS1_11comp_targetILNS1_3genE5ELNS1_11target_archE942ELNS1_3gpuE9ELNS1_3repE0EEENS1_30default_config_static_selectorELNS0_4arch9wavefront6targetE1EEEvSR_,"axG",@progbits,_ZN7rocprim17ROCPRIM_400000_NS6detail17trampoline_kernelINS0_14default_configENS1_32segmented_reduce_config_selectorIN3c104HalfEEEZNS1_21segmented_reduce_implIS3_PKS6_PS6_PKlS6_N6hipcub16HIPCUB_304000_NS6detail27convert_result_type_wrapperISA_SB_N2at6native12_GLOBAL__N_19CustomSumEEEEE10hipError_tPvRmT0_T1_jT2_SS_T4_T3_P12ihipStream_tbEUlT_E_NS1_11comp_targetILNS1_3genE5ELNS1_11target_archE942ELNS1_3gpuE9ELNS1_3repE0EEENS1_30default_config_static_selectorELNS0_4arch9wavefront6targetE1EEEvSR_,comdat
.Lfunc_end222:
	.size	_ZN7rocprim17ROCPRIM_400000_NS6detail17trampoline_kernelINS0_14default_configENS1_32segmented_reduce_config_selectorIN3c104HalfEEEZNS1_21segmented_reduce_implIS3_PKS6_PS6_PKlS6_N6hipcub16HIPCUB_304000_NS6detail27convert_result_type_wrapperISA_SB_N2at6native12_GLOBAL__N_19CustomSumEEEEE10hipError_tPvRmT0_T1_jT2_SS_T4_T3_P12ihipStream_tbEUlT_E_NS1_11comp_targetILNS1_3genE5ELNS1_11target_archE942ELNS1_3gpuE9ELNS1_3repE0EEENS1_30default_config_static_selectorELNS0_4arch9wavefront6targetE1EEEvSR_, .Lfunc_end222-_ZN7rocprim17ROCPRIM_400000_NS6detail17trampoline_kernelINS0_14default_configENS1_32segmented_reduce_config_selectorIN3c104HalfEEEZNS1_21segmented_reduce_implIS3_PKS6_PS6_PKlS6_N6hipcub16HIPCUB_304000_NS6detail27convert_result_type_wrapperISA_SB_N2at6native12_GLOBAL__N_19CustomSumEEEEE10hipError_tPvRmT0_T1_jT2_SS_T4_T3_P12ihipStream_tbEUlT_E_NS1_11comp_targetILNS1_3genE5ELNS1_11target_archE942ELNS1_3gpuE9ELNS1_3repE0EEENS1_30default_config_static_selectorELNS0_4arch9wavefront6targetE1EEEvSR_
                                        ; -- End function
	.set _ZN7rocprim17ROCPRIM_400000_NS6detail17trampoline_kernelINS0_14default_configENS1_32segmented_reduce_config_selectorIN3c104HalfEEEZNS1_21segmented_reduce_implIS3_PKS6_PS6_PKlS6_N6hipcub16HIPCUB_304000_NS6detail27convert_result_type_wrapperISA_SB_N2at6native12_GLOBAL__N_19CustomSumEEEEE10hipError_tPvRmT0_T1_jT2_SS_T4_T3_P12ihipStream_tbEUlT_E_NS1_11comp_targetILNS1_3genE5ELNS1_11target_archE942ELNS1_3gpuE9ELNS1_3repE0EEENS1_30default_config_static_selectorELNS0_4arch9wavefront6targetE1EEEvSR_.num_vgpr, 0
	.set _ZN7rocprim17ROCPRIM_400000_NS6detail17trampoline_kernelINS0_14default_configENS1_32segmented_reduce_config_selectorIN3c104HalfEEEZNS1_21segmented_reduce_implIS3_PKS6_PS6_PKlS6_N6hipcub16HIPCUB_304000_NS6detail27convert_result_type_wrapperISA_SB_N2at6native12_GLOBAL__N_19CustomSumEEEEE10hipError_tPvRmT0_T1_jT2_SS_T4_T3_P12ihipStream_tbEUlT_E_NS1_11comp_targetILNS1_3genE5ELNS1_11target_archE942ELNS1_3gpuE9ELNS1_3repE0EEENS1_30default_config_static_selectorELNS0_4arch9wavefront6targetE1EEEvSR_.num_agpr, 0
	.set _ZN7rocprim17ROCPRIM_400000_NS6detail17trampoline_kernelINS0_14default_configENS1_32segmented_reduce_config_selectorIN3c104HalfEEEZNS1_21segmented_reduce_implIS3_PKS6_PS6_PKlS6_N6hipcub16HIPCUB_304000_NS6detail27convert_result_type_wrapperISA_SB_N2at6native12_GLOBAL__N_19CustomSumEEEEE10hipError_tPvRmT0_T1_jT2_SS_T4_T3_P12ihipStream_tbEUlT_E_NS1_11comp_targetILNS1_3genE5ELNS1_11target_archE942ELNS1_3gpuE9ELNS1_3repE0EEENS1_30default_config_static_selectorELNS0_4arch9wavefront6targetE1EEEvSR_.numbered_sgpr, 0
	.set _ZN7rocprim17ROCPRIM_400000_NS6detail17trampoline_kernelINS0_14default_configENS1_32segmented_reduce_config_selectorIN3c104HalfEEEZNS1_21segmented_reduce_implIS3_PKS6_PS6_PKlS6_N6hipcub16HIPCUB_304000_NS6detail27convert_result_type_wrapperISA_SB_N2at6native12_GLOBAL__N_19CustomSumEEEEE10hipError_tPvRmT0_T1_jT2_SS_T4_T3_P12ihipStream_tbEUlT_E_NS1_11comp_targetILNS1_3genE5ELNS1_11target_archE942ELNS1_3gpuE9ELNS1_3repE0EEENS1_30default_config_static_selectorELNS0_4arch9wavefront6targetE1EEEvSR_.num_named_barrier, 0
	.set _ZN7rocprim17ROCPRIM_400000_NS6detail17trampoline_kernelINS0_14default_configENS1_32segmented_reduce_config_selectorIN3c104HalfEEEZNS1_21segmented_reduce_implIS3_PKS6_PS6_PKlS6_N6hipcub16HIPCUB_304000_NS6detail27convert_result_type_wrapperISA_SB_N2at6native12_GLOBAL__N_19CustomSumEEEEE10hipError_tPvRmT0_T1_jT2_SS_T4_T3_P12ihipStream_tbEUlT_E_NS1_11comp_targetILNS1_3genE5ELNS1_11target_archE942ELNS1_3gpuE9ELNS1_3repE0EEENS1_30default_config_static_selectorELNS0_4arch9wavefront6targetE1EEEvSR_.private_seg_size, 0
	.set _ZN7rocprim17ROCPRIM_400000_NS6detail17trampoline_kernelINS0_14default_configENS1_32segmented_reduce_config_selectorIN3c104HalfEEEZNS1_21segmented_reduce_implIS3_PKS6_PS6_PKlS6_N6hipcub16HIPCUB_304000_NS6detail27convert_result_type_wrapperISA_SB_N2at6native12_GLOBAL__N_19CustomSumEEEEE10hipError_tPvRmT0_T1_jT2_SS_T4_T3_P12ihipStream_tbEUlT_E_NS1_11comp_targetILNS1_3genE5ELNS1_11target_archE942ELNS1_3gpuE9ELNS1_3repE0EEENS1_30default_config_static_selectorELNS0_4arch9wavefront6targetE1EEEvSR_.uses_vcc, 0
	.set _ZN7rocprim17ROCPRIM_400000_NS6detail17trampoline_kernelINS0_14default_configENS1_32segmented_reduce_config_selectorIN3c104HalfEEEZNS1_21segmented_reduce_implIS3_PKS6_PS6_PKlS6_N6hipcub16HIPCUB_304000_NS6detail27convert_result_type_wrapperISA_SB_N2at6native12_GLOBAL__N_19CustomSumEEEEE10hipError_tPvRmT0_T1_jT2_SS_T4_T3_P12ihipStream_tbEUlT_E_NS1_11comp_targetILNS1_3genE5ELNS1_11target_archE942ELNS1_3gpuE9ELNS1_3repE0EEENS1_30default_config_static_selectorELNS0_4arch9wavefront6targetE1EEEvSR_.uses_flat_scratch, 0
	.set _ZN7rocprim17ROCPRIM_400000_NS6detail17trampoline_kernelINS0_14default_configENS1_32segmented_reduce_config_selectorIN3c104HalfEEEZNS1_21segmented_reduce_implIS3_PKS6_PS6_PKlS6_N6hipcub16HIPCUB_304000_NS6detail27convert_result_type_wrapperISA_SB_N2at6native12_GLOBAL__N_19CustomSumEEEEE10hipError_tPvRmT0_T1_jT2_SS_T4_T3_P12ihipStream_tbEUlT_E_NS1_11comp_targetILNS1_3genE5ELNS1_11target_archE942ELNS1_3gpuE9ELNS1_3repE0EEENS1_30default_config_static_selectorELNS0_4arch9wavefront6targetE1EEEvSR_.has_dyn_sized_stack, 0
	.set _ZN7rocprim17ROCPRIM_400000_NS6detail17trampoline_kernelINS0_14default_configENS1_32segmented_reduce_config_selectorIN3c104HalfEEEZNS1_21segmented_reduce_implIS3_PKS6_PS6_PKlS6_N6hipcub16HIPCUB_304000_NS6detail27convert_result_type_wrapperISA_SB_N2at6native12_GLOBAL__N_19CustomSumEEEEE10hipError_tPvRmT0_T1_jT2_SS_T4_T3_P12ihipStream_tbEUlT_E_NS1_11comp_targetILNS1_3genE5ELNS1_11target_archE942ELNS1_3gpuE9ELNS1_3repE0EEENS1_30default_config_static_selectorELNS0_4arch9wavefront6targetE1EEEvSR_.has_recursion, 0
	.set _ZN7rocprim17ROCPRIM_400000_NS6detail17trampoline_kernelINS0_14default_configENS1_32segmented_reduce_config_selectorIN3c104HalfEEEZNS1_21segmented_reduce_implIS3_PKS6_PS6_PKlS6_N6hipcub16HIPCUB_304000_NS6detail27convert_result_type_wrapperISA_SB_N2at6native12_GLOBAL__N_19CustomSumEEEEE10hipError_tPvRmT0_T1_jT2_SS_T4_T3_P12ihipStream_tbEUlT_E_NS1_11comp_targetILNS1_3genE5ELNS1_11target_archE942ELNS1_3gpuE9ELNS1_3repE0EEENS1_30default_config_static_selectorELNS0_4arch9wavefront6targetE1EEEvSR_.has_indirect_call, 0
	.section	.AMDGPU.csdata,"",@progbits
; Kernel info:
; codeLenInByte = 0
; TotalNumSgprs: 4
; NumVgprs: 0
; ScratchSize: 0
; MemoryBound: 0
; FloatMode: 240
; IeeeMode: 1
; LDSByteSize: 0 bytes/workgroup (compile time only)
; SGPRBlocks: 0
; VGPRBlocks: 0
; NumSGPRsForWavesPerEU: 4
; NumVGPRsForWavesPerEU: 1
; Occupancy: 10
; WaveLimiterHint : 0
; COMPUTE_PGM_RSRC2:SCRATCH_EN: 0
; COMPUTE_PGM_RSRC2:USER_SGPR: 6
; COMPUTE_PGM_RSRC2:TRAP_HANDLER: 0
; COMPUTE_PGM_RSRC2:TGID_X_EN: 1
; COMPUTE_PGM_RSRC2:TGID_Y_EN: 0
; COMPUTE_PGM_RSRC2:TGID_Z_EN: 0
; COMPUTE_PGM_RSRC2:TIDIG_COMP_CNT: 0
	.section	.text._ZN7rocprim17ROCPRIM_400000_NS6detail17trampoline_kernelINS0_14default_configENS1_32segmented_reduce_config_selectorIN3c104HalfEEEZNS1_21segmented_reduce_implIS3_PKS6_PS6_PKlS6_N6hipcub16HIPCUB_304000_NS6detail27convert_result_type_wrapperISA_SB_N2at6native12_GLOBAL__N_19CustomSumEEEEE10hipError_tPvRmT0_T1_jT2_SS_T4_T3_P12ihipStream_tbEUlT_E_NS1_11comp_targetILNS1_3genE10ELNS1_11target_archE1201ELNS1_3gpuE5ELNS1_3repE0EEENS1_30default_config_static_selectorELNS0_4arch9wavefront6targetE1EEEvSR_,"axG",@progbits,_ZN7rocprim17ROCPRIM_400000_NS6detail17trampoline_kernelINS0_14default_configENS1_32segmented_reduce_config_selectorIN3c104HalfEEEZNS1_21segmented_reduce_implIS3_PKS6_PS6_PKlS6_N6hipcub16HIPCUB_304000_NS6detail27convert_result_type_wrapperISA_SB_N2at6native12_GLOBAL__N_19CustomSumEEEEE10hipError_tPvRmT0_T1_jT2_SS_T4_T3_P12ihipStream_tbEUlT_E_NS1_11comp_targetILNS1_3genE10ELNS1_11target_archE1201ELNS1_3gpuE5ELNS1_3repE0EEENS1_30default_config_static_selectorELNS0_4arch9wavefront6targetE1EEEvSR_,comdat
	.globl	_ZN7rocprim17ROCPRIM_400000_NS6detail17trampoline_kernelINS0_14default_configENS1_32segmented_reduce_config_selectorIN3c104HalfEEEZNS1_21segmented_reduce_implIS3_PKS6_PS6_PKlS6_N6hipcub16HIPCUB_304000_NS6detail27convert_result_type_wrapperISA_SB_N2at6native12_GLOBAL__N_19CustomSumEEEEE10hipError_tPvRmT0_T1_jT2_SS_T4_T3_P12ihipStream_tbEUlT_E_NS1_11comp_targetILNS1_3genE10ELNS1_11target_archE1201ELNS1_3gpuE5ELNS1_3repE0EEENS1_30default_config_static_selectorELNS0_4arch9wavefront6targetE1EEEvSR_ ; -- Begin function _ZN7rocprim17ROCPRIM_400000_NS6detail17trampoline_kernelINS0_14default_configENS1_32segmented_reduce_config_selectorIN3c104HalfEEEZNS1_21segmented_reduce_implIS3_PKS6_PS6_PKlS6_N6hipcub16HIPCUB_304000_NS6detail27convert_result_type_wrapperISA_SB_N2at6native12_GLOBAL__N_19CustomSumEEEEE10hipError_tPvRmT0_T1_jT2_SS_T4_T3_P12ihipStream_tbEUlT_E_NS1_11comp_targetILNS1_3genE10ELNS1_11target_archE1201ELNS1_3gpuE5ELNS1_3repE0EEENS1_30default_config_static_selectorELNS0_4arch9wavefront6targetE1EEEvSR_
	.p2align	8
	.type	_ZN7rocprim17ROCPRIM_400000_NS6detail17trampoline_kernelINS0_14default_configENS1_32segmented_reduce_config_selectorIN3c104HalfEEEZNS1_21segmented_reduce_implIS3_PKS6_PS6_PKlS6_N6hipcub16HIPCUB_304000_NS6detail27convert_result_type_wrapperISA_SB_N2at6native12_GLOBAL__N_19CustomSumEEEEE10hipError_tPvRmT0_T1_jT2_SS_T4_T3_P12ihipStream_tbEUlT_E_NS1_11comp_targetILNS1_3genE10ELNS1_11target_archE1201ELNS1_3gpuE5ELNS1_3repE0EEENS1_30default_config_static_selectorELNS0_4arch9wavefront6targetE1EEEvSR_,@function
_ZN7rocprim17ROCPRIM_400000_NS6detail17trampoline_kernelINS0_14default_configENS1_32segmented_reduce_config_selectorIN3c104HalfEEEZNS1_21segmented_reduce_implIS3_PKS6_PS6_PKlS6_N6hipcub16HIPCUB_304000_NS6detail27convert_result_type_wrapperISA_SB_N2at6native12_GLOBAL__N_19CustomSumEEEEE10hipError_tPvRmT0_T1_jT2_SS_T4_T3_P12ihipStream_tbEUlT_E_NS1_11comp_targetILNS1_3genE10ELNS1_11target_archE1201ELNS1_3gpuE5ELNS1_3repE0EEENS1_30default_config_static_selectorELNS0_4arch9wavefront6targetE1EEEvSR_: ; @_ZN7rocprim17ROCPRIM_400000_NS6detail17trampoline_kernelINS0_14default_configENS1_32segmented_reduce_config_selectorIN3c104HalfEEEZNS1_21segmented_reduce_implIS3_PKS6_PS6_PKlS6_N6hipcub16HIPCUB_304000_NS6detail27convert_result_type_wrapperISA_SB_N2at6native12_GLOBAL__N_19CustomSumEEEEE10hipError_tPvRmT0_T1_jT2_SS_T4_T3_P12ihipStream_tbEUlT_E_NS1_11comp_targetILNS1_3genE10ELNS1_11target_archE1201ELNS1_3gpuE5ELNS1_3repE0EEENS1_30default_config_static_selectorELNS0_4arch9wavefront6targetE1EEEvSR_
; %bb.0:
	.section	.rodata,"a",@progbits
	.p2align	6, 0x0
	.amdhsa_kernel _ZN7rocprim17ROCPRIM_400000_NS6detail17trampoline_kernelINS0_14default_configENS1_32segmented_reduce_config_selectorIN3c104HalfEEEZNS1_21segmented_reduce_implIS3_PKS6_PS6_PKlS6_N6hipcub16HIPCUB_304000_NS6detail27convert_result_type_wrapperISA_SB_N2at6native12_GLOBAL__N_19CustomSumEEEEE10hipError_tPvRmT0_T1_jT2_SS_T4_T3_P12ihipStream_tbEUlT_E_NS1_11comp_targetILNS1_3genE10ELNS1_11target_archE1201ELNS1_3gpuE5ELNS1_3repE0EEENS1_30default_config_static_selectorELNS0_4arch9wavefront6targetE1EEEvSR_
		.amdhsa_group_segment_fixed_size 0
		.amdhsa_private_segment_fixed_size 0
		.amdhsa_kernarg_size 48
		.amdhsa_user_sgpr_count 6
		.amdhsa_user_sgpr_private_segment_buffer 1
		.amdhsa_user_sgpr_dispatch_ptr 0
		.amdhsa_user_sgpr_queue_ptr 0
		.amdhsa_user_sgpr_kernarg_segment_ptr 1
		.amdhsa_user_sgpr_dispatch_id 0
		.amdhsa_user_sgpr_flat_scratch_init 0
		.amdhsa_user_sgpr_private_segment_size 0
		.amdhsa_uses_dynamic_stack 0
		.amdhsa_system_sgpr_private_segment_wavefront_offset 0
		.amdhsa_system_sgpr_workgroup_id_x 1
		.amdhsa_system_sgpr_workgroup_id_y 0
		.amdhsa_system_sgpr_workgroup_id_z 0
		.amdhsa_system_sgpr_workgroup_info 0
		.amdhsa_system_vgpr_workitem_id 0
		.amdhsa_next_free_vgpr 1
		.amdhsa_next_free_sgpr 0
		.amdhsa_reserve_vcc 0
		.amdhsa_reserve_flat_scratch 0
		.amdhsa_float_round_mode_32 0
		.amdhsa_float_round_mode_16_64 0
		.amdhsa_float_denorm_mode_32 3
		.amdhsa_float_denorm_mode_16_64 3
		.amdhsa_dx10_clamp 1
		.amdhsa_ieee_mode 1
		.amdhsa_fp16_overflow 0
		.amdhsa_exception_fp_ieee_invalid_op 0
		.amdhsa_exception_fp_denorm_src 0
		.amdhsa_exception_fp_ieee_div_zero 0
		.amdhsa_exception_fp_ieee_overflow 0
		.amdhsa_exception_fp_ieee_underflow 0
		.amdhsa_exception_fp_ieee_inexact 0
		.amdhsa_exception_int_div_zero 0
	.end_amdhsa_kernel
	.section	.text._ZN7rocprim17ROCPRIM_400000_NS6detail17trampoline_kernelINS0_14default_configENS1_32segmented_reduce_config_selectorIN3c104HalfEEEZNS1_21segmented_reduce_implIS3_PKS6_PS6_PKlS6_N6hipcub16HIPCUB_304000_NS6detail27convert_result_type_wrapperISA_SB_N2at6native12_GLOBAL__N_19CustomSumEEEEE10hipError_tPvRmT0_T1_jT2_SS_T4_T3_P12ihipStream_tbEUlT_E_NS1_11comp_targetILNS1_3genE10ELNS1_11target_archE1201ELNS1_3gpuE5ELNS1_3repE0EEENS1_30default_config_static_selectorELNS0_4arch9wavefront6targetE1EEEvSR_,"axG",@progbits,_ZN7rocprim17ROCPRIM_400000_NS6detail17trampoline_kernelINS0_14default_configENS1_32segmented_reduce_config_selectorIN3c104HalfEEEZNS1_21segmented_reduce_implIS3_PKS6_PS6_PKlS6_N6hipcub16HIPCUB_304000_NS6detail27convert_result_type_wrapperISA_SB_N2at6native12_GLOBAL__N_19CustomSumEEEEE10hipError_tPvRmT0_T1_jT2_SS_T4_T3_P12ihipStream_tbEUlT_E_NS1_11comp_targetILNS1_3genE10ELNS1_11target_archE1201ELNS1_3gpuE5ELNS1_3repE0EEENS1_30default_config_static_selectorELNS0_4arch9wavefront6targetE1EEEvSR_,comdat
.Lfunc_end223:
	.size	_ZN7rocprim17ROCPRIM_400000_NS6detail17trampoline_kernelINS0_14default_configENS1_32segmented_reduce_config_selectorIN3c104HalfEEEZNS1_21segmented_reduce_implIS3_PKS6_PS6_PKlS6_N6hipcub16HIPCUB_304000_NS6detail27convert_result_type_wrapperISA_SB_N2at6native12_GLOBAL__N_19CustomSumEEEEE10hipError_tPvRmT0_T1_jT2_SS_T4_T3_P12ihipStream_tbEUlT_E_NS1_11comp_targetILNS1_3genE10ELNS1_11target_archE1201ELNS1_3gpuE5ELNS1_3repE0EEENS1_30default_config_static_selectorELNS0_4arch9wavefront6targetE1EEEvSR_, .Lfunc_end223-_ZN7rocprim17ROCPRIM_400000_NS6detail17trampoline_kernelINS0_14default_configENS1_32segmented_reduce_config_selectorIN3c104HalfEEEZNS1_21segmented_reduce_implIS3_PKS6_PS6_PKlS6_N6hipcub16HIPCUB_304000_NS6detail27convert_result_type_wrapperISA_SB_N2at6native12_GLOBAL__N_19CustomSumEEEEE10hipError_tPvRmT0_T1_jT2_SS_T4_T3_P12ihipStream_tbEUlT_E_NS1_11comp_targetILNS1_3genE10ELNS1_11target_archE1201ELNS1_3gpuE5ELNS1_3repE0EEENS1_30default_config_static_selectorELNS0_4arch9wavefront6targetE1EEEvSR_
                                        ; -- End function
	.set _ZN7rocprim17ROCPRIM_400000_NS6detail17trampoline_kernelINS0_14default_configENS1_32segmented_reduce_config_selectorIN3c104HalfEEEZNS1_21segmented_reduce_implIS3_PKS6_PS6_PKlS6_N6hipcub16HIPCUB_304000_NS6detail27convert_result_type_wrapperISA_SB_N2at6native12_GLOBAL__N_19CustomSumEEEEE10hipError_tPvRmT0_T1_jT2_SS_T4_T3_P12ihipStream_tbEUlT_E_NS1_11comp_targetILNS1_3genE10ELNS1_11target_archE1201ELNS1_3gpuE5ELNS1_3repE0EEENS1_30default_config_static_selectorELNS0_4arch9wavefront6targetE1EEEvSR_.num_vgpr, 0
	.set _ZN7rocprim17ROCPRIM_400000_NS6detail17trampoline_kernelINS0_14default_configENS1_32segmented_reduce_config_selectorIN3c104HalfEEEZNS1_21segmented_reduce_implIS3_PKS6_PS6_PKlS6_N6hipcub16HIPCUB_304000_NS6detail27convert_result_type_wrapperISA_SB_N2at6native12_GLOBAL__N_19CustomSumEEEEE10hipError_tPvRmT0_T1_jT2_SS_T4_T3_P12ihipStream_tbEUlT_E_NS1_11comp_targetILNS1_3genE10ELNS1_11target_archE1201ELNS1_3gpuE5ELNS1_3repE0EEENS1_30default_config_static_selectorELNS0_4arch9wavefront6targetE1EEEvSR_.num_agpr, 0
	.set _ZN7rocprim17ROCPRIM_400000_NS6detail17trampoline_kernelINS0_14default_configENS1_32segmented_reduce_config_selectorIN3c104HalfEEEZNS1_21segmented_reduce_implIS3_PKS6_PS6_PKlS6_N6hipcub16HIPCUB_304000_NS6detail27convert_result_type_wrapperISA_SB_N2at6native12_GLOBAL__N_19CustomSumEEEEE10hipError_tPvRmT0_T1_jT2_SS_T4_T3_P12ihipStream_tbEUlT_E_NS1_11comp_targetILNS1_3genE10ELNS1_11target_archE1201ELNS1_3gpuE5ELNS1_3repE0EEENS1_30default_config_static_selectorELNS0_4arch9wavefront6targetE1EEEvSR_.numbered_sgpr, 0
	.set _ZN7rocprim17ROCPRIM_400000_NS6detail17trampoline_kernelINS0_14default_configENS1_32segmented_reduce_config_selectorIN3c104HalfEEEZNS1_21segmented_reduce_implIS3_PKS6_PS6_PKlS6_N6hipcub16HIPCUB_304000_NS6detail27convert_result_type_wrapperISA_SB_N2at6native12_GLOBAL__N_19CustomSumEEEEE10hipError_tPvRmT0_T1_jT2_SS_T4_T3_P12ihipStream_tbEUlT_E_NS1_11comp_targetILNS1_3genE10ELNS1_11target_archE1201ELNS1_3gpuE5ELNS1_3repE0EEENS1_30default_config_static_selectorELNS0_4arch9wavefront6targetE1EEEvSR_.num_named_barrier, 0
	.set _ZN7rocprim17ROCPRIM_400000_NS6detail17trampoline_kernelINS0_14default_configENS1_32segmented_reduce_config_selectorIN3c104HalfEEEZNS1_21segmented_reduce_implIS3_PKS6_PS6_PKlS6_N6hipcub16HIPCUB_304000_NS6detail27convert_result_type_wrapperISA_SB_N2at6native12_GLOBAL__N_19CustomSumEEEEE10hipError_tPvRmT0_T1_jT2_SS_T4_T3_P12ihipStream_tbEUlT_E_NS1_11comp_targetILNS1_3genE10ELNS1_11target_archE1201ELNS1_3gpuE5ELNS1_3repE0EEENS1_30default_config_static_selectorELNS0_4arch9wavefront6targetE1EEEvSR_.private_seg_size, 0
	.set _ZN7rocprim17ROCPRIM_400000_NS6detail17trampoline_kernelINS0_14default_configENS1_32segmented_reduce_config_selectorIN3c104HalfEEEZNS1_21segmented_reduce_implIS3_PKS6_PS6_PKlS6_N6hipcub16HIPCUB_304000_NS6detail27convert_result_type_wrapperISA_SB_N2at6native12_GLOBAL__N_19CustomSumEEEEE10hipError_tPvRmT0_T1_jT2_SS_T4_T3_P12ihipStream_tbEUlT_E_NS1_11comp_targetILNS1_3genE10ELNS1_11target_archE1201ELNS1_3gpuE5ELNS1_3repE0EEENS1_30default_config_static_selectorELNS0_4arch9wavefront6targetE1EEEvSR_.uses_vcc, 0
	.set _ZN7rocprim17ROCPRIM_400000_NS6detail17trampoline_kernelINS0_14default_configENS1_32segmented_reduce_config_selectorIN3c104HalfEEEZNS1_21segmented_reduce_implIS3_PKS6_PS6_PKlS6_N6hipcub16HIPCUB_304000_NS6detail27convert_result_type_wrapperISA_SB_N2at6native12_GLOBAL__N_19CustomSumEEEEE10hipError_tPvRmT0_T1_jT2_SS_T4_T3_P12ihipStream_tbEUlT_E_NS1_11comp_targetILNS1_3genE10ELNS1_11target_archE1201ELNS1_3gpuE5ELNS1_3repE0EEENS1_30default_config_static_selectorELNS0_4arch9wavefront6targetE1EEEvSR_.uses_flat_scratch, 0
	.set _ZN7rocprim17ROCPRIM_400000_NS6detail17trampoline_kernelINS0_14default_configENS1_32segmented_reduce_config_selectorIN3c104HalfEEEZNS1_21segmented_reduce_implIS3_PKS6_PS6_PKlS6_N6hipcub16HIPCUB_304000_NS6detail27convert_result_type_wrapperISA_SB_N2at6native12_GLOBAL__N_19CustomSumEEEEE10hipError_tPvRmT0_T1_jT2_SS_T4_T3_P12ihipStream_tbEUlT_E_NS1_11comp_targetILNS1_3genE10ELNS1_11target_archE1201ELNS1_3gpuE5ELNS1_3repE0EEENS1_30default_config_static_selectorELNS0_4arch9wavefront6targetE1EEEvSR_.has_dyn_sized_stack, 0
	.set _ZN7rocprim17ROCPRIM_400000_NS6detail17trampoline_kernelINS0_14default_configENS1_32segmented_reduce_config_selectorIN3c104HalfEEEZNS1_21segmented_reduce_implIS3_PKS6_PS6_PKlS6_N6hipcub16HIPCUB_304000_NS6detail27convert_result_type_wrapperISA_SB_N2at6native12_GLOBAL__N_19CustomSumEEEEE10hipError_tPvRmT0_T1_jT2_SS_T4_T3_P12ihipStream_tbEUlT_E_NS1_11comp_targetILNS1_3genE10ELNS1_11target_archE1201ELNS1_3gpuE5ELNS1_3repE0EEENS1_30default_config_static_selectorELNS0_4arch9wavefront6targetE1EEEvSR_.has_recursion, 0
	.set _ZN7rocprim17ROCPRIM_400000_NS6detail17trampoline_kernelINS0_14default_configENS1_32segmented_reduce_config_selectorIN3c104HalfEEEZNS1_21segmented_reduce_implIS3_PKS6_PS6_PKlS6_N6hipcub16HIPCUB_304000_NS6detail27convert_result_type_wrapperISA_SB_N2at6native12_GLOBAL__N_19CustomSumEEEEE10hipError_tPvRmT0_T1_jT2_SS_T4_T3_P12ihipStream_tbEUlT_E_NS1_11comp_targetILNS1_3genE10ELNS1_11target_archE1201ELNS1_3gpuE5ELNS1_3repE0EEENS1_30default_config_static_selectorELNS0_4arch9wavefront6targetE1EEEvSR_.has_indirect_call, 0
	.section	.AMDGPU.csdata,"",@progbits
; Kernel info:
; codeLenInByte = 0
; TotalNumSgprs: 4
; NumVgprs: 0
; ScratchSize: 0
; MemoryBound: 0
; FloatMode: 240
; IeeeMode: 1
; LDSByteSize: 0 bytes/workgroup (compile time only)
; SGPRBlocks: 0
; VGPRBlocks: 0
; NumSGPRsForWavesPerEU: 4
; NumVGPRsForWavesPerEU: 1
; Occupancy: 10
; WaveLimiterHint : 0
; COMPUTE_PGM_RSRC2:SCRATCH_EN: 0
; COMPUTE_PGM_RSRC2:USER_SGPR: 6
; COMPUTE_PGM_RSRC2:TRAP_HANDLER: 0
; COMPUTE_PGM_RSRC2:TGID_X_EN: 1
; COMPUTE_PGM_RSRC2:TGID_Y_EN: 0
; COMPUTE_PGM_RSRC2:TGID_Z_EN: 0
; COMPUTE_PGM_RSRC2:TIDIG_COMP_CNT: 0
	.section	.text._ZN7rocprim17ROCPRIM_400000_NS6detail17trampoline_kernelINS0_14default_configENS1_32segmented_reduce_config_selectorIN3c104HalfEEEZNS1_21segmented_reduce_implIS3_PKS6_PS6_PKlS6_N6hipcub16HIPCUB_304000_NS6detail27convert_result_type_wrapperISA_SB_N2at6native12_GLOBAL__N_19CustomSumEEEEE10hipError_tPvRmT0_T1_jT2_SS_T4_T3_P12ihipStream_tbEUlT_E_NS1_11comp_targetILNS1_3genE4ELNS1_11target_archE910ELNS1_3gpuE8ELNS1_3repE0EEENS1_30default_config_static_selectorELNS0_4arch9wavefront6targetE1EEEvSR_,"axG",@progbits,_ZN7rocprim17ROCPRIM_400000_NS6detail17trampoline_kernelINS0_14default_configENS1_32segmented_reduce_config_selectorIN3c104HalfEEEZNS1_21segmented_reduce_implIS3_PKS6_PS6_PKlS6_N6hipcub16HIPCUB_304000_NS6detail27convert_result_type_wrapperISA_SB_N2at6native12_GLOBAL__N_19CustomSumEEEEE10hipError_tPvRmT0_T1_jT2_SS_T4_T3_P12ihipStream_tbEUlT_E_NS1_11comp_targetILNS1_3genE4ELNS1_11target_archE910ELNS1_3gpuE8ELNS1_3repE0EEENS1_30default_config_static_selectorELNS0_4arch9wavefront6targetE1EEEvSR_,comdat
	.globl	_ZN7rocprim17ROCPRIM_400000_NS6detail17trampoline_kernelINS0_14default_configENS1_32segmented_reduce_config_selectorIN3c104HalfEEEZNS1_21segmented_reduce_implIS3_PKS6_PS6_PKlS6_N6hipcub16HIPCUB_304000_NS6detail27convert_result_type_wrapperISA_SB_N2at6native12_GLOBAL__N_19CustomSumEEEEE10hipError_tPvRmT0_T1_jT2_SS_T4_T3_P12ihipStream_tbEUlT_E_NS1_11comp_targetILNS1_3genE4ELNS1_11target_archE910ELNS1_3gpuE8ELNS1_3repE0EEENS1_30default_config_static_selectorELNS0_4arch9wavefront6targetE1EEEvSR_ ; -- Begin function _ZN7rocprim17ROCPRIM_400000_NS6detail17trampoline_kernelINS0_14default_configENS1_32segmented_reduce_config_selectorIN3c104HalfEEEZNS1_21segmented_reduce_implIS3_PKS6_PS6_PKlS6_N6hipcub16HIPCUB_304000_NS6detail27convert_result_type_wrapperISA_SB_N2at6native12_GLOBAL__N_19CustomSumEEEEE10hipError_tPvRmT0_T1_jT2_SS_T4_T3_P12ihipStream_tbEUlT_E_NS1_11comp_targetILNS1_3genE4ELNS1_11target_archE910ELNS1_3gpuE8ELNS1_3repE0EEENS1_30default_config_static_selectorELNS0_4arch9wavefront6targetE1EEEvSR_
	.p2align	8
	.type	_ZN7rocprim17ROCPRIM_400000_NS6detail17trampoline_kernelINS0_14default_configENS1_32segmented_reduce_config_selectorIN3c104HalfEEEZNS1_21segmented_reduce_implIS3_PKS6_PS6_PKlS6_N6hipcub16HIPCUB_304000_NS6detail27convert_result_type_wrapperISA_SB_N2at6native12_GLOBAL__N_19CustomSumEEEEE10hipError_tPvRmT0_T1_jT2_SS_T4_T3_P12ihipStream_tbEUlT_E_NS1_11comp_targetILNS1_3genE4ELNS1_11target_archE910ELNS1_3gpuE8ELNS1_3repE0EEENS1_30default_config_static_selectorELNS0_4arch9wavefront6targetE1EEEvSR_,@function
_ZN7rocprim17ROCPRIM_400000_NS6detail17trampoline_kernelINS0_14default_configENS1_32segmented_reduce_config_selectorIN3c104HalfEEEZNS1_21segmented_reduce_implIS3_PKS6_PS6_PKlS6_N6hipcub16HIPCUB_304000_NS6detail27convert_result_type_wrapperISA_SB_N2at6native12_GLOBAL__N_19CustomSumEEEEE10hipError_tPvRmT0_T1_jT2_SS_T4_T3_P12ihipStream_tbEUlT_E_NS1_11comp_targetILNS1_3genE4ELNS1_11target_archE910ELNS1_3gpuE8ELNS1_3repE0EEENS1_30default_config_static_selectorELNS0_4arch9wavefront6targetE1EEEvSR_: ; @_ZN7rocprim17ROCPRIM_400000_NS6detail17trampoline_kernelINS0_14default_configENS1_32segmented_reduce_config_selectorIN3c104HalfEEEZNS1_21segmented_reduce_implIS3_PKS6_PS6_PKlS6_N6hipcub16HIPCUB_304000_NS6detail27convert_result_type_wrapperISA_SB_N2at6native12_GLOBAL__N_19CustomSumEEEEE10hipError_tPvRmT0_T1_jT2_SS_T4_T3_P12ihipStream_tbEUlT_E_NS1_11comp_targetILNS1_3genE4ELNS1_11target_archE910ELNS1_3gpuE8ELNS1_3repE0EEENS1_30default_config_static_selectorELNS0_4arch9wavefront6targetE1EEEvSR_
; %bb.0:
	.section	.rodata,"a",@progbits
	.p2align	6, 0x0
	.amdhsa_kernel _ZN7rocprim17ROCPRIM_400000_NS6detail17trampoline_kernelINS0_14default_configENS1_32segmented_reduce_config_selectorIN3c104HalfEEEZNS1_21segmented_reduce_implIS3_PKS6_PS6_PKlS6_N6hipcub16HIPCUB_304000_NS6detail27convert_result_type_wrapperISA_SB_N2at6native12_GLOBAL__N_19CustomSumEEEEE10hipError_tPvRmT0_T1_jT2_SS_T4_T3_P12ihipStream_tbEUlT_E_NS1_11comp_targetILNS1_3genE4ELNS1_11target_archE910ELNS1_3gpuE8ELNS1_3repE0EEENS1_30default_config_static_selectorELNS0_4arch9wavefront6targetE1EEEvSR_
		.amdhsa_group_segment_fixed_size 0
		.amdhsa_private_segment_fixed_size 0
		.amdhsa_kernarg_size 48
		.amdhsa_user_sgpr_count 6
		.amdhsa_user_sgpr_private_segment_buffer 1
		.amdhsa_user_sgpr_dispatch_ptr 0
		.amdhsa_user_sgpr_queue_ptr 0
		.amdhsa_user_sgpr_kernarg_segment_ptr 1
		.amdhsa_user_sgpr_dispatch_id 0
		.amdhsa_user_sgpr_flat_scratch_init 0
		.amdhsa_user_sgpr_private_segment_size 0
		.amdhsa_uses_dynamic_stack 0
		.amdhsa_system_sgpr_private_segment_wavefront_offset 0
		.amdhsa_system_sgpr_workgroup_id_x 1
		.amdhsa_system_sgpr_workgroup_id_y 0
		.amdhsa_system_sgpr_workgroup_id_z 0
		.amdhsa_system_sgpr_workgroup_info 0
		.amdhsa_system_vgpr_workitem_id 0
		.amdhsa_next_free_vgpr 1
		.amdhsa_next_free_sgpr 0
		.amdhsa_reserve_vcc 0
		.amdhsa_reserve_flat_scratch 0
		.amdhsa_float_round_mode_32 0
		.amdhsa_float_round_mode_16_64 0
		.amdhsa_float_denorm_mode_32 3
		.amdhsa_float_denorm_mode_16_64 3
		.amdhsa_dx10_clamp 1
		.amdhsa_ieee_mode 1
		.amdhsa_fp16_overflow 0
		.amdhsa_exception_fp_ieee_invalid_op 0
		.amdhsa_exception_fp_denorm_src 0
		.amdhsa_exception_fp_ieee_div_zero 0
		.amdhsa_exception_fp_ieee_overflow 0
		.amdhsa_exception_fp_ieee_underflow 0
		.amdhsa_exception_fp_ieee_inexact 0
		.amdhsa_exception_int_div_zero 0
	.end_amdhsa_kernel
	.section	.text._ZN7rocprim17ROCPRIM_400000_NS6detail17trampoline_kernelINS0_14default_configENS1_32segmented_reduce_config_selectorIN3c104HalfEEEZNS1_21segmented_reduce_implIS3_PKS6_PS6_PKlS6_N6hipcub16HIPCUB_304000_NS6detail27convert_result_type_wrapperISA_SB_N2at6native12_GLOBAL__N_19CustomSumEEEEE10hipError_tPvRmT0_T1_jT2_SS_T4_T3_P12ihipStream_tbEUlT_E_NS1_11comp_targetILNS1_3genE4ELNS1_11target_archE910ELNS1_3gpuE8ELNS1_3repE0EEENS1_30default_config_static_selectorELNS0_4arch9wavefront6targetE1EEEvSR_,"axG",@progbits,_ZN7rocprim17ROCPRIM_400000_NS6detail17trampoline_kernelINS0_14default_configENS1_32segmented_reduce_config_selectorIN3c104HalfEEEZNS1_21segmented_reduce_implIS3_PKS6_PS6_PKlS6_N6hipcub16HIPCUB_304000_NS6detail27convert_result_type_wrapperISA_SB_N2at6native12_GLOBAL__N_19CustomSumEEEEE10hipError_tPvRmT0_T1_jT2_SS_T4_T3_P12ihipStream_tbEUlT_E_NS1_11comp_targetILNS1_3genE4ELNS1_11target_archE910ELNS1_3gpuE8ELNS1_3repE0EEENS1_30default_config_static_selectorELNS0_4arch9wavefront6targetE1EEEvSR_,comdat
.Lfunc_end224:
	.size	_ZN7rocprim17ROCPRIM_400000_NS6detail17trampoline_kernelINS0_14default_configENS1_32segmented_reduce_config_selectorIN3c104HalfEEEZNS1_21segmented_reduce_implIS3_PKS6_PS6_PKlS6_N6hipcub16HIPCUB_304000_NS6detail27convert_result_type_wrapperISA_SB_N2at6native12_GLOBAL__N_19CustomSumEEEEE10hipError_tPvRmT0_T1_jT2_SS_T4_T3_P12ihipStream_tbEUlT_E_NS1_11comp_targetILNS1_3genE4ELNS1_11target_archE910ELNS1_3gpuE8ELNS1_3repE0EEENS1_30default_config_static_selectorELNS0_4arch9wavefront6targetE1EEEvSR_, .Lfunc_end224-_ZN7rocprim17ROCPRIM_400000_NS6detail17trampoline_kernelINS0_14default_configENS1_32segmented_reduce_config_selectorIN3c104HalfEEEZNS1_21segmented_reduce_implIS3_PKS6_PS6_PKlS6_N6hipcub16HIPCUB_304000_NS6detail27convert_result_type_wrapperISA_SB_N2at6native12_GLOBAL__N_19CustomSumEEEEE10hipError_tPvRmT0_T1_jT2_SS_T4_T3_P12ihipStream_tbEUlT_E_NS1_11comp_targetILNS1_3genE4ELNS1_11target_archE910ELNS1_3gpuE8ELNS1_3repE0EEENS1_30default_config_static_selectorELNS0_4arch9wavefront6targetE1EEEvSR_
                                        ; -- End function
	.set _ZN7rocprim17ROCPRIM_400000_NS6detail17trampoline_kernelINS0_14default_configENS1_32segmented_reduce_config_selectorIN3c104HalfEEEZNS1_21segmented_reduce_implIS3_PKS6_PS6_PKlS6_N6hipcub16HIPCUB_304000_NS6detail27convert_result_type_wrapperISA_SB_N2at6native12_GLOBAL__N_19CustomSumEEEEE10hipError_tPvRmT0_T1_jT2_SS_T4_T3_P12ihipStream_tbEUlT_E_NS1_11comp_targetILNS1_3genE4ELNS1_11target_archE910ELNS1_3gpuE8ELNS1_3repE0EEENS1_30default_config_static_selectorELNS0_4arch9wavefront6targetE1EEEvSR_.num_vgpr, 0
	.set _ZN7rocprim17ROCPRIM_400000_NS6detail17trampoline_kernelINS0_14default_configENS1_32segmented_reduce_config_selectorIN3c104HalfEEEZNS1_21segmented_reduce_implIS3_PKS6_PS6_PKlS6_N6hipcub16HIPCUB_304000_NS6detail27convert_result_type_wrapperISA_SB_N2at6native12_GLOBAL__N_19CustomSumEEEEE10hipError_tPvRmT0_T1_jT2_SS_T4_T3_P12ihipStream_tbEUlT_E_NS1_11comp_targetILNS1_3genE4ELNS1_11target_archE910ELNS1_3gpuE8ELNS1_3repE0EEENS1_30default_config_static_selectorELNS0_4arch9wavefront6targetE1EEEvSR_.num_agpr, 0
	.set _ZN7rocprim17ROCPRIM_400000_NS6detail17trampoline_kernelINS0_14default_configENS1_32segmented_reduce_config_selectorIN3c104HalfEEEZNS1_21segmented_reduce_implIS3_PKS6_PS6_PKlS6_N6hipcub16HIPCUB_304000_NS6detail27convert_result_type_wrapperISA_SB_N2at6native12_GLOBAL__N_19CustomSumEEEEE10hipError_tPvRmT0_T1_jT2_SS_T4_T3_P12ihipStream_tbEUlT_E_NS1_11comp_targetILNS1_3genE4ELNS1_11target_archE910ELNS1_3gpuE8ELNS1_3repE0EEENS1_30default_config_static_selectorELNS0_4arch9wavefront6targetE1EEEvSR_.numbered_sgpr, 0
	.set _ZN7rocprim17ROCPRIM_400000_NS6detail17trampoline_kernelINS0_14default_configENS1_32segmented_reduce_config_selectorIN3c104HalfEEEZNS1_21segmented_reduce_implIS3_PKS6_PS6_PKlS6_N6hipcub16HIPCUB_304000_NS6detail27convert_result_type_wrapperISA_SB_N2at6native12_GLOBAL__N_19CustomSumEEEEE10hipError_tPvRmT0_T1_jT2_SS_T4_T3_P12ihipStream_tbEUlT_E_NS1_11comp_targetILNS1_3genE4ELNS1_11target_archE910ELNS1_3gpuE8ELNS1_3repE0EEENS1_30default_config_static_selectorELNS0_4arch9wavefront6targetE1EEEvSR_.num_named_barrier, 0
	.set _ZN7rocprim17ROCPRIM_400000_NS6detail17trampoline_kernelINS0_14default_configENS1_32segmented_reduce_config_selectorIN3c104HalfEEEZNS1_21segmented_reduce_implIS3_PKS6_PS6_PKlS6_N6hipcub16HIPCUB_304000_NS6detail27convert_result_type_wrapperISA_SB_N2at6native12_GLOBAL__N_19CustomSumEEEEE10hipError_tPvRmT0_T1_jT2_SS_T4_T3_P12ihipStream_tbEUlT_E_NS1_11comp_targetILNS1_3genE4ELNS1_11target_archE910ELNS1_3gpuE8ELNS1_3repE0EEENS1_30default_config_static_selectorELNS0_4arch9wavefront6targetE1EEEvSR_.private_seg_size, 0
	.set _ZN7rocprim17ROCPRIM_400000_NS6detail17trampoline_kernelINS0_14default_configENS1_32segmented_reduce_config_selectorIN3c104HalfEEEZNS1_21segmented_reduce_implIS3_PKS6_PS6_PKlS6_N6hipcub16HIPCUB_304000_NS6detail27convert_result_type_wrapperISA_SB_N2at6native12_GLOBAL__N_19CustomSumEEEEE10hipError_tPvRmT0_T1_jT2_SS_T4_T3_P12ihipStream_tbEUlT_E_NS1_11comp_targetILNS1_3genE4ELNS1_11target_archE910ELNS1_3gpuE8ELNS1_3repE0EEENS1_30default_config_static_selectorELNS0_4arch9wavefront6targetE1EEEvSR_.uses_vcc, 0
	.set _ZN7rocprim17ROCPRIM_400000_NS6detail17trampoline_kernelINS0_14default_configENS1_32segmented_reduce_config_selectorIN3c104HalfEEEZNS1_21segmented_reduce_implIS3_PKS6_PS6_PKlS6_N6hipcub16HIPCUB_304000_NS6detail27convert_result_type_wrapperISA_SB_N2at6native12_GLOBAL__N_19CustomSumEEEEE10hipError_tPvRmT0_T1_jT2_SS_T4_T3_P12ihipStream_tbEUlT_E_NS1_11comp_targetILNS1_3genE4ELNS1_11target_archE910ELNS1_3gpuE8ELNS1_3repE0EEENS1_30default_config_static_selectorELNS0_4arch9wavefront6targetE1EEEvSR_.uses_flat_scratch, 0
	.set _ZN7rocprim17ROCPRIM_400000_NS6detail17trampoline_kernelINS0_14default_configENS1_32segmented_reduce_config_selectorIN3c104HalfEEEZNS1_21segmented_reduce_implIS3_PKS6_PS6_PKlS6_N6hipcub16HIPCUB_304000_NS6detail27convert_result_type_wrapperISA_SB_N2at6native12_GLOBAL__N_19CustomSumEEEEE10hipError_tPvRmT0_T1_jT2_SS_T4_T3_P12ihipStream_tbEUlT_E_NS1_11comp_targetILNS1_3genE4ELNS1_11target_archE910ELNS1_3gpuE8ELNS1_3repE0EEENS1_30default_config_static_selectorELNS0_4arch9wavefront6targetE1EEEvSR_.has_dyn_sized_stack, 0
	.set _ZN7rocprim17ROCPRIM_400000_NS6detail17trampoline_kernelINS0_14default_configENS1_32segmented_reduce_config_selectorIN3c104HalfEEEZNS1_21segmented_reduce_implIS3_PKS6_PS6_PKlS6_N6hipcub16HIPCUB_304000_NS6detail27convert_result_type_wrapperISA_SB_N2at6native12_GLOBAL__N_19CustomSumEEEEE10hipError_tPvRmT0_T1_jT2_SS_T4_T3_P12ihipStream_tbEUlT_E_NS1_11comp_targetILNS1_3genE4ELNS1_11target_archE910ELNS1_3gpuE8ELNS1_3repE0EEENS1_30default_config_static_selectorELNS0_4arch9wavefront6targetE1EEEvSR_.has_recursion, 0
	.set _ZN7rocprim17ROCPRIM_400000_NS6detail17trampoline_kernelINS0_14default_configENS1_32segmented_reduce_config_selectorIN3c104HalfEEEZNS1_21segmented_reduce_implIS3_PKS6_PS6_PKlS6_N6hipcub16HIPCUB_304000_NS6detail27convert_result_type_wrapperISA_SB_N2at6native12_GLOBAL__N_19CustomSumEEEEE10hipError_tPvRmT0_T1_jT2_SS_T4_T3_P12ihipStream_tbEUlT_E_NS1_11comp_targetILNS1_3genE4ELNS1_11target_archE910ELNS1_3gpuE8ELNS1_3repE0EEENS1_30default_config_static_selectorELNS0_4arch9wavefront6targetE1EEEvSR_.has_indirect_call, 0
	.section	.AMDGPU.csdata,"",@progbits
; Kernel info:
; codeLenInByte = 0
; TotalNumSgprs: 4
; NumVgprs: 0
; ScratchSize: 0
; MemoryBound: 0
; FloatMode: 240
; IeeeMode: 1
; LDSByteSize: 0 bytes/workgroup (compile time only)
; SGPRBlocks: 0
; VGPRBlocks: 0
; NumSGPRsForWavesPerEU: 4
; NumVGPRsForWavesPerEU: 1
; Occupancy: 10
; WaveLimiterHint : 0
; COMPUTE_PGM_RSRC2:SCRATCH_EN: 0
; COMPUTE_PGM_RSRC2:USER_SGPR: 6
; COMPUTE_PGM_RSRC2:TRAP_HANDLER: 0
; COMPUTE_PGM_RSRC2:TGID_X_EN: 1
; COMPUTE_PGM_RSRC2:TGID_Y_EN: 0
; COMPUTE_PGM_RSRC2:TGID_Z_EN: 0
; COMPUTE_PGM_RSRC2:TIDIG_COMP_CNT: 0
	.section	.text._ZN7rocprim17ROCPRIM_400000_NS6detail17trampoline_kernelINS0_14default_configENS1_32segmented_reduce_config_selectorIN3c104HalfEEEZNS1_21segmented_reduce_implIS3_PKS6_PS6_PKlS6_N6hipcub16HIPCUB_304000_NS6detail27convert_result_type_wrapperISA_SB_N2at6native12_GLOBAL__N_19CustomSumEEEEE10hipError_tPvRmT0_T1_jT2_SS_T4_T3_P12ihipStream_tbEUlT_E_NS1_11comp_targetILNS1_3genE3ELNS1_11target_archE908ELNS1_3gpuE7ELNS1_3repE0EEENS1_30default_config_static_selectorELNS0_4arch9wavefront6targetE1EEEvSR_,"axG",@progbits,_ZN7rocprim17ROCPRIM_400000_NS6detail17trampoline_kernelINS0_14default_configENS1_32segmented_reduce_config_selectorIN3c104HalfEEEZNS1_21segmented_reduce_implIS3_PKS6_PS6_PKlS6_N6hipcub16HIPCUB_304000_NS6detail27convert_result_type_wrapperISA_SB_N2at6native12_GLOBAL__N_19CustomSumEEEEE10hipError_tPvRmT0_T1_jT2_SS_T4_T3_P12ihipStream_tbEUlT_E_NS1_11comp_targetILNS1_3genE3ELNS1_11target_archE908ELNS1_3gpuE7ELNS1_3repE0EEENS1_30default_config_static_selectorELNS0_4arch9wavefront6targetE1EEEvSR_,comdat
	.globl	_ZN7rocprim17ROCPRIM_400000_NS6detail17trampoline_kernelINS0_14default_configENS1_32segmented_reduce_config_selectorIN3c104HalfEEEZNS1_21segmented_reduce_implIS3_PKS6_PS6_PKlS6_N6hipcub16HIPCUB_304000_NS6detail27convert_result_type_wrapperISA_SB_N2at6native12_GLOBAL__N_19CustomSumEEEEE10hipError_tPvRmT0_T1_jT2_SS_T4_T3_P12ihipStream_tbEUlT_E_NS1_11comp_targetILNS1_3genE3ELNS1_11target_archE908ELNS1_3gpuE7ELNS1_3repE0EEENS1_30default_config_static_selectorELNS0_4arch9wavefront6targetE1EEEvSR_ ; -- Begin function _ZN7rocprim17ROCPRIM_400000_NS6detail17trampoline_kernelINS0_14default_configENS1_32segmented_reduce_config_selectorIN3c104HalfEEEZNS1_21segmented_reduce_implIS3_PKS6_PS6_PKlS6_N6hipcub16HIPCUB_304000_NS6detail27convert_result_type_wrapperISA_SB_N2at6native12_GLOBAL__N_19CustomSumEEEEE10hipError_tPvRmT0_T1_jT2_SS_T4_T3_P12ihipStream_tbEUlT_E_NS1_11comp_targetILNS1_3genE3ELNS1_11target_archE908ELNS1_3gpuE7ELNS1_3repE0EEENS1_30default_config_static_selectorELNS0_4arch9wavefront6targetE1EEEvSR_
	.p2align	8
	.type	_ZN7rocprim17ROCPRIM_400000_NS6detail17trampoline_kernelINS0_14default_configENS1_32segmented_reduce_config_selectorIN3c104HalfEEEZNS1_21segmented_reduce_implIS3_PKS6_PS6_PKlS6_N6hipcub16HIPCUB_304000_NS6detail27convert_result_type_wrapperISA_SB_N2at6native12_GLOBAL__N_19CustomSumEEEEE10hipError_tPvRmT0_T1_jT2_SS_T4_T3_P12ihipStream_tbEUlT_E_NS1_11comp_targetILNS1_3genE3ELNS1_11target_archE908ELNS1_3gpuE7ELNS1_3repE0EEENS1_30default_config_static_selectorELNS0_4arch9wavefront6targetE1EEEvSR_,@function
_ZN7rocprim17ROCPRIM_400000_NS6detail17trampoline_kernelINS0_14default_configENS1_32segmented_reduce_config_selectorIN3c104HalfEEEZNS1_21segmented_reduce_implIS3_PKS6_PS6_PKlS6_N6hipcub16HIPCUB_304000_NS6detail27convert_result_type_wrapperISA_SB_N2at6native12_GLOBAL__N_19CustomSumEEEEE10hipError_tPvRmT0_T1_jT2_SS_T4_T3_P12ihipStream_tbEUlT_E_NS1_11comp_targetILNS1_3genE3ELNS1_11target_archE908ELNS1_3gpuE7ELNS1_3repE0EEENS1_30default_config_static_selectorELNS0_4arch9wavefront6targetE1EEEvSR_: ; @_ZN7rocprim17ROCPRIM_400000_NS6detail17trampoline_kernelINS0_14default_configENS1_32segmented_reduce_config_selectorIN3c104HalfEEEZNS1_21segmented_reduce_implIS3_PKS6_PS6_PKlS6_N6hipcub16HIPCUB_304000_NS6detail27convert_result_type_wrapperISA_SB_N2at6native12_GLOBAL__N_19CustomSumEEEEE10hipError_tPvRmT0_T1_jT2_SS_T4_T3_P12ihipStream_tbEUlT_E_NS1_11comp_targetILNS1_3genE3ELNS1_11target_archE908ELNS1_3gpuE7ELNS1_3repE0EEENS1_30default_config_static_selectorELNS0_4arch9wavefront6targetE1EEEvSR_
; %bb.0:
	.section	.rodata,"a",@progbits
	.p2align	6, 0x0
	.amdhsa_kernel _ZN7rocprim17ROCPRIM_400000_NS6detail17trampoline_kernelINS0_14default_configENS1_32segmented_reduce_config_selectorIN3c104HalfEEEZNS1_21segmented_reduce_implIS3_PKS6_PS6_PKlS6_N6hipcub16HIPCUB_304000_NS6detail27convert_result_type_wrapperISA_SB_N2at6native12_GLOBAL__N_19CustomSumEEEEE10hipError_tPvRmT0_T1_jT2_SS_T4_T3_P12ihipStream_tbEUlT_E_NS1_11comp_targetILNS1_3genE3ELNS1_11target_archE908ELNS1_3gpuE7ELNS1_3repE0EEENS1_30default_config_static_selectorELNS0_4arch9wavefront6targetE1EEEvSR_
		.amdhsa_group_segment_fixed_size 0
		.amdhsa_private_segment_fixed_size 0
		.amdhsa_kernarg_size 48
		.amdhsa_user_sgpr_count 6
		.amdhsa_user_sgpr_private_segment_buffer 1
		.amdhsa_user_sgpr_dispatch_ptr 0
		.amdhsa_user_sgpr_queue_ptr 0
		.amdhsa_user_sgpr_kernarg_segment_ptr 1
		.amdhsa_user_sgpr_dispatch_id 0
		.amdhsa_user_sgpr_flat_scratch_init 0
		.amdhsa_user_sgpr_private_segment_size 0
		.amdhsa_uses_dynamic_stack 0
		.amdhsa_system_sgpr_private_segment_wavefront_offset 0
		.amdhsa_system_sgpr_workgroup_id_x 1
		.amdhsa_system_sgpr_workgroup_id_y 0
		.amdhsa_system_sgpr_workgroup_id_z 0
		.amdhsa_system_sgpr_workgroup_info 0
		.amdhsa_system_vgpr_workitem_id 0
		.amdhsa_next_free_vgpr 1
		.amdhsa_next_free_sgpr 0
		.amdhsa_reserve_vcc 0
		.amdhsa_reserve_flat_scratch 0
		.amdhsa_float_round_mode_32 0
		.amdhsa_float_round_mode_16_64 0
		.amdhsa_float_denorm_mode_32 3
		.amdhsa_float_denorm_mode_16_64 3
		.amdhsa_dx10_clamp 1
		.amdhsa_ieee_mode 1
		.amdhsa_fp16_overflow 0
		.amdhsa_exception_fp_ieee_invalid_op 0
		.amdhsa_exception_fp_denorm_src 0
		.amdhsa_exception_fp_ieee_div_zero 0
		.amdhsa_exception_fp_ieee_overflow 0
		.amdhsa_exception_fp_ieee_underflow 0
		.amdhsa_exception_fp_ieee_inexact 0
		.amdhsa_exception_int_div_zero 0
	.end_amdhsa_kernel
	.section	.text._ZN7rocprim17ROCPRIM_400000_NS6detail17trampoline_kernelINS0_14default_configENS1_32segmented_reduce_config_selectorIN3c104HalfEEEZNS1_21segmented_reduce_implIS3_PKS6_PS6_PKlS6_N6hipcub16HIPCUB_304000_NS6detail27convert_result_type_wrapperISA_SB_N2at6native12_GLOBAL__N_19CustomSumEEEEE10hipError_tPvRmT0_T1_jT2_SS_T4_T3_P12ihipStream_tbEUlT_E_NS1_11comp_targetILNS1_3genE3ELNS1_11target_archE908ELNS1_3gpuE7ELNS1_3repE0EEENS1_30default_config_static_selectorELNS0_4arch9wavefront6targetE1EEEvSR_,"axG",@progbits,_ZN7rocprim17ROCPRIM_400000_NS6detail17trampoline_kernelINS0_14default_configENS1_32segmented_reduce_config_selectorIN3c104HalfEEEZNS1_21segmented_reduce_implIS3_PKS6_PS6_PKlS6_N6hipcub16HIPCUB_304000_NS6detail27convert_result_type_wrapperISA_SB_N2at6native12_GLOBAL__N_19CustomSumEEEEE10hipError_tPvRmT0_T1_jT2_SS_T4_T3_P12ihipStream_tbEUlT_E_NS1_11comp_targetILNS1_3genE3ELNS1_11target_archE908ELNS1_3gpuE7ELNS1_3repE0EEENS1_30default_config_static_selectorELNS0_4arch9wavefront6targetE1EEEvSR_,comdat
.Lfunc_end225:
	.size	_ZN7rocprim17ROCPRIM_400000_NS6detail17trampoline_kernelINS0_14default_configENS1_32segmented_reduce_config_selectorIN3c104HalfEEEZNS1_21segmented_reduce_implIS3_PKS6_PS6_PKlS6_N6hipcub16HIPCUB_304000_NS6detail27convert_result_type_wrapperISA_SB_N2at6native12_GLOBAL__N_19CustomSumEEEEE10hipError_tPvRmT0_T1_jT2_SS_T4_T3_P12ihipStream_tbEUlT_E_NS1_11comp_targetILNS1_3genE3ELNS1_11target_archE908ELNS1_3gpuE7ELNS1_3repE0EEENS1_30default_config_static_selectorELNS0_4arch9wavefront6targetE1EEEvSR_, .Lfunc_end225-_ZN7rocprim17ROCPRIM_400000_NS6detail17trampoline_kernelINS0_14default_configENS1_32segmented_reduce_config_selectorIN3c104HalfEEEZNS1_21segmented_reduce_implIS3_PKS6_PS6_PKlS6_N6hipcub16HIPCUB_304000_NS6detail27convert_result_type_wrapperISA_SB_N2at6native12_GLOBAL__N_19CustomSumEEEEE10hipError_tPvRmT0_T1_jT2_SS_T4_T3_P12ihipStream_tbEUlT_E_NS1_11comp_targetILNS1_3genE3ELNS1_11target_archE908ELNS1_3gpuE7ELNS1_3repE0EEENS1_30default_config_static_selectorELNS0_4arch9wavefront6targetE1EEEvSR_
                                        ; -- End function
	.set _ZN7rocprim17ROCPRIM_400000_NS6detail17trampoline_kernelINS0_14default_configENS1_32segmented_reduce_config_selectorIN3c104HalfEEEZNS1_21segmented_reduce_implIS3_PKS6_PS6_PKlS6_N6hipcub16HIPCUB_304000_NS6detail27convert_result_type_wrapperISA_SB_N2at6native12_GLOBAL__N_19CustomSumEEEEE10hipError_tPvRmT0_T1_jT2_SS_T4_T3_P12ihipStream_tbEUlT_E_NS1_11comp_targetILNS1_3genE3ELNS1_11target_archE908ELNS1_3gpuE7ELNS1_3repE0EEENS1_30default_config_static_selectorELNS0_4arch9wavefront6targetE1EEEvSR_.num_vgpr, 0
	.set _ZN7rocprim17ROCPRIM_400000_NS6detail17trampoline_kernelINS0_14default_configENS1_32segmented_reduce_config_selectorIN3c104HalfEEEZNS1_21segmented_reduce_implIS3_PKS6_PS6_PKlS6_N6hipcub16HIPCUB_304000_NS6detail27convert_result_type_wrapperISA_SB_N2at6native12_GLOBAL__N_19CustomSumEEEEE10hipError_tPvRmT0_T1_jT2_SS_T4_T3_P12ihipStream_tbEUlT_E_NS1_11comp_targetILNS1_3genE3ELNS1_11target_archE908ELNS1_3gpuE7ELNS1_3repE0EEENS1_30default_config_static_selectorELNS0_4arch9wavefront6targetE1EEEvSR_.num_agpr, 0
	.set _ZN7rocprim17ROCPRIM_400000_NS6detail17trampoline_kernelINS0_14default_configENS1_32segmented_reduce_config_selectorIN3c104HalfEEEZNS1_21segmented_reduce_implIS3_PKS6_PS6_PKlS6_N6hipcub16HIPCUB_304000_NS6detail27convert_result_type_wrapperISA_SB_N2at6native12_GLOBAL__N_19CustomSumEEEEE10hipError_tPvRmT0_T1_jT2_SS_T4_T3_P12ihipStream_tbEUlT_E_NS1_11comp_targetILNS1_3genE3ELNS1_11target_archE908ELNS1_3gpuE7ELNS1_3repE0EEENS1_30default_config_static_selectorELNS0_4arch9wavefront6targetE1EEEvSR_.numbered_sgpr, 0
	.set _ZN7rocprim17ROCPRIM_400000_NS6detail17trampoline_kernelINS0_14default_configENS1_32segmented_reduce_config_selectorIN3c104HalfEEEZNS1_21segmented_reduce_implIS3_PKS6_PS6_PKlS6_N6hipcub16HIPCUB_304000_NS6detail27convert_result_type_wrapperISA_SB_N2at6native12_GLOBAL__N_19CustomSumEEEEE10hipError_tPvRmT0_T1_jT2_SS_T4_T3_P12ihipStream_tbEUlT_E_NS1_11comp_targetILNS1_3genE3ELNS1_11target_archE908ELNS1_3gpuE7ELNS1_3repE0EEENS1_30default_config_static_selectorELNS0_4arch9wavefront6targetE1EEEvSR_.num_named_barrier, 0
	.set _ZN7rocprim17ROCPRIM_400000_NS6detail17trampoline_kernelINS0_14default_configENS1_32segmented_reduce_config_selectorIN3c104HalfEEEZNS1_21segmented_reduce_implIS3_PKS6_PS6_PKlS6_N6hipcub16HIPCUB_304000_NS6detail27convert_result_type_wrapperISA_SB_N2at6native12_GLOBAL__N_19CustomSumEEEEE10hipError_tPvRmT0_T1_jT2_SS_T4_T3_P12ihipStream_tbEUlT_E_NS1_11comp_targetILNS1_3genE3ELNS1_11target_archE908ELNS1_3gpuE7ELNS1_3repE0EEENS1_30default_config_static_selectorELNS0_4arch9wavefront6targetE1EEEvSR_.private_seg_size, 0
	.set _ZN7rocprim17ROCPRIM_400000_NS6detail17trampoline_kernelINS0_14default_configENS1_32segmented_reduce_config_selectorIN3c104HalfEEEZNS1_21segmented_reduce_implIS3_PKS6_PS6_PKlS6_N6hipcub16HIPCUB_304000_NS6detail27convert_result_type_wrapperISA_SB_N2at6native12_GLOBAL__N_19CustomSumEEEEE10hipError_tPvRmT0_T1_jT2_SS_T4_T3_P12ihipStream_tbEUlT_E_NS1_11comp_targetILNS1_3genE3ELNS1_11target_archE908ELNS1_3gpuE7ELNS1_3repE0EEENS1_30default_config_static_selectorELNS0_4arch9wavefront6targetE1EEEvSR_.uses_vcc, 0
	.set _ZN7rocprim17ROCPRIM_400000_NS6detail17trampoline_kernelINS0_14default_configENS1_32segmented_reduce_config_selectorIN3c104HalfEEEZNS1_21segmented_reduce_implIS3_PKS6_PS6_PKlS6_N6hipcub16HIPCUB_304000_NS6detail27convert_result_type_wrapperISA_SB_N2at6native12_GLOBAL__N_19CustomSumEEEEE10hipError_tPvRmT0_T1_jT2_SS_T4_T3_P12ihipStream_tbEUlT_E_NS1_11comp_targetILNS1_3genE3ELNS1_11target_archE908ELNS1_3gpuE7ELNS1_3repE0EEENS1_30default_config_static_selectorELNS0_4arch9wavefront6targetE1EEEvSR_.uses_flat_scratch, 0
	.set _ZN7rocprim17ROCPRIM_400000_NS6detail17trampoline_kernelINS0_14default_configENS1_32segmented_reduce_config_selectorIN3c104HalfEEEZNS1_21segmented_reduce_implIS3_PKS6_PS6_PKlS6_N6hipcub16HIPCUB_304000_NS6detail27convert_result_type_wrapperISA_SB_N2at6native12_GLOBAL__N_19CustomSumEEEEE10hipError_tPvRmT0_T1_jT2_SS_T4_T3_P12ihipStream_tbEUlT_E_NS1_11comp_targetILNS1_3genE3ELNS1_11target_archE908ELNS1_3gpuE7ELNS1_3repE0EEENS1_30default_config_static_selectorELNS0_4arch9wavefront6targetE1EEEvSR_.has_dyn_sized_stack, 0
	.set _ZN7rocprim17ROCPRIM_400000_NS6detail17trampoline_kernelINS0_14default_configENS1_32segmented_reduce_config_selectorIN3c104HalfEEEZNS1_21segmented_reduce_implIS3_PKS6_PS6_PKlS6_N6hipcub16HIPCUB_304000_NS6detail27convert_result_type_wrapperISA_SB_N2at6native12_GLOBAL__N_19CustomSumEEEEE10hipError_tPvRmT0_T1_jT2_SS_T4_T3_P12ihipStream_tbEUlT_E_NS1_11comp_targetILNS1_3genE3ELNS1_11target_archE908ELNS1_3gpuE7ELNS1_3repE0EEENS1_30default_config_static_selectorELNS0_4arch9wavefront6targetE1EEEvSR_.has_recursion, 0
	.set _ZN7rocprim17ROCPRIM_400000_NS6detail17trampoline_kernelINS0_14default_configENS1_32segmented_reduce_config_selectorIN3c104HalfEEEZNS1_21segmented_reduce_implIS3_PKS6_PS6_PKlS6_N6hipcub16HIPCUB_304000_NS6detail27convert_result_type_wrapperISA_SB_N2at6native12_GLOBAL__N_19CustomSumEEEEE10hipError_tPvRmT0_T1_jT2_SS_T4_T3_P12ihipStream_tbEUlT_E_NS1_11comp_targetILNS1_3genE3ELNS1_11target_archE908ELNS1_3gpuE7ELNS1_3repE0EEENS1_30default_config_static_selectorELNS0_4arch9wavefront6targetE1EEEvSR_.has_indirect_call, 0
	.section	.AMDGPU.csdata,"",@progbits
; Kernel info:
; codeLenInByte = 0
; TotalNumSgprs: 4
; NumVgprs: 0
; ScratchSize: 0
; MemoryBound: 0
; FloatMode: 240
; IeeeMode: 1
; LDSByteSize: 0 bytes/workgroup (compile time only)
; SGPRBlocks: 0
; VGPRBlocks: 0
; NumSGPRsForWavesPerEU: 4
; NumVGPRsForWavesPerEU: 1
; Occupancy: 10
; WaveLimiterHint : 0
; COMPUTE_PGM_RSRC2:SCRATCH_EN: 0
; COMPUTE_PGM_RSRC2:USER_SGPR: 6
; COMPUTE_PGM_RSRC2:TRAP_HANDLER: 0
; COMPUTE_PGM_RSRC2:TGID_X_EN: 1
; COMPUTE_PGM_RSRC2:TGID_Y_EN: 0
; COMPUTE_PGM_RSRC2:TGID_Z_EN: 0
; COMPUTE_PGM_RSRC2:TIDIG_COMP_CNT: 0
	.section	.text._ZN7rocprim17ROCPRIM_400000_NS6detail17trampoline_kernelINS0_14default_configENS1_32segmented_reduce_config_selectorIN3c104HalfEEEZNS1_21segmented_reduce_implIS3_PKS6_PS6_PKlS6_N6hipcub16HIPCUB_304000_NS6detail27convert_result_type_wrapperISA_SB_N2at6native12_GLOBAL__N_19CustomSumEEEEE10hipError_tPvRmT0_T1_jT2_SS_T4_T3_P12ihipStream_tbEUlT_E_NS1_11comp_targetILNS1_3genE2ELNS1_11target_archE906ELNS1_3gpuE6ELNS1_3repE0EEENS1_30default_config_static_selectorELNS0_4arch9wavefront6targetE1EEEvSR_,"axG",@progbits,_ZN7rocprim17ROCPRIM_400000_NS6detail17trampoline_kernelINS0_14default_configENS1_32segmented_reduce_config_selectorIN3c104HalfEEEZNS1_21segmented_reduce_implIS3_PKS6_PS6_PKlS6_N6hipcub16HIPCUB_304000_NS6detail27convert_result_type_wrapperISA_SB_N2at6native12_GLOBAL__N_19CustomSumEEEEE10hipError_tPvRmT0_T1_jT2_SS_T4_T3_P12ihipStream_tbEUlT_E_NS1_11comp_targetILNS1_3genE2ELNS1_11target_archE906ELNS1_3gpuE6ELNS1_3repE0EEENS1_30default_config_static_selectorELNS0_4arch9wavefront6targetE1EEEvSR_,comdat
	.globl	_ZN7rocprim17ROCPRIM_400000_NS6detail17trampoline_kernelINS0_14default_configENS1_32segmented_reduce_config_selectorIN3c104HalfEEEZNS1_21segmented_reduce_implIS3_PKS6_PS6_PKlS6_N6hipcub16HIPCUB_304000_NS6detail27convert_result_type_wrapperISA_SB_N2at6native12_GLOBAL__N_19CustomSumEEEEE10hipError_tPvRmT0_T1_jT2_SS_T4_T3_P12ihipStream_tbEUlT_E_NS1_11comp_targetILNS1_3genE2ELNS1_11target_archE906ELNS1_3gpuE6ELNS1_3repE0EEENS1_30default_config_static_selectorELNS0_4arch9wavefront6targetE1EEEvSR_ ; -- Begin function _ZN7rocprim17ROCPRIM_400000_NS6detail17trampoline_kernelINS0_14default_configENS1_32segmented_reduce_config_selectorIN3c104HalfEEEZNS1_21segmented_reduce_implIS3_PKS6_PS6_PKlS6_N6hipcub16HIPCUB_304000_NS6detail27convert_result_type_wrapperISA_SB_N2at6native12_GLOBAL__N_19CustomSumEEEEE10hipError_tPvRmT0_T1_jT2_SS_T4_T3_P12ihipStream_tbEUlT_E_NS1_11comp_targetILNS1_3genE2ELNS1_11target_archE906ELNS1_3gpuE6ELNS1_3repE0EEENS1_30default_config_static_selectorELNS0_4arch9wavefront6targetE1EEEvSR_
	.p2align	8
	.type	_ZN7rocprim17ROCPRIM_400000_NS6detail17trampoline_kernelINS0_14default_configENS1_32segmented_reduce_config_selectorIN3c104HalfEEEZNS1_21segmented_reduce_implIS3_PKS6_PS6_PKlS6_N6hipcub16HIPCUB_304000_NS6detail27convert_result_type_wrapperISA_SB_N2at6native12_GLOBAL__N_19CustomSumEEEEE10hipError_tPvRmT0_T1_jT2_SS_T4_T3_P12ihipStream_tbEUlT_E_NS1_11comp_targetILNS1_3genE2ELNS1_11target_archE906ELNS1_3gpuE6ELNS1_3repE0EEENS1_30default_config_static_selectorELNS0_4arch9wavefront6targetE1EEEvSR_,@function
_ZN7rocprim17ROCPRIM_400000_NS6detail17trampoline_kernelINS0_14default_configENS1_32segmented_reduce_config_selectorIN3c104HalfEEEZNS1_21segmented_reduce_implIS3_PKS6_PS6_PKlS6_N6hipcub16HIPCUB_304000_NS6detail27convert_result_type_wrapperISA_SB_N2at6native12_GLOBAL__N_19CustomSumEEEEE10hipError_tPvRmT0_T1_jT2_SS_T4_T3_P12ihipStream_tbEUlT_E_NS1_11comp_targetILNS1_3genE2ELNS1_11target_archE906ELNS1_3gpuE6ELNS1_3repE0EEENS1_30default_config_static_selectorELNS0_4arch9wavefront6targetE1EEEvSR_: ; @_ZN7rocprim17ROCPRIM_400000_NS6detail17trampoline_kernelINS0_14default_configENS1_32segmented_reduce_config_selectorIN3c104HalfEEEZNS1_21segmented_reduce_implIS3_PKS6_PS6_PKlS6_N6hipcub16HIPCUB_304000_NS6detail27convert_result_type_wrapperISA_SB_N2at6native12_GLOBAL__N_19CustomSumEEEEE10hipError_tPvRmT0_T1_jT2_SS_T4_T3_P12ihipStream_tbEUlT_E_NS1_11comp_targetILNS1_3genE2ELNS1_11target_archE906ELNS1_3gpuE6ELNS1_3repE0EEENS1_30default_config_static_selectorELNS0_4arch9wavefront6targetE1EEEvSR_
; %bb.0:
	s_load_dword s2, s[4:5], 0x28
	s_load_dwordx8 s[36:43], s[4:5], 0x0
	s_load_dwordx2 s[0:1], s[4:5], 0x20
	s_mov_b32 s7, 0
	s_waitcnt lgkmcnt(0)
	s_lshr_b32 s33, s2, 16
	s_lshl_b64 s[2:3], s[40:41], 1
	s_add_u32 s44, s38, s2
	s_addc_u32 s45, s39, s3
	s_lshl_b64 s[2:3], s[40:41], 3
	s_add_u32 s4, s42, s2
	s_addc_u32 s5, s43, s3
	s_add_u32 s8, s0, s2
	s_addc_u32 s9, s1, s3
	s_lshl_b64 s[0:1], s[6:7], 3
	s_add_u32 s2, s4, s0
	s_addc_u32 s3, s5, s1
	s_load_dwordx2 s[38:39], s[2:3], 0x0
	s_add_u32 s0, s8, s0
	s_addc_u32 s1, s9, s1
	s_load_dwordx2 s[34:35], s[0:1], 0x0
	s_mov_b64 s[2:3], -1
	s_waitcnt lgkmcnt(0)
	v_mov_b32_e32 v1, s38
	v_mov_b32_e32 v2, s39
	v_cmp_eq_u32_e64 s[0:1], 0, v0
	v_cmp_gt_i64_e32 vcc, s[34:35], v[1:2]
	s_cbranch_vccnz .LBB226_4
; %bb.1:
	s_and_saveexec_b64 s[2:3], s[0:1]
	s_cbranch_execz .LBB226_3
; %bb.2:
	s_lshl_b64 s[0:1], s[6:7], 1
	s_add_u32 s0, s44, s0
	s_addc_u32 s1, s45, s1
	v_mov_b32_e32 v1, 0
	v_mov_b32_e32 v2, s33
	global_store_short v1, v2, s[0:1]
.LBB226_3:
	s_or_b64 exec, exec, s[2:3]
	s_mov_b64 s[2:3], 0
.LBB226_4:
	s_andn2_b64 vcc, exec, s[2:3]
	s_cbranch_vccnz .LBB226_69
; %bb.5:
	s_add_u32 s2, s38, 0x1000
	v_mov_b32_e32 v1, s34
	s_addc_u32 s3, s39, 0
	v_mov_b32_e32 v2, s35
	v_cmp_le_i64_e32 vcc, s[2:3], v[1:2]
	s_cbranch_vccz .LBB226_46
; %bb.6:
	s_lshl_b64 s[0:1], s[38:39], 1
	s_add_u32 s4, s36, s0
	s_addc_u32 s5, s37, s1
	v_lshlrev_b32_e32 v20, 1, v0
	global_load_ushort v3, v20, s[4:5]
	global_load_ushort v4, v20, s[4:5] offset:512
	global_load_ushort v5, v20, s[4:5] offset:1024
	;; [unrolled: 1-line block ×7, first 2 shown]
	v_mov_b32_e32 v1, s5
	v_add_co_u32_e32 v2, vcc, s4, v20
	v_addc_co_u32_e32 v11, vcc, 0, v1, vcc
	s_movk_i32 s4, 0x1000
	v_add_co_u32_e32 v1, vcc, s4, v2
	v_addc_co_u32_e32 v2, vcc, 0, v11, vcc
	global_load_ushort v12, v[1:2], off
	global_load_ushort v13, v[1:2], off offset:512
	global_load_ushort v14, v[1:2], off offset:1024
	;; [unrolled: 1-line block ×7, first 2 shown]
	v_mov_b32_e32 v1, s34
	s_add_u32 s4, s38, 0x2000
	v_mov_b32_e32 v2, s35
	s_addc_u32 s5, s39, 0
	v_cmp_ge_i64_e32 vcc, s[4:5], v[1:2]
	s_and_b64 vcc, exec, vcc
	s_waitcnt vmcnt(14)
	v_add_f16_e32 v1, v3, v4
	s_waitcnt vmcnt(13)
	v_add_f16_e32 v1, v1, v5
	;; [unrolled: 2-line block ×15, first 2 shown]
	s_cbranch_vccnz .LBB226_9
; %bb.7:
	s_add_u32 s0, s36, s0
	s_addc_u32 s1, s37, s1
	v_mov_b32_e32 v1, s1
	v_add_co_u32_e32 v2, vcc, s0, v20
	v_addc_co_u32_e32 v3, vcc, 0, v1, vcc
	v_add_co_u32_e32 v1, vcc, 0x2000, v2
	v_addc_co_u32_e32 v2, vcc, 0, v3, vcc
.LBB226_8:                              ; =>This Inner Loop Header: Depth=1
	global_load_ushort v3, v[1:2], off
	global_load_ushort v4, v[1:2], off offset:512
	global_load_ushort v5, v[1:2], off offset:1024
	;; [unrolled: 1-line block ×7, first 2 shown]
	s_mov_b64 s[0:1], s[2:3]
	v_add_co_u32_e32 v21, vcc, 0x1000, v1
	v_addc_co_u32_e32 v22, vcc, 0, v2, vcc
	s_add_u32 s2, s0, 0x1000
	global_load_ushort v12, v[21:22], off
	global_load_ushort v13, v[21:22], off offset:512
	global_load_ushort v14, v[21:22], off offset:1024
	;; [unrolled: 1-line block ×4, first 2 shown]
	s_addc_u32 s3, s1, 0
	v_mov_b32_e32 v17, s34
	s_add_u32 s0, s0, 0x2000
	v_mov_b32_e32 v18, s35
	s_addc_u32 s1, s1, 0
	v_cmp_lt_i64_e64 s[0:1], s[0:1], v[17:18]
	global_load_ushort v17, v[21:22], off offset:2560
	global_load_ushort v18, v[21:22], off offset:3072
	global_load_ushort v19, v[21:22], off offset:3584
	v_add_co_u32_e32 v1, vcc, 0x2000, v1
	v_addc_co_u32_e32 v2, vcc, 0, v2, vcc
	s_and_b64 vcc, exec, s[0:1]
	s_waitcnt vmcnt(15)
	v_add_f16_e32 v11, v11, v3
	s_waitcnt vmcnt(14)
	v_add_f16_e32 v11, v11, v4
	s_waitcnt vmcnt(13)
	v_add_f16_e32 v11, v11, v5
	s_waitcnt vmcnt(12)
	v_add_f16_e32 v11, v11, v6
	s_waitcnt vmcnt(11)
	v_add_f16_e32 v11, v11, v7
	s_waitcnt vmcnt(10)
	v_add_f16_e32 v11, v11, v8
	s_waitcnt vmcnt(9)
	v_add_f16_e32 v11, v11, v9
	s_waitcnt vmcnt(8)
	v_add_f16_e32 v11, v11, v10
	s_waitcnt vmcnt(7)
	v_add_f16_e32 v11, v11, v12
	s_waitcnt vmcnt(6)
	v_add_f16_e32 v11, v11, v13
	s_waitcnt vmcnt(5)
	v_add_f16_e32 v11, v11, v14
	s_waitcnt vmcnt(4)
	v_add_f16_e32 v11, v11, v15
	s_waitcnt vmcnt(3)
	v_add_f16_e32 v11, v11, v16
	s_waitcnt vmcnt(2)
	v_add_f16_e32 v11, v11, v17
	s_waitcnt vmcnt(1)
	v_add_f16_e32 v11, v11, v18
	s_waitcnt vmcnt(0)
	v_add_f16_e32 v11, v11, v19
	s_cbranch_vccnz .LBB226_8
.LBB226_9:
	s_sub_i32 s42, s34, s2
	s_lshl_b64 s[0:1], s[2:3], 1
	s_add_u32 s40, s36, s0
	s_addc_u32 s41, s37, s1
	v_cmp_gt_u32_e32 vcc, s42, v0
	s_and_saveexec_b64 s[0:1], vcc
	s_cbranch_execz .LBB226_11
; %bb.10:
	global_load_ushort v3, v20, s[40:41]
.LBB226_11:
	s_or_b64 exec, exec, s[0:1]
	v_or_b32_e32 v1, 0x100, v0
	v_cmp_gt_u32_e64 s[0:1], s42, v1
	s_and_saveexec_b64 s[2:3], s[0:1]
	s_cbranch_execz .LBB226_13
; %bb.12:
	global_load_ushort v4, v20, s[40:41] offset:512
.LBB226_13:
	s_or_b64 exec, exec, s[2:3]
	v_or_b32_e32 v1, 0x200, v0
	v_cmp_gt_u32_e64 s[2:3], s42, v1
	s_and_saveexec_b64 s[4:5], s[2:3]
	s_cbranch_execz .LBB226_15
; %bb.14:
	global_load_ushort v5, v20, s[40:41] offset:1024
.LBB226_15:
	;; [unrolled: 8-line block ×7, first 2 shown]
	s_or_b64 exec, exec, s[16:17]
	v_or_b32_e32 v1, 0x800, v0
	v_cmp_gt_u32_e64 s[16:17], s42, v1
	s_and_saveexec_b64 s[18:19], s[16:17]
	s_cbranch_execz .LBB226_27
; %bb.26:
	v_lshlrev_b32_e32 v1, 1, v1
	global_load_ushort v12, v1, s[40:41]
.LBB226_27:
	s_or_b64 exec, exec, s[18:19]
	v_or_b32_e32 v1, 0x900, v0
	v_cmp_gt_u32_e64 s[18:19], s42, v1
	s_and_saveexec_b64 s[20:21], s[18:19]
	s_cbranch_execz .LBB226_29
; %bb.28:
	v_lshlrev_b32_e32 v1, 1, v1
	global_load_ushort v13, v1, s[40:41]
.LBB226_29:
	;; [unrolled: 9-line block ×8, first 2 shown]
	s_or_b64 exec, exec, s[42:43]
	s_waitcnt vmcnt(0)
	v_add_f16_e32 v1, v11, v3
	v_cndmask_b32_e32 v1, v11, v1, vcc
	v_add_f16_e32 v2, v1, v4
	v_cndmask_b32_e64 v1, v1, v2, s[0:1]
	v_add_f16_e32 v2, v1, v5
	v_cndmask_b32_e64 v1, v1, v2, s[2:3]
	;; [unrolled: 2-line block ×15, first 2 shown]
	v_and_b32_e32 v3, 0xffff, v2
	v_mbcnt_lo_u32_b32 v1, -1, 0
	v_mbcnt_hi_u32_b32 v1, -1, v1
	v_add_f16_dpp v2, v3, v2 quad_perm:[1,0,3,2] row_mask:0xf bank_mask:0xf bound_ctrl:1
	v_lshlrev_b32_e32 v3, 2, v1
	v_or_b32_e32 v4, 0xfc, v3
	v_add_f16_dpp v2, v2, v2 quad_perm:[2,3,0,1] row_mask:0xf bank_mask:0xf bound_ctrl:1
	v_cmp_eq_u32_e32 vcc, 0, v1
	s_nop 0
	v_add_f16_dpp v2, v2, v2 row_ror:4 row_mask:0xf bank_mask:0xf bound_ctrl:1
	s_nop 1
	v_add_f16_dpp v2, v2, v2 row_ror:8 row_mask:0xf bank_mask:0xf bound_ctrl:1
	s_nop 1
	v_add_f16_dpp v2, v2, v2 row_bcast:15 row_mask:0xf bank_mask:0xf bound_ctrl:1
	s_nop 1
	v_add_f16_dpp v2, v2, v2 row_bcast:31 row_mask:0xf bank_mask:0xf bound_ctrl:1
	ds_bpermute_b32 v2, v4, v2
	s_and_saveexec_b64 s[0:1], vcc
	s_cbranch_execz .LBB226_43
; %bb.42:
	v_lshrrev_b32_e32 v4, 5, v0
	v_and_b32_e32 v4, 6, v4
	s_waitcnt lgkmcnt(0)
	ds_write_b16 v4, v2
.LBB226_43:
	s_or_b64 exec, exec, s[0:1]
	v_cmp_gt_u32_e32 vcc, 64, v0
	s_waitcnt lgkmcnt(0)
	s_barrier
	s_and_saveexec_b64 s[0:1], vcc
	s_cbranch_execz .LBB226_45
; %bb.44:
	v_and_b32_e32 v2, 3, v1
	v_lshlrev_b32_e32 v4, 1, v2
	ds_read_u16 v4, v4
	v_cmp_ne_u32_e32 vcc, 3, v2
	v_addc_co_u32_e32 v1, vcc, 0, v1, vcc
	v_lshlrev_b32_e32 v1, 2, v1
	s_waitcnt lgkmcnt(0)
	v_and_b32_e32 v2, 0xffff, v4
	ds_bpermute_b32 v1, v1, v2
	v_or_b32_e32 v2, 8, v3
	s_waitcnt lgkmcnt(0)
	v_add_f16_e32 v1, v4, v1
	ds_bpermute_b32 v2, v2, v1
	s_waitcnt lgkmcnt(0)
	v_add_f16_e32 v2, v1, v2
.LBB226_45:
	s_or_b64 exec, exec, s[0:1]
	s_branch .LBB226_67
.LBB226_46:
                                        ; implicit-def: $vgpr2
	s_cbranch_execz .LBB226_67
; %bb.47:
	s_sub_i32 s12, s34, s38
	v_cmp_gt_u32_e32 vcc, s12, v0
                                        ; implicit-def: $vgpr5
	s_and_saveexec_b64 s[2:3], vcc
	s_cbranch_execz .LBB226_53
; %bb.48:
	v_mov_b32_e32 v1, s39
	v_add_co_u32_e32 v6, vcc, s38, v0
	v_addc_co_u32_e32 v7, vcc, 0, v1, vcc
	v_lshlrev_b64 v[2:3], 1, v[6:7]
	v_mov_b32_e32 v1, s37
	v_add_co_u32_e64 v4, s[0:1], s36, v2
	v_addc_co_u32_e64 v5, vcc, v1, v3, s[0:1]
	global_load_ushort v5, v[4:5], off
	v_add_co_u32_e32 v1, vcc, 0x100, v6
	v_addc_co_u32_e32 v2, vcc, 0, v7, vcc
	v_cmp_gt_i64_e32 vcc, s[34:35], v[1:2]
	s_and_saveexec_b64 s[4:5], vcc
	s_cbranch_execz .LBB226_52
; %bb.49:
	v_mov_b32_e32 v6, s37
	v_addc_co_u32_e64 v6, vcc, v6, v3, s[0:1]
	v_add_co_u32_e32 v3, vcc, 0x200, v4
	v_addc_co_u32_e32 v4, vcc, 0, v6, vcc
	s_mov_b64 s[8:9], 0
.LBB226_50:                             ; =>This Inner Loop Header: Depth=1
	global_load_ushort v6, v[3:4], off
	v_add_co_u32_e32 v1, vcc, 0x100, v1
	v_addc_co_u32_e32 v2, vcc, 0, v2, vcc
	v_cmp_le_i64_e64 s[0:1], s[34:35], v[1:2]
	v_add_co_u32_e32 v3, vcc, 0x200, v3
	v_addc_co_u32_e32 v4, vcc, 0, v4, vcc
	s_or_b64 s[8:9], s[0:1], s[8:9]
	s_waitcnt vmcnt(0)
	v_add_f16_e32 v5, v5, v6
	s_andn2_b64 exec, exec, s[8:9]
	s_cbranch_execnz .LBB226_50
; %bb.51:
	s_or_b64 exec, exec, s[8:9]
.LBB226_52:
	s_or_b64 exec, exec, s[4:5]
.LBB226_53:
	s_or_b64 exec, exec, s[2:3]
	s_cmpk_lt_u32 s12, 0x100
	v_mbcnt_lo_u32_b32 v1, -1, 0
	s_cbranch_scc0 .LBB226_61
; %bb.54:
	v_mbcnt_hi_u32_b32 v3, -1, v1
	v_and_b32_e32 v6, 63, v3
	v_cmp_ne_u32_e32 vcc, 63, v6
	v_addc_co_u32_e32 v2, vcc, 0, v3, vcc
	v_lshlrev_b32_e32 v2, 2, v2
	s_waitcnt vmcnt(0)
	v_and_b32_e32 v7, 0xffff, v5
	ds_bpermute_b32 v2, v2, v7
	v_and_b32_e32 v4, 0xc0, v0
	v_sub_u32_e64 v4, s12, v4 clamp
	v_add_u32_e32 v9, 1, v6
	v_cmp_lt_u32_e64 s[8:9], v9, v4
	s_waitcnt lgkmcnt(0)
	v_add_f16_e32 v8, v5, v2
	v_cmp_gt_u32_e32 vcc, 62, v6
	v_cndmask_b32_e64 v2, v7, v8, s[8:9]
	v_cndmask_b32_e64 v7, 0, 2, vcc
	v_add_lshl_u32 v7, v7, v3, 2
	ds_bpermute_b32 v7, v7, v2
	v_add_u32_e32 v10, 2, v6
	v_cndmask_b32_e64 v11, v5, v8, s[8:9]
	v_cmp_gt_u32_e64 s[0:1], 60, v6
	v_cmp_lt_u32_e32 vcc, v10, v4
	s_waitcnt lgkmcnt(0)
	v_add_f16_e32 v9, v11, v7
	v_cndmask_b32_e64 v7, 0, 4, s[0:1]
	v_cndmask_b32_e32 v2, v2, v9, vcc
	v_add_lshl_u32 v7, v7, v3, 2
	ds_bpermute_b32 v7, v7, v2
	v_add_u32_e32 v12, 4, v6
	v_cndmask_b32_e32 v11, v11, v9, vcc
	v_cmp_gt_u32_e64 s[2:3], 56, v6
	v_cmp_lt_u32_e64 s[0:1], v12, v4
	s_waitcnt lgkmcnt(0)
	v_add_f16_e32 v10, v11, v7
	v_cndmask_b32_e64 v7, 0, 8, s[2:3]
	v_cndmask_b32_e64 v2, v2, v10, s[0:1]
	v_add_lshl_u32 v7, v7, v3, 2
	ds_bpermute_b32 v7, v7, v2
	v_add_u32_e32 v12, 8, v6
	v_cndmask_b32_e64 v13, v11, v10, s[0:1]
	v_cmp_gt_u32_e64 s[4:5], 48, v6
	v_cmp_lt_u32_e64 s[2:3], v12, v4
	s_waitcnt lgkmcnt(0)
	v_add_f16_e32 v11, v13, v7
	v_cndmask_b32_e64 v7, 0, 16, s[4:5]
	v_cndmask_b32_e64 v2, v2, v11, s[2:3]
	v_add_lshl_u32 v7, v7, v3, 2
	ds_bpermute_b32 v7, v7, v2
	v_add_u32_e32 v14, 16, v6
	v_cndmask_b32_e64 v13, v13, v11, s[2:3]
	v_cmp_lt_u32_e64 s[4:5], v14, v4
	s_waitcnt lgkmcnt(0)
	v_add_f16_e32 v12, v13, v7
	v_lshlrev_b32_e32 v7, 2, v3
	v_cndmask_b32_e64 v2, v2, v12, s[4:5]
	v_or_b32_e32 v14, 0x80, v7
	ds_bpermute_b32 v14, v14, v2
	v_mov_b32_e32 v2, v5
	s_and_saveexec_b64 s[10:11], s[8:9]
	s_cbranch_execz .LBB226_56
; %bb.55:
	v_cndmask_b32_e32 v8, v8, v9, vcc
	v_cndmask_b32_e64 v8, v8, v10, s[0:1]
	v_add_u32_e32 v2, 32, v6
	v_cndmask_b32_e64 v6, v13, v12, s[4:5]
	v_cndmask_b32_e64 v8, v8, v11, s[2:3]
	s_waitcnt lgkmcnt(0)
	v_add_f16_e32 v6, v6, v14
	v_cndmask_b32_e64 v8, v8, v12, s[4:5]
	v_cmp_lt_u32_e32 vcc, v2, v4
	v_cndmask_b32_e32 v2, v8, v6, vcc
.LBB226_56:
	s_or_b64 exec, exec, s[10:11]
	v_cmp_eq_u32_e32 vcc, 0, v3
	s_and_saveexec_b64 s[0:1], vcc
; %bb.57:
	v_lshrrev_b32_e32 v4, 5, v0
	v_and_b32_e32 v4, 6, v4
	ds_write_b16 v4, v2
; %bb.58:
	s_or_b64 exec, exec, s[0:1]
	v_cmp_gt_u32_e32 vcc, 4, v0
	s_waitcnt lgkmcnt(0)
	s_barrier
	s_and_saveexec_b64 s[2:3], vcc
	s_cbranch_execz .LBB226_60
; %bb.59:
	v_lshlrev_b32_e32 v2, 1, v3
	ds_read_u16 v2, v2
	v_and_b32_e32 v4, 3, v3
	v_cmp_ne_u32_e32 vcc, 3, v4
	v_addc_co_u32_e32 v3, vcc, 0, v3, vcc
	v_lshlrev_b32_e32 v3, 2, v3
	s_waitcnt lgkmcnt(0)
	v_and_b32_e32 v6, 0xffff, v2
	ds_bpermute_b32 v3, v3, v6
	s_add_i32 s12, s12, 63
	s_lshr_b32 s0, s12, 6
	v_add_u32_e32 v8, 1, v4
	v_cmp_gt_u32_e32 vcc, s0, v8
	s_waitcnt lgkmcnt(0)
	v_add_f16_e32 v3, v2, v3
	v_cndmask_b32_e32 v6, v6, v3, vcc
	v_or_b32_e32 v7, 8, v7
	ds_bpermute_b32 v6, v7, v6
	v_add_u32_e32 v4, 2, v4
	v_cmp_gt_u32_e64 s[0:1], s0, v4
	s_waitcnt lgkmcnt(0)
	v_add_f16_e32 v6, v3, v6
	v_cndmask_b32_e64 v3, v3, v6, s[0:1]
	v_cndmask_b32_e32 v2, v2, v3, vcc
.LBB226_60:
	s_or_b64 exec, exec, s[2:3]
	s_branch .LBB226_67
.LBB226_61:
                                        ; implicit-def: $vgpr2
	s_cbranch_execz .LBB226_67
; %bb.62:
	s_waitcnt vmcnt(0)
	v_and_b32_e32 v2, 0xffff, v5
	v_mbcnt_hi_u32_b32 v1, -1, v1
	v_lshlrev_b32_e32 v3, 2, v1
	v_add_f16_dpp v2, v2, v5 quad_perm:[1,0,3,2] row_mask:0xf bank_mask:0xf bound_ctrl:1
	v_or_b32_e32 v4, 0xfc, v3
	v_cmp_eq_u32_e32 vcc, 0, v1
	v_add_f16_dpp v2, v2, v2 quad_perm:[2,3,0,1] row_mask:0xf bank_mask:0xf bound_ctrl:1
	s_nop 1
	v_add_f16_dpp v2, v2, v2 row_ror:4 row_mask:0xf bank_mask:0xf bound_ctrl:1
	s_nop 1
	v_add_f16_dpp v2, v2, v2 row_ror:8 row_mask:0xf bank_mask:0xf bound_ctrl:1
	s_nop 1
	v_add_f16_dpp v2, v2, v2 row_bcast:15 row_mask:0xf bank_mask:0xf bound_ctrl:1
	s_nop 1
	v_add_f16_dpp v2, v2, v2 row_bcast:31 row_mask:0xf bank_mask:0xf bound_ctrl:1
	ds_bpermute_b32 v2, v4, v2
	s_and_saveexec_b64 s[0:1], vcc
	s_cbranch_execz .LBB226_64
; %bb.63:
	v_lshrrev_b32_e32 v4, 5, v0
	v_and_b32_e32 v4, 6, v4
	s_waitcnt lgkmcnt(0)
	ds_write_b16 v4, v2
.LBB226_64:
	s_or_b64 exec, exec, s[0:1]
	v_cmp_gt_u32_e32 vcc, 64, v0
	s_waitcnt lgkmcnt(0)
	s_barrier
	s_and_saveexec_b64 s[0:1], vcc
	s_cbranch_execz .LBB226_66
; %bb.65:
	v_and_b32_e32 v2, 3, v1
	v_lshlrev_b32_e32 v4, 1, v2
	ds_read_u16 v4, v4
	v_cmp_ne_u32_e32 vcc, 3, v2
	v_addc_co_u32_e32 v1, vcc, 0, v1, vcc
	v_lshlrev_b32_e32 v1, 2, v1
	s_waitcnt lgkmcnt(0)
	v_and_b32_e32 v2, 0xffff, v4
	ds_bpermute_b32 v1, v1, v2
	v_or_b32_e32 v2, 8, v3
	s_waitcnt lgkmcnt(0)
	v_add_f16_e32 v1, v4, v1
	ds_bpermute_b32 v2, v2, v1
	s_waitcnt lgkmcnt(0)
	v_add_f16_e32 v2, v1, v2
.LBB226_66:
	s_or_b64 exec, exec, s[0:1]
.LBB226_67:
	v_cmp_eq_u32_e32 vcc, 0, v0
	s_and_saveexec_b64 s[0:1], vcc
	s_cbranch_execz .LBB226_69
; %bb.68:
	s_lshl_b64 s[0:1], s[6:7], 1
	s_add_u32 s0, s44, s0
	s_addc_u32 s1, s45, s1
	v_mov_b32_e32 v0, 0
	v_add_f16_e32 v1, s33, v2
	global_store_short v0, v1, s[0:1]
.LBB226_69:
	s_endpgm
	.section	.rodata,"a",@progbits
	.p2align	6, 0x0
	.amdhsa_kernel _ZN7rocprim17ROCPRIM_400000_NS6detail17trampoline_kernelINS0_14default_configENS1_32segmented_reduce_config_selectorIN3c104HalfEEEZNS1_21segmented_reduce_implIS3_PKS6_PS6_PKlS6_N6hipcub16HIPCUB_304000_NS6detail27convert_result_type_wrapperISA_SB_N2at6native12_GLOBAL__N_19CustomSumEEEEE10hipError_tPvRmT0_T1_jT2_SS_T4_T3_P12ihipStream_tbEUlT_E_NS1_11comp_targetILNS1_3genE2ELNS1_11target_archE906ELNS1_3gpuE6ELNS1_3repE0EEENS1_30default_config_static_selectorELNS0_4arch9wavefront6targetE1EEEvSR_
		.amdhsa_group_segment_fixed_size 8
		.amdhsa_private_segment_fixed_size 0
		.amdhsa_kernarg_size 48
		.amdhsa_user_sgpr_count 6
		.amdhsa_user_sgpr_private_segment_buffer 1
		.amdhsa_user_sgpr_dispatch_ptr 0
		.amdhsa_user_sgpr_queue_ptr 0
		.amdhsa_user_sgpr_kernarg_segment_ptr 1
		.amdhsa_user_sgpr_dispatch_id 0
		.amdhsa_user_sgpr_flat_scratch_init 0
		.amdhsa_user_sgpr_private_segment_size 0
		.amdhsa_uses_dynamic_stack 0
		.amdhsa_system_sgpr_private_segment_wavefront_offset 0
		.amdhsa_system_sgpr_workgroup_id_x 1
		.amdhsa_system_sgpr_workgroup_id_y 0
		.amdhsa_system_sgpr_workgroup_id_z 0
		.amdhsa_system_sgpr_workgroup_info 0
		.amdhsa_system_vgpr_workitem_id 0
		.amdhsa_next_free_vgpr 23
		.amdhsa_next_free_sgpr 46
		.amdhsa_reserve_vcc 1
		.amdhsa_reserve_flat_scratch 0
		.amdhsa_float_round_mode_32 0
		.amdhsa_float_round_mode_16_64 0
		.amdhsa_float_denorm_mode_32 3
		.amdhsa_float_denorm_mode_16_64 3
		.amdhsa_dx10_clamp 1
		.amdhsa_ieee_mode 1
		.amdhsa_fp16_overflow 0
		.amdhsa_exception_fp_ieee_invalid_op 0
		.amdhsa_exception_fp_denorm_src 0
		.amdhsa_exception_fp_ieee_div_zero 0
		.amdhsa_exception_fp_ieee_overflow 0
		.amdhsa_exception_fp_ieee_underflow 0
		.amdhsa_exception_fp_ieee_inexact 0
		.amdhsa_exception_int_div_zero 0
	.end_amdhsa_kernel
	.section	.text._ZN7rocprim17ROCPRIM_400000_NS6detail17trampoline_kernelINS0_14default_configENS1_32segmented_reduce_config_selectorIN3c104HalfEEEZNS1_21segmented_reduce_implIS3_PKS6_PS6_PKlS6_N6hipcub16HIPCUB_304000_NS6detail27convert_result_type_wrapperISA_SB_N2at6native12_GLOBAL__N_19CustomSumEEEEE10hipError_tPvRmT0_T1_jT2_SS_T4_T3_P12ihipStream_tbEUlT_E_NS1_11comp_targetILNS1_3genE2ELNS1_11target_archE906ELNS1_3gpuE6ELNS1_3repE0EEENS1_30default_config_static_selectorELNS0_4arch9wavefront6targetE1EEEvSR_,"axG",@progbits,_ZN7rocprim17ROCPRIM_400000_NS6detail17trampoline_kernelINS0_14default_configENS1_32segmented_reduce_config_selectorIN3c104HalfEEEZNS1_21segmented_reduce_implIS3_PKS6_PS6_PKlS6_N6hipcub16HIPCUB_304000_NS6detail27convert_result_type_wrapperISA_SB_N2at6native12_GLOBAL__N_19CustomSumEEEEE10hipError_tPvRmT0_T1_jT2_SS_T4_T3_P12ihipStream_tbEUlT_E_NS1_11comp_targetILNS1_3genE2ELNS1_11target_archE906ELNS1_3gpuE6ELNS1_3repE0EEENS1_30default_config_static_selectorELNS0_4arch9wavefront6targetE1EEEvSR_,comdat
.Lfunc_end226:
	.size	_ZN7rocprim17ROCPRIM_400000_NS6detail17trampoline_kernelINS0_14default_configENS1_32segmented_reduce_config_selectorIN3c104HalfEEEZNS1_21segmented_reduce_implIS3_PKS6_PS6_PKlS6_N6hipcub16HIPCUB_304000_NS6detail27convert_result_type_wrapperISA_SB_N2at6native12_GLOBAL__N_19CustomSumEEEEE10hipError_tPvRmT0_T1_jT2_SS_T4_T3_P12ihipStream_tbEUlT_E_NS1_11comp_targetILNS1_3genE2ELNS1_11target_archE906ELNS1_3gpuE6ELNS1_3repE0EEENS1_30default_config_static_selectorELNS0_4arch9wavefront6targetE1EEEvSR_, .Lfunc_end226-_ZN7rocprim17ROCPRIM_400000_NS6detail17trampoline_kernelINS0_14default_configENS1_32segmented_reduce_config_selectorIN3c104HalfEEEZNS1_21segmented_reduce_implIS3_PKS6_PS6_PKlS6_N6hipcub16HIPCUB_304000_NS6detail27convert_result_type_wrapperISA_SB_N2at6native12_GLOBAL__N_19CustomSumEEEEE10hipError_tPvRmT0_T1_jT2_SS_T4_T3_P12ihipStream_tbEUlT_E_NS1_11comp_targetILNS1_3genE2ELNS1_11target_archE906ELNS1_3gpuE6ELNS1_3repE0EEENS1_30default_config_static_selectorELNS0_4arch9wavefront6targetE1EEEvSR_
                                        ; -- End function
	.set _ZN7rocprim17ROCPRIM_400000_NS6detail17trampoline_kernelINS0_14default_configENS1_32segmented_reduce_config_selectorIN3c104HalfEEEZNS1_21segmented_reduce_implIS3_PKS6_PS6_PKlS6_N6hipcub16HIPCUB_304000_NS6detail27convert_result_type_wrapperISA_SB_N2at6native12_GLOBAL__N_19CustomSumEEEEE10hipError_tPvRmT0_T1_jT2_SS_T4_T3_P12ihipStream_tbEUlT_E_NS1_11comp_targetILNS1_3genE2ELNS1_11target_archE906ELNS1_3gpuE6ELNS1_3repE0EEENS1_30default_config_static_selectorELNS0_4arch9wavefront6targetE1EEEvSR_.num_vgpr, 23
	.set _ZN7rocprim17ROCPRIM_400000_NS6detail17trampoline_kernelINS0_14default_configENS1_32segmented_reduce_config_selectorIN3c104HalfEEEZNS1_21segmented_reduce_implIS3_PKS6_PS6_PKlS6_N6hipcub16HIPCUB_304000_NS6detail27convert_result_type_wrapperISA_SB_N2at6native12_GLOBAL__N_19CustomSumEEEEE10hipError_tPvRmT0_T1_jT2_SS_T4_T3_P12ihipStream_tbEUlT_E_NS1_11comp_targetILNS1_3genE2ELNS1_11target_archE906ELNS1_3gpuE6ELNS1_3repE0EEENS1_30default_config_static_selectorELNS0_4arch9wavefront6targetE1EEEvSR_.num_agpr, 0
	.set _ZN7rocprim17ROCPRIM_400000_NS6detail17trampoline_kernelINS0_14default_configENS1_32segmented_reduce_config_selectorIN3c104HalfEEEZNS1_21segmented_reduce_implIS3_PKS6_PS6_PKlS6_N6hipcub16HIPCUB_304000_NS6detail27convert_result_type_wrapperISA_SB_N2at6native12_GLOBAL__N_19CustomSumEEEEE10hipError_tPvRmT0_T1_jT2_SS_T4_T3_P12ihipStream_tbEUlT_E_NS1_11comp_targetILNS1_3genE2ELNS1_11target_archE906ELNS1_3gpuE6ELNS1_3repE0EEENS1_30default_config_static_selectorELNS0_4arch9wavefront6targetE1EEEvSR_.numbered_sgpr, 46
	.set _ZN7rocprim17ROCPRIM_400000_NS6detail17trampoline_kernelINS0_14default_configENS1_32segmented_reduce_config_selectorIN3c104HalfEEEZNS1_21segmented_reduce_implIS3_PKS6_PS6_PKlS6_N6hipcub16HIPCUB_304000_NS6detail27convert_result_type_wrapperISA_SB_N2at6native12_GLOBAL__N_19CustomSumEEEEE10hipError_tPvRmT0_T1_jT2_SS_T4_T3_P12ihipStream_tbEUlT_E_NS1_11comp_targetILNS1_3genE2ELNS1_11target_archE906ELNS1_3gpuE6ELNS1_3repE0EEENS1_30default_config_static_selectorELNS0_4arch9wavefront6targetE1EEEvSR_.num_named_barrier, 0
	.set _ZN7rocprim17ROCPRIM_400000_NS6detail17trampoline_kernelINS0_14default_configENS1_32segmented_reduce_config_selectorIN3c104HalfEEEZNS1_21segmented_reduce_implIS3_PKS6_PS6_PKlS6_N6hipcub16HIPCUB_304000_NS6detail27convert_result_type_wrapperISA_SB_N2at6native12_GLOBAL__N_19CustomSumEEEEE10hipError_tPvRmT0_T1_jT2_SS_T4_T3_P12ihipStream_tbEUlT_E_NS1_11comp_targetILNS1_3genE2ELNS1_11target_archE906ELNS1_3gpuE6ELNS1_3repE0EEENS1_30default_config_static_selectorELNS0_4arch9wavefront6targetE1EEEvSR_.private_seg_size, 0
	.set _ZN7rocprim17ROCPRIM_400000_NS6detail17trampoline_kernelINS0_14default_configENS1_32segmented_reduce_config_selectorIN3c104HalfEEEZNS1_21segmented_reduce_implIS3_PKS6_PS6_PKlS6_N6hipcub16HIPCUB_304000_NS6detail27convert_result_type_wrapperISA_SB_N2at6native12_GLOBAL__N_19CustomSumEEEEE10hipError_tPvRmT0_T1_jT2_SS_T4_T3_P12ihipStream_tbEUlT_E_NS1_11comp_targetILNS1_3genE2ELNS1_11target_archE906ELNS1_3gpuE6ELNS1_3repE0EEENS1_30default_config_static_selectorELNS0_4arch9wavefront6targetE1EEEvSR_.uses_vcc, 1
	.set _ZN7rocprim17ROCPRIM_400000_NS6detail17trampoline_kernelINS0_14default_configENS1_32segmented_reduce_config_selectorIN3c104HalfEEEZNS1_21segmented_reduce_implIS3_PKS6_PS6_PKlS6_N6hipcub16HIPCUB_304000_NS6detail27convert_result_type_wrapperISA_SB_N2at6native12_GLOBAL__N_19CustomSumEEEEE10hipError_tPvRmT0_T1_jT2_SS_T4_T3_P12ihipStream_tbEUlT_E_NS1_11comp_targetILNS1_3genE2ELNS1_11target_archE906ELNS1_3gpuE6ELNS1_3repE0EEENS1_30default_config_static_selectorELNS0_4arch9wavefront6targetE1EEEvSR_.uses_flat_scratch, 0
	.set _ZN7rocprim17ROCPRIM_400000_NS6detail17trampoline_kernelINS0_14default_configENS1_32segmented_reduce_config_selectorIN3c104HalfEEEZNS1_21segmented_reduce_implIS3_PKS6_PS6_PKlS6_N6hipcub16HIPCUB_304000_NS6detail27convert_result_type_wrapperISA_SB_N2at6native12_GLOBAL__N_19CustomSumEEEEE10hipError_tPvRmT0_T1_jT2_SS_T4_T3_P12ihipStream_tbEUlT_E_NS1_11comp_targetILNS1_3genE2ELNS1_11target_archE906ELNS1_3gpuE6ELNS1_3repE0EEENS1_30default_config_static_selectorELNS0_4arch9wavefront6targetE1EEEvSR_.has_dyn_sized_stack, 0
	.set _ZN7rocprim17ROCPRIM_400000_NS6detail17trampoline_kernelINS0_14default_configENS1_32segmented_reduce_config_selectorIN3c104HalfEEEZNS1_21segmented_reduce_implIS3_PKS6_PS6_PKlS6_N6hipcub16HIPCUB_304000_NS6detail27convert_result_type_wrapperISA_SB_N2at6native12_GLOBAL__N_19CustomSumEEEEE10hipError_tPvRmT0_T1_jT2_SS_T4_T3_P12ihipStream_tbEUlT_E_NS1_11comp_targetILNS1_3genE2ELNS1_11target_archE906ELNS1_3gpuE6ELNS1_3repE0EEENS1_30default_config_static_selectorELNS0_4arch9wavefront6targetE1EEEvSR_.has_recursion, 0
	.set _ZN7rocprim17ROCPRIM_400000_NS6detail17trampoline_kernelINS0_14default_configENS1_32segmented_reduce_config_selectorIN3c104HalfEEEZNS1_21segmented_reduce_implIS3_PKS6_PS6_PKlS6_N6hipcub16HIPCUB_304000_NS6detail27convert_result_type_wrapperISA_SB_N2at6native12_GLOBAL__N_19CustomSumEEEEE10hipError_tPvRmT0_T1_jT2_SS_T4_T3_P12ihipStream_tbEUlT_E_NS1_11comp_targetILNS1_3genE2ELNS1_11target_archE906ELNS1_3gpuE6ELNS1_3repE0EEENS1_30default_config_static_selectorELNS0_4arch9wavefront6targetE1EEEvSR_.has_indirect_call, 0
	.section	.AMDGPU.csdata,"",@progbits
; Kernel info:
; codeLenInByte = 3060
; TotalNumSgprs: 50
; NumVgprs: 23
; ScratchSize: 0
; MemoryBound: 0
; FloatMode: 240
; IeeeMode: 1
; LDSByteSize: 8 bytes/workgroup (compile time only)
; SGPRBlocks: 6
; VGPRBlocks: 5
; NumSGPRsForWavesPerEU: 50
; NumVGPRsForWavesPerEU: 23
; Occupancy: 10
; WaveLimiterHint : 1
; COMPUTE_PGM_RSRC2:SCRATCH_EN: 0
; COMPUTE_PGM_RSRC2:USER_SGPR: 6
; COMPUTE_PGM_RSRC2:TRAP_HANDLER: 0
; COMPUTE_PGM_RSRC2:TGID_X_EN: 1
; COMPUTE_PGM_RSRC2:TGID_Y_EN: 0
; COMPUTE_PGM_RSRC2:TGID_Z_EN: 0
; COMPUTE_PGM_RSRC2:TIDIG_COMP_CNT: 0
	.section	.text._ZN7rocprim17ROCPRIM_400000_NS6detail17trampoline_kernelINS0_14default_configENS1_32segmented_reduce_config_selectorIN3c104HalfEEEZNS1_21segmented_reduce_implIS3_PKS6_PS6_PKlS6_N6hipcub16HIPCUB_304000_NS6detail27convert_result_type_wrapperISA_SB_N2at6native12_GLOBAL__N_19CustomSumEEEEE10hipError_tPvRmT0_T1_jT2_SS_T4_T3_P12ihipStream_tbEUlT_E_NS1_11comp_targetILNS1_3genE9ELNS1_11target_archE1100ELNS1_3gpuE3ELNS1_3repE0EEENS1_30default_config_static_selectorELNS0_4arch9wavefront6targetE1EEEvSR_,"axG",@progbits,_ZN7rocprim17ROCPRIM_400000_NS6detail17trampoline_kernelINS0_14default_configENS1_32segmented_reduce_config_selectorIN3c104HalfEEEZNS1_21segmented_reduce_implIS3_PKS6_PS6_PKlS6_N6hipcub16HIPCUB_304000_NS6detail27convert_result_type_wrapperISA_SB_N2at6native12_GLOBAL__N_19CustomSumEEEEE10hipError_tPvRmT0_T1_jT2_SS_T4_T3_P12ihipStream_tbEUlT_E_NS1_11comp_targetILNS1_3genE9ELNS1_11target_archE1100ELNS1_3gpuE3ELNS1_3repE0EEENS1_30default_config_static_selectorELNS0_4arch9wavefront6targetE1EEEvSR_,comdat
	.globl	_ZN7rocprim17ROCPRIM_400000_NS6detail17trampoline_kernelINS0_14default_configENS1_32segmented_reduce_config_selectorIN3c104HalfEEEZNS1_21segmented_reduce_implIS3_PKS6_PS6_PKlS6_N6hipcub16HIPCUB_304000_NS6detail27convert_result_type_wrapperISA_SB_N2at6native12_GLOBAL__N_19CustomSumEEEEE10hipError_tPvRmT0_T1_jT2_SS_T4_T3_P12ihipStream_tbEUlT_E_NS1_11comp_targetILNS1_3genE9ELNS1_11target_archE1100ELNS1_3gpuE3ELNS1_3repE0EEENS1_30default_config_static_selectorELNS0_4arch9wavefront6targetE1EEEvSR_ ; -- Begin function _ZN7rocprim17ROCPRIM_400000_NS6detail17trampoline_kernelINS0_14default_configENS1_32segmented_reduce_config_selectorIN3c104HalfEEEZNS1_21segmented_reduce_implIS3_PKS6_PS6_PKlS6_N6hipcub16HIPCUB_304000_NS6detail27convert_result_type_wrapperISA_SB_N2at6native12_GLOBAL__N_19CustomSumEEEEE10hipError_tPvRmT0_T1_jT2_SS_T4_T3_P12ihipStream_tbEUlT_E_NS1_11comp_targetILNS1_3genE9ELNS1_11target_archE1100ELNS1_3gpuE3ELNS1_3repE0EEENS1_30default_config_static_selectorELNS0_4arch9wavefront6targetE1EEEvSR_
	.p2align	8
	.type	_ZN7rocprim17ROCPRIM_400000_NS6detail17trampoline_kernelINS0_14default_configENS1_32segmented_reduce_config_selectorIN3c104HalfEEEZNS1_21segmented_reduce_implIS3_PKS6_PS6_PKlS6_N6hipcub16HIPCUB_304000_NS6detail27convert_result_type_wrapperISA_SB_N2at6native12_GLOBAL__N_19CustomSumEEEEE10hipError_tPvRmT0_T1_jT2_SS_T4_T3_P12ihipStream_tbEUlT_E_NS1_11comp_targetILNS1_3genE9ELNS1_11target_archE1100ELNS1_3gpuE3ELNS1_3repE0EEENS1_30default_config_static_selectorELNS0_4arch9wavefront6targetE1EEEvSR_,@function
_ZN7rocprim17ROCPRIM_400000_NS6detail17trampoline_kernelINS0_14default_configENS1_32segmented_reduce_config_selectorIN3c104HalfEEEZNS1_21segmented_reduce_implIS3_PKS6_PS6_PKlS6_N6hipcub16HIPCUB_304000_NS6detail27convert_result_type_wrapperISA_SB_N2at6native12_GLOBAL__N_19CustomSumEEEEE10hipError_tPvRmT0_T1_jT2_SS_T4_T3_P12ihipStream_tbEUlT_E_NS1_11comp_targetILNS1_3genE9ELNS1_11target_archE1100ELNS1_3gpuE3ELNS1_3repE0EEENS1_30default_config_static_selectorELNS0_4arch9wavefront6targetE1EEEvSR_: ; @_ZN7rocprim17ROCPRIM_400000_NS6detail17trampoline_kernelINS0_14default_configENS1_32segmented_reduce_config_selectorIN3c104HalfEEEZNS1_21segmented_reduce_implIS3_PKS6_PS6_PKlS6_N6hipcub16HIPCUB_304000_NS6detail27convert_result_type_wrapperISA_SB_N2at6native12_GLOBAL__N_19CustomSumEEEEE10hipError_tPvRmT0_T1_jT2_SS_T4_T3_P12ihipStream_tbEUlT_E_NS1_11comp_targetILNS1_3genE9ELNS1_11target_archE1100ELNS1_3gpuE3ELNS1_3repE0EEENS1_30default_config_static_selectorELNS0_4arch9wavefront6targetE1EEEvSR_
; %bb.0:
	.section	.rodata,"a",@progbits
	.p2align	6, 0x0
	.amdhsa_kernel _ZN7rocprim17ROCPRIM_400000_NS6detail17trampoline_kernelINS0_14default_configENS1_32segmented_reduce_config_selectorIN3c104HalfEEEZNS1_21segmented_reduce_implIS3_PKS6_PS6_PKlS6_N6hipcub16HIPCUB_304000_NS6detail27convert_result_type_wrapperISA_SB_N2at6native12_GLOBAL__N_19CustomSumEEEEE10hipError_tPvRmT0_T1_jT2_SS_T4_T3_P12ihipStream_tbEUlT_E_NS1_11comp_targetILNS1_3genE9ELNS1_11target_archE1100ELNS1_3gpuE3ELNS1_3repE0EEENS1_30default_config_static_selectorELNS0_4arch9wavefront6targetE1EEEvSR_
		.amdhsa_group_segment_fixed_size 0
		.amdhsa_private_segment_fixed_size 0
		.amdhsa_kernarg_size 48
		.amdhsa_user_sgpr_count 6
		.amdhsa_user_sgpr_private_segment_buffer 1
		.amdhsa_user_sgpr_dispatch_ptr 0
		.amdhsa_user_sgpr_queue_ptr 0
		.amdhsa_user_sgpr_kernarg_segment_ptr 1
		.amdhsa_user_sgpr_dispatch_id 0
		.amdhsa_user_sgpr_flat_scratch_init 0
		.amdhsa_user_sgpr_private_segment_size 0
		.amdhsa_uses_dynamic_stack 0
		.amdhsa_system_sgpr_private_segment_wavefront_offset 0
		.amdhsa_system_sgpr_workgroup_id_x 1
		.amdhsa_system_sgpr_workgroup_id_y 0
		.amdhsa_system_sgpr_workgroup_id_z 0
		.amdhsa_system_sgpr_workgroup_info 0
		.amdhsa_system_vgpr_workitem_id 0
		.amdhsa_next_free_vgpr 1
		.amdhsa_next_free_sgpr 0
		.amdhsa_reserve_vcc 0
		.amdhsa_reserve_flat_scratch 0
		.amdhsa_float_round_mode_32 0
		.amdhsa_float_round_mode_16_64 0
		.amdhsa_float_denorm_mode_32 3
		.amdhsa_float_denorm_mode_16_64 3
		.amdhsa_dx10_clamp 1
		.amdhsa_ieee_mode 1
		.amdhsa_fp16_overflow 0
		.amdhsa_exception_fp_ieee_invalid_op 0
		.amdhsa_exception_fp_denorm_src 0
		.amdhsa_exception_fp_ieee_div_zero 0
		.amdhsa_exception_fp_ieee_overflow 0
		.amdhsa_exception_fp_ieee_underflow 0
		.amdhsa_exception_fp_ieee_inexact 0
		.amdhsa_exception_int_div_zero 0
	.end_amdhsa_kernel
	.section	.text._ZN7rocprim17ROCPRIM_400000_NS6detail17trampoline_kernelINS0_14default_configENS1_32segmented_reduce_config_selectorIN3c104HalfEEEZNS1_21segmented_reduce_implIS3_PKS6_PS6_PKlS6_N6hipcub16HIPCUB_304000_NS6detail27convert_result_type_wrapperISA_SB_N2at6native12_GLOBAL__N_19CustomSumEEEEE10hipError_tPvRmT0_T1_jT2_SS_T4_T3_P12ihipStream_tbEUlT_E_NS1_11comp_targetILNS1_3genE9ELNS1_11target_archE1100ELNS1_3gpuE3ELNS1_3repE0EEENS1_30default_config_static_selectorELNS0_4arch9wavefront6targetE1EEEvSR_,"axG",@progbits,_ZN7rocprim17ROCPRIM_400000_NS6detail17trampoline_kernelINS0_14default_configENS1_32segmented_reduce_config_selectorIN3c104HalfEEEZNS1_21segmented_reduce_implIS3_PKS6_PS6_PKlS6_N6hipcub16HIPCUB_304000_NS6detail27convert_result_type_wrapperISA_SB_N2at6native12_GLOBAL__N_19CustomSumEEEEE10hipError_tPvRmT0_T1_jT2_SS_T4_T3_P12ihipStream_tbEUlT_E_NS1_11comp_targetILNS1_3genE9ELNS1_11target_archE1100ELNS1_3gpuE3ELNS1_3repE0EEENS1_30default_config_static_selectorELNS0_4arch9wavefront6targetE1EEEvSR_,comdat
.Lfunc_end227:
	.size	_ZN7rocprim17ROCPRIM_400000_NS6detail17trampoline_kernelINS0_14default_configENS1_32segmented_reduce_config_selectorIN3c104HalfEEEZNS1_21segmented_reduce_implIS3_PKS6_PS6_PKlS6_N6hipcub16HIPCUB_304000_NS6detail27convert_result_type_wrapperISA_SB_N2at6native12_GLOBAL__N_19CustomSumEEEEE10hipError_tPvRmT0_T1_jT2_SS_T4_T3_P12ihipStream_tbEUlT_E_NS1_11comp_targetILNS1_3genE9ELNS1_11target_archE1100ELNS1_3gpuE3ELNS1_3repE0EEENS1_30default_config_static_selectorELNS0_4arch9wavefront6targetE1EEEvSR_, .Lfunc_end227-_ZN7rocprim17ROCPRIM_400000_NS6detail17trampoline_kernelINS0_14default_configENS1_32segmented_reduce_config_selectorIN3c104HalfEEEZNS1_21segmented_reduce_implIS3_PKS6_PS6_PKlS6_N6hipcub16HIPCUB_304000_NS6detail27convert_result_type_wrapperISA_SB_N2at6native12_GLOBAL__N_19CustomSumEEEEE10hipError_tPvRmT0_T1_jT2_SS_T4_T3_P12ihipStream_tbEUlT_E_NS1_11comp_targetILNS1_3genE9ELNS1_11target_archE1100ELNS1_3gpuE3ELNS1_3repE0EEENS1_30default_config_static_selectorELNS0_4arch9wavefront6targetE1EEEvSR_
                                        ; -- End function
	.set _ZN7rocprim17ROCPRIM_400000_NS6detail17trampoline_kernelINS0_14default_configENS1_32segmented_reduce_config_selectorIN3c104HalfEEEZNS1_21segmented_reduce_implIS3_PKS6_PS6_PKlS6_N6hipcub16HIPCUB_304000_NS6detail27convert_result_type_wrapperISA_SB_N2at6native12_GLOBAL__N_19CustomSumEEEEE10hipError_tPvRmT0_T1_jT2_SS_T4_T3_P12ihipStream_tbEUlT_E_NS1_11comp_targetILNS1_3genE9ELNS1_11target_archE1100ELNS1_3gpuE3ELNS1_3repE0EEENS1_30default_config_static_selectorELNS0_4arch9wavefront6targetE1EEEvSR_.num_vgpr, 0
	.set _ZN7rocprim17ROCPRIM_400000_NS6detail17trampoline_kernelINS0_14default_configENS1_32segmented_reduce_config_selectorIN3c104HalfEEEZNS1_21segmented_reduce_implIS3_PKS6_PS6_PKlS6_N6hipcub16HIPCUB_304000_NS6detail27convert_result_type_wrapperISA_SB_N2at6native12_GLOBAL__N_19CustomSumEEEEE10hipError_tPvRmT0_T1_jT2_SS_T4_T3_P12ihipStream_tbEUlT_E_NS1_11comp_targetILNS1_3genE9ELNS1_11target_archE1100ELNS1_3gpuE3ELNS1_3repE0EEENS1_30default_config_static_selectorELNS0_4arch9wavefront6targetE1EEEvSR_.num_agpr, 0
	.set _ZN7rocprim17ROCPRIM_400000_NS6detail17trampoline_kernelINS0_14default_configENS1_32segmented_reduce_config_selectorIN3c104HalfEEEZNS1_21segmented_reduce_implIS3_PKS6_PS6_PKlS6_N6hipcub16HIPCUB_304000_NS6detail27convert_result_type_wrapperISA_SB_N2at6native12_GLOBAL__N_19CustomSumEEEEE10hipError_tPvRmT0_T1_jT2_SS_T4_T3_P12ihipStream_tbEUlT_E_NS1_11comp_targetILNS1_3genE9ELNS1_11target_archE1100ELNS1_3gpuE3ELNS1_3repE0EEENS1_30default_config_static_selectorELNS0_4arch9wavefront6targetE1EEEvSR_.numbered_sgpr, 0
	.set _ZN7rocprim17ROCPRIM_400000_NS6detail17trampoline_kernelINS0_14default_configENS1_32segmented_reduce_config_selectorIN3c104HalfEEEZNS1_21segmented_reduce_implIS3_PKS6_PS6_PKlS6_N6hipcub16HIPCUB_304000_NS6detail27convert_result_type_wrapperISA_SB_N2at6native12_GLOBAL__N_19CustomSumEEEEE10hipError_tPvRmT0_T1_jT2_SS_T4_T3_P12ihipStream_tbEUlT_E_NS1_11comp_targetILNS1_3genE9ELNS1_11target_archE1100ELNS1_3gpuE3ELNS1_3repE0EEENS1_30default_config_static_selectorELNS0_4arch9wavefront6targetE1EEEvSR_.num_named_barrier, 0
	.set _ZN7rocprim17ROCPRIM_400000_NS6detail17trampoline_kernelINS0_14default_configENS1_32segmented_reduce_config_selectorIN3c104HalfEEEZNS1_21segmented_reduce_implIS3_PKS6_PS6_PKlS6_N6hipcub16HIPCUB_304000_NS6detail27convert_result_type_wrapperISA_SB_N2at6native12_GLOBAL__N_19CustomSumEEEEE10hipError_tPvRmT0_T1_jT2_SS_T4_T3_P12ihipStream_tbEUlT_E_NS1_11comp_targetILNS1_3genE9ELNS1_11target_archE1100ELNS1_3gpuE3ELNS1_3repE0EEENS1_30default_config_static_selectorELNS0_4arch9wavefront6targetE1EEEvSR_.private_seg_size, 0
	.set _ZN7rocprim17ROCPRIM_400000_NS6detail17trampoline_kernelINS0_14default_configENS1_32segmented_reduce_config_selectorIN3c104HalfEEEZNS1_21segmented_reduce_implIS3_PKS6_PS6_PKlS6_N6hipcub16HIPCUB_304000_NS6detail27convert_result_type_wrapperISA_SB_N2at6native12_GLOBAL__N_19CustomSumEEEEE10hipError_tPvRmT0_T1_jT2_SS_T4_T3_P12ihipStream_tbEUlT_E_NS1_11comp_targetILNS1_3genE9ELNS1_11target_archE1100ELNS1_3gpuE3ELNS1_3repE0EEENS1_30default_config_static_selectorELNS0_4arch9wavefront6targetE1EEEvSR_.uses_vcc, 0
	.set _ZN7rocprim17ROCPRIM_400000_NS6detail17trampoline_kernelINS0_14default_configENS1_32segmented_reduce_config_selectorIN3c104HalfEEEZNS1_21segmented_reduce_implIS3_PKS6_PS6_PKlS6_N6hipcub16HIPCUB_304000_NS6detail27convert_result_type_wrapperISA_SB_N2at6native12_GLOBAL__N_19CustomSumEEEEE10hipError_tPvRmT0_T1_jT2_SS_T4_T3_P12ihipStream_tbEUlT_E_NS1_11comp_targetILNS1_3genE9ELNS1_11target_archE1100ELNS1_3gpuE3ELNS1_3repE0EEENS1_30default_config_static_selectorELNS0_4arch9wavefront6targetE1EEEvSR_.uses_flat_scratch, 0
	.set _ZN7rocprim17ROCPRIM_400000_NS6detail17trampoline_kernelINS0_14default_configENS1_32segmented_reduce_config_selectorIN3c104HalfEEEZNS1_21segmented_reduce_implIS3_PKS6_PS6_PKlS6_N6hipcub16HIPCUB_304000_NS6detail27convert_result_type_wrapperISA_SB_N2at6native12_GLOBAL__N_19CustomSumEEEEE10hipError_tPvRmT0_T1_jT2_SS_T4_T3_P12ihipStream_tbEUlT_E_NS1_11comp_targetILNS1_3genE9ELNS1_11target_archE1100ELNS1_3gpuE3ELNS1_3repE0EEENS1_30default_config_static_selectorELNS0_4arch9wavefront6targetE1EEEvSR_.has_dyn_sized_stack, 0
	.set _ZN7rocprim17ROCPRIM_400000_NS6detail17trampoline_kernelINS0_14default_configENS1_32segmented_reduce_config_selectorIN3c104HalfEEEZNS1_21segmented_reduce_implIS3_PKS6_PS6_PKlS6_N6hipcub16HIPCUB_304000_NS6detail27convert_result_type_wrapperISA_SB_N2at6native12_GLOBAL__N_19CustomSumEEEEE10hipError_tPvRmT0_T1_jT2_SS_T4_T3_P12ihipStream_tbEUlT_E_NS1_11comp_targetILNS1_3genE9ELNS1_11target_archE1100ELNS1_3gpuE3ELNS1_3repE0EEENS1_30default_config_static_selectorELNS0_4arch9wavefront6targetE1EEEvSR_.has_recursion, 0
	.set _ZN7rocprim17ROCPRIM_400000_NS6detail17trampoline_kernelINS0_14default_configENS1_32segmented_reduce_config_selectorIN3c104HalfEEEZNS1_21segmented_reduce_implIS3_PKS6_PS6_PKlS6_N6hipcub16HIPCUB_304000_NS6detail27convert_result_type_wrapperISA_SB_N2at6native12_GLOBAL__N_19CustomSumEEEEE10hipError_tPvRmT0_T1_jT2_SS_T4_T3_P12ihipStream_tbEUlT_E_NS1_11comp_targetILNS1_3genE9ELNS1_11target_archE1100ELNS1_3gpuE3ELNS1_3repE0EEENS1_30default_config_static_selectorELNS0_4arch9wavefront6targetE1EEEvSR_.has_indirect_call, 0
	.section	.AMDGPU.csdata,"",@progbits
; Kernel info:
; codeLenInByte = 0
; TotalNumSgprs: 4
; NumVgprs: 0
; ScratchSize: 0
; MemoryBound: 0
; FloatMode: 240
; IeeeMode: 1
; LDSByteSize: 0 bytes/workgroup (compile time only)
; SGPRBlocks: 0
; VGPRBlocks: 0
; NumSGPRsForWavesPerEU: 4
; NumVGPRsForWavesPerEU: 1
; Occupancy: 10
; WaveLimiterHint : 0
; COMPUTE_PGM_RSRC2:SCRATCH_EN: 0
; COMPUTE_PGM_RSRC2:USER_SGPR: 6
; COMPUTE_PGM_RSRC2:TRAP_HANDLER: 0
; COMPUTE_PGM_RSRC2:TGID_X_EN: 1
; COMPUTE_PGM_RSRC2:TGID_Y_EN: 0
; COMPUTE_PGM_RSRC2:TGID_Z_EN: 0
; COMPUTE_PGM_RSRC2:TIDIG_COMP_CNT: 0
	.section	.text._ZN7rocprim17ROCPRIM_400000_NS6detail17trampoline_kernelINS0_14default_configENS1_32segmented_reduce_config_selectorIN3c104HalfEEEZNS1_21segmented_reduce_implIS3_PKS6_PS6_PKlS6_N6hipcub16HIPCUB_304000_NS6detail27convert_result_type_wrapperISA_SB_N2at6native12_GLOBAL__N_19CustomSumEEEEE10hipError_tPvRmT0_T1_jT2_SS_T4_T3_P12ihipStream_tbEUlT_E_NS1_11comp_targetILNS1_3genE8ELNS1_11target_archE1030ELNS1_3gpuE2ELNS1_3repE0EEENS1_30default_config_static_selectorELNS0_4arch9wavefront6targetE1EEEvSR_,"axG",@progbits,_ZN7rocprim17ROCPRIM_400000_NS6detail17trampoline_kernelINS0_14default_configENS1_32segmented_reduce_config_selectorIN3c104HalfEEEZNS1_21segmented_reduce_implIS3_PKS6_PS6_PKlS6_N6hipcub16HIPCUB_304000_NS6detail27convert_result_type_wrapperISA_SB_N2at6native12_GLOBAL__N_19CustomSumEEEEE10hipError_tPvRmT0_T1_jT2_SS_T4_T3_P12ihipStream_tbEUlT_E_NS1_11comp_targetILNS1_3genE8ELNS1_11target_archE1030ELNS1_3gpuE2ELNS1_3repE0EEENS1_30default_config_static_selectorELNS0_4arch9wavefront6targetE1EEEvSR_,comdat
	.globl	_ZN7rocprim17ROCPRIM_400000_NS6detail17trampoline_kernelINS0_14default_configENS1_32segmented_reduce_config_selectorIN3c104HalfEEEZNS1_21segmented_reduce_implIS3_PKS6_PS6_PKlS6_N6hipcub16HIPCUB_304000_NS6detail27convert_result_type_wrapperISA_SB_N2at6native12_GLOBAL__N_19CustomSumEEEEE10hipError_tPvRmT0_T1_jT2_SS_T4_T3_P12ihipStream_tbEUlT_E_NS1_11comp_targetILNS1_3genE8ELNS1_11target_archE1030ELNS1_3gpuE2ELNS1_3repE0EEENS1_30default_config_static_selectorELNS0_4arch9wavefront6targetE1EEEvSR_ ; -- Begin function _ZN7rocprim17ROCPRIM_400000_NS6detail17trampoline_kernelINS0_14default_configENS1_32segmented_reduce_config_selectorIN3c104HalfEEEZNS1_21segmented_reduce_implIS3_PKS6_PS6_PKlS6_N6hipcub16HIPCUB_304000_NS6detail27convert_result_type_wrapperISA_SB_N2at6native12_GLOBAL__N_19CustomSumEEEEE10hipError_tPvRmT0_T1_jT2_SS_T4_T3_P12ihipStream_tbEUlT_E_NS1_11comp_targetILNS1_3genE8ELNS1_11target_archE1030ELNS1_3gpuE2ELNS1_3repE0EEENS1_30default_config_static_selectorELNS0_4arch9wavefront6targetE1EEEvSR_
	.p2align	8
	.type	_ZN7rocprim17ROCPRIM_400000_NS6detail17trampoline_kernelINS0_14default_configENS1_32segmented_reduce_config_selectorIN3c104HalfEEEZNS1_21segmented_reduce_implIS3_PKS6_PS6_PKlS6_N6hipcub16HIPCUB_304000_NS6detail27convert_result_type_wrapperISA_SB_N2at6native12_GLOBAL__N_19CustomSumEEEEE10hipError_tPvRmT0_T1_jT2_SS_T4_T3_P12ihipStream_tbEUlT_E_NS1_11comp_targetILNS1_3genE8ELNS1_11target_archE1030ELNS1_3gpuE2ELNS1_3repE0EEENS1_30default_config_static_selectorELNS0_4arch9wavefront6targetE1EEEvSR_,@function
_ZN7rocprim17ROCPRIM_400000_NS6detail17trampoline_kernelINS0_14default_configENS1_32segmented_reduce_config_selectorIN3c104HalfEEEZNS1_21segmented_reduce_implIS3_PKS6_PS6_PKlS6_N6hipcub16HIPCUB_304000_NS6detail27convert_result_type_wrapperISA_SB_N2at6native12_GLOBAL__N_19CustomSumEEEEE10hipError_tPvRmT0_T1_jT2_SS_T4_T3_P12ihipStream_tbEUlT_E_NS1_11comp_targetILNS1_3genE8ELNS1_11target_archE1030ELNS1_3gpuE2ELNS1_3repE0EEENS1_30default_config_static_selectorELNS0_4arch9wavefront6targetE1EEEvSR_: ; @_ZN7rocprim17ROCPRIM_400000_NS6detail17trampoline_kernelINS0_14default_configENS1_32segmented_reduce_config_selectorIN3c104HalfEEEZNS1_21segmented_reduce_implIS3_PKS6_PS6_PKlS6_N6hipcub16HIPCUB_304000_NS6detail27convert_result_type_wrapperISA_SB_N2at6native12_GLOBAL__N_19CustomSumEEEEE10hipError_tPvRmT0_T1_jT2_SS_T4_T3_P12ihipStream_tbEUlT_E_NS1_11comp_targetILNS1_3genE8ELNS1_11target_archE1030ELNS1_3gpuE2ELNS1_3repE0EEENS1_30default_config_static_selectorELNS0_4arch9wavefront6targetE1EEEvSR_
; %bb.0:
	.section	.rodata,"a",@progbits
	.p2align	6, 0x0
	.amdhsa_kernel _ZN7rocprim17ROCPRIM_400000_NS6detail17trampoline_kernelINS0_14default_configENS1_32segmented_reduce_config_selectorIN3c104HalfEEEZNS1_21segmented_reduce_implIS3_PKS6_PS6_PKlS6_N6hipcub16HIPCUB_304000_NS6detail27convert_result_type_wrapperISA_SB_N2at6native12_GLOBAL__N_19CustomSumEEEEE10hipError_tPvRmT0_T1_jT2_SS_T4_T3_P12ihipStream_tbEUlT_E_NS1_11comp_targetILNS1_3genE8ELNS1_11target_archE1030ELNS1_3gpuE2ELNS1_3repE0EEENS1_30default_config_static_selectorELNS0_4arch9wavefront6targetE1EEEvSR_
		.amdhsa_group_segment_fixed_size 0
		.amdhsa_private_segment_fixed_size 0
		.amdhsa_kernarg_size 48
		.amdhsa_user_sgpr_count 6
		.amdhsa_user_sgpr_private_segment_buffer 1
		.amdhsa_user_sgpr_dispatch_ptr 0
		.amdhsa_user_sgpr_queue_ptr 0
		.amdhsa_user_sgpr_kernarg_segment_ptr 1
		.amdhsa_user_sgpr_dispatch_id 0
		.amdhsa_user_sgpr_flat_scratch_init 0
		.amdhsa_user_sgpr_private_segment_size 0
		.amdhsa_uses_dynamic_stack 0
		.amdhsa_system_sgpr_private_segment_wavefront_offset 0
		.amdhsa_system_sgpr_workgroup_id_x 1
		.amdhsa_system_sgpr_workgroup_id_y 0
		.amdhsa_system_sgpr_workgroup_id_z 0
		.amdhsa_system_sgpr_workgroup_info 0
		.amdhsa_system_vgpr_workitem_id 0
		.amdhsa_next_free_vgpr 1
		.amdhsa_next_free_sgpr 0
		.amdhsa_reserve_vcc 0
		.amdhsa_reserve_flat_scratch 0
		.amdhsa_float_round_mode_32 0
		.amdhsa_float_round_mode_16_64 0
		.amdhsa_float_denorm_mode_32 3
		.amdhsa_float_denorm_mode_16_64 3
		.amdhsa_dx10_clamp 1
		.amdhsa_ieee_mode 1
		.amdhsa_fp16_overflow 0
		.amdhsa_exception_fp_ieee_invalid_op 0
		.amdhsa_exception_fp_denorm_src 0
		.amdhsa_exception_fp_ieee_div_zero 0
		.amdhsa_exception_fp_ieee_overflow 0
		.amdhsa_exception_fp_ieee_underflow 0
		.amdhsa_exception_fp_ieee_inexact 0
		.amdhsa_exception_int_div_zero 0
	.end_amdhsa_kernel
	.section	.text._ZN7rocprim17ROCPRIM_400000_NS6detail17trampoline_kernelINS0_14default_configENS1_32segmented_reduce_config_selectorIN3c104HalfEEEZNS1_21segmented_reduce_implIS3_PKS6_PS6_PKlS6_N6hipcub16HIPCUB_304000_NS6detail27convert_result_type_wrapperISA_SB_N2at6native12_GLOBAL__N_19CustomSumEEEEE10hipError_tPvRmT0_T1_jT2_SS_T4_T3_P12ihipStream_tbEUlT_E_NS1_11comp_targetILNS1_3genE8ELNS1_11target_archE1030ELNS1_3gpuE2ELNS1_3repE0EEENS1_30default_config_static_selectorELNS0_4arch9wavefront6targetE1EEEvSR_,"axG",@progbits,_ZN7rocprim17ROCPRIM_400000_NS6detail17trampoline_kernelINS0_14default_configENS1_32segmented_reduce_config_selectorIN3c104HalfEEEZNS1_21segmented_reduce_implIS3_PKS6_PS6_PKlS6_N6hipcub16HIPCUB_304000_NS6detail27convert_result_type_wrapperISA_SB_N2at6native12_GLOBAL__N_19CustomSumEEEEE10hipError_tPvRmT0_T1_jT2_SS_T4_T3_P12ihipStream_tbEUlT_E_NS1_11comp_targetILNS1_3genE8ELNS1_11target_archE1030ELNS1_3gpuE2ELNS1_3repE0EEENS1_30default_config_static_selectorELNS0_4arch9wavefront6targetE1EEEvSR_,comdat
.Lfunc_end228:
	.size	_ZN7rocprim17ROCPRIM_400000_NS6detail17trampoline_kernelINS0_14default_configENS1_32segmented_reduce_config_selectorIN3c104HalfEEEZNS1_21segmented_reduce_implIS3_PKS6_PS6_PKlS6_N6hipcub16HIPCUB_304000_NS6detail27convert_result_type_wrapperISA_SB_N2at6native12_GLOBAL__N_19CustomSumEEEEE10hipError_tPvRmT0_T1_jT2_SS_T4_T3_P12ihipStream_tbEUlT_E_NS1_11comp_targetILNS1_3genE8ELNS1_11target_archE1030ELNS1_3gpuE2ELNS1_3repE0EEENS1_30default_config_static_selectorELNS0_4arch9wavefront6targetE1EEEvSR_, .Lfunc_end228-_ZN7rocprim17ROCPRIM_400000_NS6detail17trampoline_kernelINS0_14default_configENS1_32segmented_reduce_config_selectorIN3c104HalfEEEZNS1_21segmented_reduce_implIS3_PKS6_PS6_PKlS6_N6hipcub16HIPCUB_304000_NS6detail27convert_result_type_wrapperISA_SB_N2at6native12_GLOBAL__N_19CustomSumEEEEE10hipError_tPvRmT0_T1_jT2_SS_T4_T3_P12ihipStream_tbEUlT_E_NS1_11comp_targetILNS1_3genE8ELNS1_11target_archE1030ELNS1_3gpuE2ELNS1_3repE0EEENS1_30default_config_static_selectorELNS0_4arch9wavefront6targetE1EEEvSR_
                                        ; -- End function
	.set _ZN7rocprim17ROCPRIM_400000_NS6detail17trampoline_kernelINS0_14default_configENS1_32segmented_reduce_config_selectorIN3c104HalfEEEZNS1_21segmented_reduce_implIS3_PKS6_PS6_PKlS6_N6hipcub16HIPCUB_304000_NS6detail27convert_result_type_wrapperISA_SB_N2at6native12_GLOBAL__N_19CustomSumEEEEE10hipError_tPvRmT0_T1_jT2_SS_T4_T3_P12ihipStream_tbEUlT_E_NS1_11comp_targetILNS1_3genE8ELNS1_11target_archE1030ELNS1_3gpuE2ELNS1_3repE0EEENS1_30default_config_static_selectorELNS0_4arch9wavefront6targetE1EEEvSR_.num_vgpr, 0
	.set _ZN7rocprim17ROCPRIM_400000_NS6detail17trampoline_kernelINS0_14default_configENS1_32segmented_reduce_config_selectorIN3c104HalfEEEZNS1_21segmented_reduce_implIS3_PKS6_PS6_PKlS6_N6hipcub16HIPCUB_304000_NS6detail27convert_result_type_wrapperISA_SB_N2at6native12_GLOBAL__N_19CustomSumEEEEE10hipError_tPvRmT0_T1_jT2_SS_T4_T3_P12ihipStream_tbEUlT_E_NS1_11comp_targetILNS1_3genE8ELNS1_11target_archE1030ELNS1_3gpuE2ELNS1_3repE0EEENS1_30default_config_static_selectorELNS0_4arch9wavefront6targetE1EEEvSR_.num_agpr, 0
	.set _ZN7rocprim17ROCPRIM_400000_NS6detail17trampoline_kernelINS0_14default_configENS1_32segmented_reduce_config_selectorIN3c104HalfEEEZNS1_21segmented_reduce_implIS3_PKS6_PS6_PKlS6_N6hipcub16HIPCUB_304000_NS6detail27convert_result_type_wrapperISA_SB_N2at6native12_GLOBAL__N_19CustomSumEEEEE10hipError_tPvRmT0_T1_jT2_SS_T4_T3_P12ihipStream_tbEUlT_E_NS1_11comp_targetILNS1_3genE8ELNS1_11target_archE1030ELNS1_3gpuE2ELNS1_3repE0EEENS1_30default_config_static_selectorELNS0_4arch9wavefront6targetE1EEEvSR_.numbered_sgpr, 0
	.set _ZN7rocprim17ROCPRIM_400000_NS6detail17trampoline_kernelINS0_14default_configENS1_32segmented_reduce_config_selectorIN3c104HalfEEEZNS1_21segmented_reduce_implIS3_PKS6_PS6_PKlS6_N6hipcub16HIPCUB_304000_NS6detail27convert_result_type_wrapperISA_SB_N2at6native12_GLOBAL__N_19CustomSumEEEEE10hipError_tPvRmT0_T1_jT2_SS_T4_T3_P12ihipStream_tbEUlT_E_NS1_11comp_targetILNS1_3genE8ELNS1_11target_archE1030ELNS1_3gpuE2ELNS1_3repE0EEENS1_30default_config_static_selectorELNS0_4arch9wavefront6targetE1EEEvSR_.num_named_barrier, 0
	.set _ZN7rocprim17ROCPRIM_400000_NS6detail17trampoline_kernelINS0_14default_configENS1_32segmented_reduce_config_selectorIN3c104HalfEEEZNS1_21segmented_reduce_implIS3_PKS6_PS6_PKlS6_N6hipcub16HIPCUB_304000_NS6detail27convert_result_type_wrapperISA_SB_N2at6native12_GLOBAL__N_19CustomSumEEEEE10hipError_tPvRmT0_T1_jT2_SS_T4_T3_P12ihipStream_tbEUlT_E_NS1_11comp_targetILNS1_3genE8ELNS1_11target_archE1030ELNS1_3gpuE2ELNS1_3repE0EEENS1_30default_config_static_selectorELNS0_4arch9wavefront6targetE1EEEvSR_.private_seg_size, 0
	.set _ZN7rocprim17ROCPRIM_400000_NS6detail17trampoline_kernelINS0_14default_configENS1_32segmented_reduce_config_selectorIN3c104HalfEEEZNS1_21segmented_reduce_implIS3_PKS6_PS6_PKlS6_N6hipcub16HIPCUB_304000_NS6detail27convert_result_type_wrapperISA_SB_N2at6native12_GLOBAL__N_19CustomSumEEEEE10hipError_tPvRmT0_T1_jT2_SS_T4_T3_P12ihipStream_tbEUlT_E_NS1_11comp_targetILNS1_3genE8ELNS1_11target_archE1030ELNS1_3gpuE2ELNS1_3repE0EEENS1_30default_config_static_selectorELNS0_4arch9wavefront6targetE1EEEvSR_.uses_vcc, 0
	.set _ZN7rocprim17ROCPRIM_400000_NS6detail17trampoline_kernelINS0_14default_configENS1_32segmented_reduce_config_selectorIN3c104HalfEEEZNS1_21segmented_reduce_implIS3_PKS6_PS6_PKlS6_N6hipcub16HIPCUB_304000_NS6detail27convert_result_type_wrapperISA_SB_N2at6native12_GLOBAL__N_19CustomSumEEEEE10hipError_tPvRmT0_T1_jT2_SS_T4_T3_P12ihipStream_tbEUlT_E_NS1_11comp_targetILNS1_3genE8ELNS1_11target_archE1030ELNS1_3gpuE2ELNS1_3repE0EEENS1_30default_config_static_selectorELNS0_4arch9wavefront6targetE1EEEvSR_.uses_flat_scratch, 0
	.set _ZN7rocprim17ROCPRIM_400000_NS6detail17trampoline_kernelINS0_14default_configENS1_32segmented_reduce_config_selectorIN3c104HalfEEEZNS1_21segmented_reduce_implIS3_PKS6_PS6_PKlS6_N6hipcub16HIPCUB_304000_NS6detail27convert_result_type_wrapperISA_SB_N2at6native12_GLOBAL__N_19CustomSumEEEEE10hipError_tPvRmT0_T1_jT2_SS_T4_T3_P12ihipStream_tbEUlT_E_NS1_11comp_targetILNS1_3genE8ELNS1_11target_archE1030ELNS1_3gpuE2ELNS1_3repE0EEENS1_30default_config_static_selectorELNS0_4arch9wavefront6targetE1EEEvSR_.has_dyn_sized_stack, 0
	.set _ZN7rocprim17ROCPRIM_400000_NS6detail17trampoline_kernelINS0_14default_configENS1_32segmented_reduce_config_selectorIN3c104HalfEEEZNS1_21segmented_reduce_implIS3_PKS6_PS6_PKlS6_N6hipcub16HIPCUB_304000_NS6detail27convert_result_type_wrapperISA_SB_N2at6native12_GLOBAL__N_19CustomSumEEEEE10hipError_tPvRmT0_T1_jT2_SS_T4_T3_P12ihipStream_tbEUlT_E_NS1_11comp_targetILNS1_3genE8ELNS1_11target_archE1030ELNS1_3gpuE2ELNS1_3repE0EEENS1_30default_config_static_selectorELNS0_4arch9wavefront6targetE1EEEvSR_.has_recursion, 0
	.set _ZN7rocprim17ROCPRIM_400000_NS6detail17trampoline_kernelINS0_14default_configENS1_32segmented_reduce_config_selectorIN3c104HalfEEEZNS1_21segmented_reduce_implIS3_PKS6_PS6_PKlS6_N6hipcub16HIPCUB_304000_NS6detail27convert_result_type_wrapperISA_SB_N2at6native12_GLOBAL__N_19CustomSumEEEEE10hipError_tPvRmT0_T1_jT2_SS_T4_T3_P12ihipStream_tbEUlT_E_NS1_11comp_targetILNS1_3genE8ELNS1_11target_archE1030ELNS1_3gpuE2ELNS1_3repE0EEENS1_30default_config_static_selectorELNS0_4arch9wavefront6targetE1EEEvSR_.has_indirect_call, 0
	.section	.AMDGPU.csdata,"",@progbits
; Kernel info:
; codeLenInByte = 0
; TotalNumSgprs: 4
; NumVgprs: 0
; ScratchSize: 0
; MemoryBound: 0
; FloatMode: 240
; IeeeMode: 1
; LDSByteSize: 0 bytes/workgroup (compile time only)
; SGPRBlocks: 0
; VGPRBlocks: 0
; NumSGPRsForWavesPerEU: 4
; NumVGPRsForWavesPerEU: 1
; Occupancy: 10
; WaveLimiterHint : 0
; COMPUTE_PGM_RSRC2:SCRATCH_EN: 0
; COMPUTE_PGM_RSRC2:USER_SGPR: 6
; COMPUTE_PGM_RSRC2:TRAP_HANDLER: 0
; COMPUTE_PGM_RSRC2:TGID_X_EN: 1
; COMPUTE_PGM_RSRC2:TGID_Y_EN: 0
; COMPUTE_PGM_RSRC2:TGID_Z_EN: 0
; COMPUTE_PGM_RSRC2:TIDIG_COMP_CNT: 0
	.section	.text._ZN2at6native12_GLOBAL__N_119post_sum_div_kernelIN3c104HalfElEEvPT_PKT0_lbS5_,"axG",@progbits,_ZN2at6native12_GLOBAL__N_119post_sum_div_kernelIN3c104HalfElEEvPT_PKT0_lbS5_,comdat
	.globl	_ZN2at6native12_GLOBAL__N_119post_sum_div_kernelIN3c104HalfElEEvPT_PKT0_lbS5_ ; -- Begin function _ZN2at6native12_GLOBAL__N_119post_sum_div_kernelIN3c104HalfElEEvPT_PKT0_lbS5_
	.p2align	8
	.type	_ZN2at6native12_GLOBAL__N_119post_sum_div_kernelIN3c104HalfElEEvPT_PKT0_lbS5_,@function
_ZN2at6native12_GLOBAL__N_119post_sum_div_kernelIN3c104HalfElEEvPT_PKT0_lbS5_: ; @_ZN2at6native12_GLOBAL__N_119post_sum_div_kernelIN3c104HalfElEEvPT_PKT0_lbS5_
; %bb.0:
	s_load_dword s7, s[4:5], 0x2c
	s_load_dwordx2 s[2:3], s[4:5], 0x10
	s_add_u32 s0, s4, 32
	s_addc_u32 s1, s5, 0
	v_mov_b32_e32 v1, 0
	s_waitcnt lgkmcnt(0)
	s_and_b32 s7, s7, 0xffff
	v_mov_b32_e32 v2, s6
	v_mad_u64_u32 v[2:3], s[8:9], s7, v2, v[0:1]
	v_cmp_gt_i64_e32 vcc, s[2:3], v[2:3]
	s_and_saveexec_b64 s[8:9], vcc
	s_cbranch_execz .LBB229_15
; %bb.1:
	s_load_dword s6, s[4:5], 0x18
	s_load_dword s12, s[0:1], 0x0
	s_load_dwordx4 s[8:11], s[4:5], 0x0
	v_mov_b32_e32 v0, v1
	v_mov_b32_e32 v1, v2
	s_waitcnt lgkmcnt(0)
	s_bitcmp1_b32 s6, 0
	s_mul_i32 s22, s12, s7
	s_cselect_b64 s[0:1], -1, 0
	s_lshr_b32 s23, s6, 16
	s_xor_b64 s[4:5], s[0:1], -1
	s_mov_b32 s24, s22
	s_mov_b64 s[6:7], 0
	v_mov_b32_e32 v8, s11
	v_mov_b32_e32 v9, 0x7e00
                                        ; implicit-def: $sgpr12_sgpr13
                                        ; implicit-def: $sgpr16_sgpr17
                                        ; implicit-def: $sgpr14_sgpr15
.LBB229_2:                              ; =>This Inner Loop Header: Depth=1
	v_ashrrev_i64 v[4:5], 29, v[0:1]
	s_or_b64 s[14:15], s[14:15], exec
	v_add_co_u32_e32 v4, vcc, s10, v4
	v_addc_co_u32_e32 v5, vcc, v8, v5, vcc
	global_load_dwordx2 v[6:7], v[4:5], off
	s_or_b64 s[16:17], s[16:17], exec
	s_waitcnt vmcnt(0)
	v_cmp_lt_i64_e32 vcc, -1, v[6:7]
	s_and_saveexec_b64 s[18:19], vcc
	s_cbranch_execz .LBB229_13
; %bb.3:                                ;   in Loop: Header=BB229_2 Depth=1
	v_ashrrev_i32_e32 v5, 31, v1
	v_mov_b32_e32 v4, v1
	v_lshlrev_b64 v[4:5], 1, v[4:5]
	v_cmp_ne_u64_e32 vcc, 0, v[6:7]
	v_mov_b32_e32 v10, s9
	v_add_co_u32_e64 v4, s[0:1], s8, v4
	v_addc_co_u32_e64 v5, s[0:1], v10, v5, s[0:1]
	s_and_saveexec_b64 s[0:1], vcc
	s_xor_b64 s[0:1], exec, s[0:1]
	s_cbranch_execz .LBB229_7
; %bb.4:                                ;   in Loop: Header=BB229_2 Depth=1
	global_load_ushort v10, v[4:5], off
	s_waitcnt vmcnt(0)
	v_cmp_o_f16_e32 vcc, v10, v10
	s_and_saveexec_b64 s[20:21], vcc
	s_cbranch_execz .LBB229_6
; %bb.5:                                ;   in Loop: Header=BB229_2 Depth=1
	v_ffbh_u32_e32 v11, v7
	v_min_u32_e32 v11, 32, v11
	v_lshlrev_b64 v[6:7], v11, v[6:7]
	v_cvt_f32_f16_e32 v12, v10
	v_min_u32_e32 v6, 1, v6
	v_or_b32_e32 v6, v7, v6
	v_cvt_f32_u32_e32 v6, v6
	v_sub_u32_e32 v7, 32, v11
	v_ldexp_f32 v6, v6, v7
	v_cvt_f16_f32_e32 v6, v6
	v_cvt_f32_f16_e32 v7, v6
	v_rcp_f32_e32 v11, v7
	v_mul_f32_e32 v13, v12, v11
	v_mad_f32 v14, -v7, v13, v12
	v_mac_f32_e32 v13, v14, v11
	v_mad_f32 v7, -v7, v13, v12
	v_mul_f32_e32 v7, v7, v11
	v_and_b32_e32 v7, 0xff800000, v7
	v_add_f32_e32 v7, v7, v13
	v_cvt_f16_f32_e32 v7, v7
	v_div_fixup_f16 v6, v7, v6, v10
	global_store_short v[4:5], v6, off
.LBB229_6:                              ;   in Loop: Header=BB229_2 Depth=1
	s_or_b64 exec, exec, s[20:21]
                                        ; implicit-def: $vgpr4_vgpr5
.LBB229_7:                              ;   in Loop: Header=BB229_2 Depth=1
	s_andn2_saveexec_b64 s[0:1], s[0:1]
	s_cbranch_execz .LBB229_12
; %bb.8:                                ;   in Loop: Header=BB229_2 Depth=1
	s_mov_b64 s[20:21], -1
	s_and_b64 vcc, exec, s[4:5]
	s_cbranch_vccz .LBB229_10
; %bb.9:                                ;   in Loop: Header=BB229_2 Depth=1
	global_store_short v[4:5], v9, off
	s_mov_b64 s[20:21], 0
.LBB229_10:                             ;   in Loop: Header=BB229_2 Depth=1
	s_andn2_b64 vcc, exec, s[20:21]
	s_cbranch_vccnz .LBB229_12
; %bb.11:                               ;   in Loop: Header=BB229_2 Depth=1
	v_mov_b32_e32 v6, s23
	global_store_short v[4:5], v6, off
.LBB229_12:                             ;   in Loop: Header=BB229_2 Depth=1
	s_or_b64 exec, exec, s[0:1]
	v_add_co_u32_e32 v2, vcc, s22, v2
	v_addc_co_u32_e32 v3, vcc, 0, v3, vcc
	v_mov_b32_e32 v4, s24
	v_add_co_u32_e32 v0, vcc, 0, v0
	v_addc_co_u32_e32 v1, vcc, v1, v4, vcc
	v_cmp_le_i64_e32 vcc, s[2:3], v[2:3]
	s_andn2_b64 s[0:1], s[16:17], exec
	s_and_b64 s[16:17], vcc, exec
	s_andn2_b64 s[14:15], s[14:15], exec
	s_or_b64 s[16:17], s[0:1], s[16:17]
.LBB229_13:                             ;   in Loop: Header=BB229_2 Depth=1
	s_or_b64 exec, exec, s[18:19]
	s_and_b64 s[0:1], exec, s[16:17]
	s_or_b64 s[6:7], s[0:1], s[6:7]
	s_andn2_b64 s[0:1], s[12:13], exec
	s_and_b64 s[12:13], s[14:15], exec
	s_or_b64 s[12:13], s[0:1], s[12:13]
	s_andn2_b64 exec, exec, s[6:7]
	s_cbranch_execnz .LBB229_2
; %bb.14:
	s_or_b64 exec, exec, s[6:7]
	s_and_saveexec_b64 s[0:1], s[12:13]
	s_xor_b64 s[0:1], exec, s[0:1]
	s_cbranch_execnz .LBB229_16
.LBB229_15:
	s_endpgm
.LBB229_16:
	s_trap 2
	; divergent unreachable
	s_endpgm
	.section	.rodata,"a",@progbits
	.p2align	6, 0x0
	.amdhsa_kernel _ZN2at6native12_GLOBAL__N_119post_sum_div_kernelIN3c104HalfElEEvPT_PKT0_lbS5_
		.amdhsa_group_segment_fixed_size 0
		.amdhsa_private_segment_fixed_size 0
		.amdhsa_kernarg_size 288
		.amdhsa_user_sgpr_count 6
		.amdhsa_user_sgpr_private_segment_buffer 1
		.amdhsa_user_sgpr_dispatch_ptr 0
		.amdhsa_user_sgpr_queue_ptr 0
		.amdhsa_user_sgpr_kernarg_segment_ptr 1
		.amdhsa_user_sgpr_dispatch_id 0
		.amdhsa_user_sgpr_flat_scratch_init 0
		.amdhsa_user_sgpr_private_segment_size 0
		.amdhsa_uses_dynamic_stack 0
		.amdhsa_system_sgpr_private_segment_wavefront_offset 0
		.amdhsa_system_sgpr_workgroup_id_x 1
		.amdhsa_system_sgpr_workgroup_id_y 0
		.amdhsa_system_sgpr_workgroup_id_z 0
		.amdhsa_system_sgpr_workgroup_info 0
		.amdhsa_system_vgpr_workitem_id 0
		.amdhsa_next_free_vgpr 15
		.amdhsa_next_free_sgpr 25
		.amdhsa_reserve_vcc 1
		.amdhsa_reserve_flat_scratch 0
		.amdhsa_float_round_mode_32 0
		.amdhsa_float_round_mode_16_64 0
		.amdhsa_float_denorm_mode_32 3
		.amdhsa_float_denorm_mode_16_64 3
		.amdhsa_dx10_clamp 1
		.amdhsa_ieee_mode 1
		.amdhsa_fp16_overflow 0
		.amdhsa_exception_fp_ieee_invalid_op 0
		.amdhsa_exception_fp_denorm_src 0
		.amdhsa_exception_fp_ieee_div_zero 0
		.amdhsa_exception_fp_ieee_overflow 0
		.amdhsa_exception_fp_ieee_underflow 0
		.amdhsa_exception_fp_ieee_inexact 0
		.amdhsa_exception_int_div_zero 0
	.end_amdhsa_kernel
	.section	.text._ZN2at6native12_GLOBAL__N_119post_sum_div_kernelIN3c104HalfElEEvPT_PKT0_lbS5_,"axG",@progbits,_ZN2at6native12_GLOBAL__N_119post_sum_div_kernelIN3c104HalfElEEvPT_PKT0_lbS5_,comdat
.Lfunc_end229:
	.size	_ZN2at6native12_GLOBAL__N_119post_sum_div_kernelIN3c104HalfElEEvPT_PKT0_lbS5_, .Lfunc_end229-_ZN2at6native12_GLOBAL__N_119post_sum_div_kernelIN3c104HalfElEEvPT_PKT0_lbS5_
                                        ; -- End function
	.set _ZN2at6native12_GLOBAL__N_119post_sum_div_kernelIN3c104HalfElEEvPT_PKT0_lbS5_.num_vgpr, 15
	.set _ZN2at6native12_GLOBAL__N_119post_sum_div_kernelIN3c104HalfElEEvPT_PKT0_lbS5_.num_agpr, 0
	.set _ZN2at6native12_GLOBAL__N_119post_sum_div_kernelIN3c104HalfElEEvPT_PKT0_lbS5_.numbered_sgpr, 25
	.set _ZN2at6native12_GLOBAL__N_119post_sum_div_kernelIN3c104HalfElEEvPT_PKT0_lbS5_.num_named_barrier, 0
	.set _ZN2at6native12_GLOBAL__N_119post_sum_div_kernelIN3c104HalfElEEvPT_PKT0_lbS5_.private_seg_size, 0
	.set _ZN2at6native12_GLOBAL__N_119post_sum_div_kernelIN3c104HalfElEEvPT_PKT0_lbS5_.uses_vcc, 1
	.set _ZN2at6native12_GLOBAL__N_119post_sum_div_kernelIN3c104HalfElEEvPT_PKT0_lbS5_.uses_flat_scratch, 0
	.set _ZN2at6native12_GLOBAL__N_119post_sum_div_kernelIN3c104HalfElEEvPT_PKT0_lbS5_.has_dyn_sized_stack, 0
	.set _ZN2at6native12_GLOBAL__N_119post_sum_div_kernelIN3c104HalfElEEvPT_PKT0_lbS5_.has_recursion, 0
	.set _ZN2at6native12_GLOBAL__N_119post_sum_div_kernelIN3c104HalfElEEvPT_PKT0_lbS5_.has_indirect_call, 0
	.section	.AMDGPU.csdata,"",@progbits
; Kernel info:
; codeLenInByte = 540
; TotalNumSgprs: 29
; NumVgprs: 15
; ScratchSize: 0
; MemoryBound: 0
; FloatMode: 240
; IeeeMode: 1
; LDSByteSize: 0 bytes/workgroup (compile time only)
; SGPRBlocks: 3
; VGPRBlocks: 3
; NumSGPRsForWavesPerEU: 29
; NumVGPRsForWavesPerEU: 15
; Occupancy: 10
; WaveLimiterHint : 0
; COMPUTE_PGM_RSRC2:SCRATCH_EN: 0
; COMPUTE_PGM_RSRC2:USER_SGPR: 6
; COMPUTE_PGM_RSRC2:TRAP_HANDLER: 0
; COMPUTE_PGM_RSRC2:TGID_X_EN: 1
; COMPUTE_PGM_RSRC2:TGID_Y_EN: 0
; COMPUTE_PGM_RSRC2:TGID_Z_EN: 0
; COMPUTE_PGM_RSRC2:TIDIG_COMP_CNT: 0
	.section	.text._ZN7rocprim17ROCPRIM_400000_NS6detail17trampoline_kernelINS0_14default_configENS1_32segmented_reduce_config_selectorIN3c104HalfEEEZNS1_21segmented_reduce_implIS3_PKS6_PS6_PKlS6_N6hipcub16HIPCUB_304000_NS6detail27convert_result_type_wrapperISA_SB_N2at6native12_GLOBAL__N_19CustomMinEEEEE10hipError_tPvRmT0_T1_jT2_SS_T4_T3_P12ihipStream_tbEUlT_E_NS1_11comp_targetILNS1_3genE0ELNS1_11target_archE4294967295ELNS1_3gpuE0ELNS1_3repE0EEENS1_30default_config_static_selectorELNS0_4arch9wavefront6targetE1EEEvSR_,"axG",@progbits,_ZN7rocprim17ROCPRIM_400000_NS6detail17trampoline_kernelINS0_14default_configENS1_32segmented_reduce_config_selectorIN3c104HalfEEEZNS1_21segmented_reduce_implIS3_PKS6_PS6_PKlS6_N6hipcub16HIPCUB_304000_NS6detail27convert_result_type_wrapperISA_SB_N2at6native12_GLOBAL__N_19CustomMinEEEEE10hipError_tPvRmT0_T1_jT2_SS_T4_T3_P12ihipStream_tbEUlT_E_NS1_11comp_targetILNS1_3genE0ELNS1_11target_archE4294967295ELNS1_3gpuE0ELNS1_3repE0EEENS1_30default_config_static_selectorELNS0_4arch9wavefront6targetE1EEEvSR_,comdat
	.globl	_ZN7rocprim17ROCPRIM_400000_NS6detail17trampoline_kernelINS0_14default_configENS1_32segmented_reduce_config_selectorIN3c104HalfEEEZNS1_21segmented_reduce_implIS3_PKS6_PS6_PKlS6_N6hipcub16HIPCUB_304000_NS6detail27convert_result_type_wrapperISA_SB_N2at6native12_GLOBAL__N_19CustomMinEEEEE10hipError_tPvRmT0_T1_jT2_SS_T4_T3_P12ihipStream_tbEUlT_E_NS1_11comp_targetILNS1_3genE0ELNS1_11target_archE4294967295ELNS1_3gpuE0ELNS1_3repE0EEENS1_30default_config_static_selectorELNS0_4arch9wavefront6targetE1EEEvSR_ ; -- Begin function _ZN7rocprim17ROCPRIM_400000_NS6detail17trampoline_kernelINS0_14default_configENS1_32segmented_reduce_config_selectorIN3c104HalfEEEZNS1_21segmented_reduce_implIS3_PKS6_PS6_PKlS6_N6hipcub16HIPCUB_304000_NS6detail27convert_result_type_wrapperISA_SB_N2at6native12_GLOBAL__N_19CustomMinEEEEE10hipError_tPvRmT0_T1_jT2_SS_T4_T3_P12ihipStream_tbEUlT_E_NS1_11comp_targetILNS1_3genE0ELNS1_11target_archE4294967295ELNS1_3gpuE0ELNS1_3repE0EEENS1_30default_config_static_selectorELNS0_4arch9wavefront6targetE1EEEvSR_
	.p2align	8
	.type	_ZN7rocprim17ROCPRIM_400000_NS6detail17trampoline_kernelINS0_14default_configENS1_32segmented_reduce_config_selectorIN3c104HalfEEEZNS1_21segmented_reduce_implIS3_PKS6_PS6_PKlS6_N6hipcub16HIPCUB_304000_NS6detail27convert_result_type_wrapperISA_SB_N2at6native12_GLOBAL__N_19CustomMinEEEEE10hipError_tPvRmT0_T1_jT2_SS_T4_T3_P12ihipStream_tbEUlT_E_NS1_11comp_targetILNS1_3genE0ELNS1_11target_archE4294967295ELNS1_3gpuE0ELNS1_3repE0EEENS1_30default_config_static_selectorELNS0_4arch9wavefront6targetE1EEEvSR_,@function
_ZN7rocprim17ROCPRIM_400000_NS6detail17trampoline_kernelINS0_14default_configENS1_32segmented_reduce_config_selectorIN3c104HalfEEEZNS1_21segmented_reduce_implIS3_PKS6_PS6_PKlS6_N6hipcub16HIPCUB_304000_NS6detail27convert_result_type_wrapperISA_SB_N2at6native12_GLOBAL__N_19CustomMinEEEEE10hipError_tPvRmT0_T1_jT2_SS_T4_T3_P12ihipStream_tbEUlT_E_NS1_11comp_targetILNS1_3genE0ELNS1_11target_archE4294967295ELNS1_3gpuE0ELNS1_3repE0EEENS1_30default_config_static_selectorELNS0_4arch9wavefront6targetE1EEEvSR_: ; @_ZN7rocprim17ROCPRIM_400000_NS6detail17trampoline_kernelINS0_14default_configENS1_32segmented_reduce_config_selectorIN3c104HalfEEEZNS1_21segmented_reduce_implIS3_PKS6_PS6_PKlS6_N6hipcub16HIPCUB_304000_NS6detail27convert_result_type_wrapperISA_SB_N2at6native12_GLOBAL__N_19CustomMinEEEEE10hipError_tPvRmT0_T1_jT2_SS_T4_T3_P12ihipStream_tbEUlT_E_NS1_11comp_targetILNS1_3genE0ELNS1_11target_archE4294967295ELNS1_3gpuE0ELNS1_3repE0EEENS1_30default_config_static_selectorELNS0_4arch9wavefront6targetE1EEEvSR_
; %bb.0:
	.section	.rodata,"a",@progbits
	.p2align	6, 0x0
	.amdhsa_kernel _ZN7rocprim17ROCPRIM_400000_NS6detail17trampoline_kernelINS0_14default_configENS1_32segmented_reduce_config_selectorIN3c104HalfEEEZNS1_21segmented_reduce_implIS3_PKS6_PS6_PKlS6_N6hipcub16HIPCUB_304000_NS6detail27convert_result_type_wrapperISA_SB_N2at6native12_GLOBAL__N_19CustomMinEEEEE10hipError_tPvRmT0_T1_jT2_SS_T4_T3_P12ihipStream_tbEUlT_E_NS1_11comp_targetILNS1_3genE0ELNS1_11target_archE4294967295ELNS1_3gpuE0ELNS1_3repE0EEENS1_30default_config_static_selectorELNS0_4arch9wavefront6targetE1EEEvSR_
		.amdhsa_group_segment_fixed_size 0
		.amdhsa_private_segment_fixed_size 0
		.amdhsa_kernarg_size 48
		.amdhsa_user_sgpr_count 6
		.amdhsa_user_sgpr_private_segment_buffer 1
		.amdhsa_user_sgpr_dispatch_ptr 0
		.amdhsa_user_sgpr_queue_ptr 0
		.amdhsa_user_sgpr_kernarg_segment_ptr 1
		.amdhsa_user_sgpr_dispatch_id 0
		.amdhsa_user_sgpr_flat_scratch_init 0
		.amdhsa_user_sgpr_private_segment_size 0
		.amdhsa_uses_dynamic_stack 0
		.amdhsa_system_sgpr_private_segment_wavefront_offset 0
		.amdhsa_system_sgpr_workgroup_id_x 1
		.amdhsa_system_sgpr_workgroup_id_y 0
		.amdhsa_system_sgpr_workgroup_id_z 0
		.amdhsa_system_sgpr_workgroup_info 0
		.amdhsa_system_vgpr_workitem_id 0
		.amdhsa_next_free_vgpr 1
		.amdhsa_next_free_sgpr 0
		.amdhsa_reserve_vcc 0
		.amdhsa_reserve_flat_scratch 0
		.amdhsa_float_round_mode_32 0
		.amdhsa_float_round_mode_16_64 0
		.amdhsa_float_denorm_mode_32 3
		.amdhsa_float_denorm_mode_16_64 3
		.amdhsa_dx10_clamp 1
		.amdhsa_ieee_mode 1
		.amdhsa_fp16_overflow 0
		.amdhsa_exception_fp_ieee_invalid_op 0
		.amdhsa_exception_fp_denorm_src 0
		.amdhsa_exception_fp_ieee_div_zero 0
		.amdhsa_exception_fp_ieee_overflow 0
		.amdhsa_exception_fp_ieee_underflow 0
		.amdhsa_exception_fp_ieee_inexact 0
		.amdhsa_exception_int_div_zero 0
	.end_amdhsa_kernel
	.section	.text._ZN7rocprim17ROCPRIM_400000_NS6detail17trampoline_kernelINS0_14default_configENS1_32segmented_reduce_config_selectorIN3c104HalfEEEZNS1_21segmented_reduce_implIS3_PKS6_PS6_PKlS6_N6hipcub16HIPCUB_304000_NS6detail27convert_result_type_wrapperISA_SB_N2at6native12_GLOBAL__N_19CustomMinEEEEE10hipError_tPvRmT0_T1_jT2_SS_T4_T3_P12ihipStream_tbEUlT_E_NS1_11comp_targetILNS1_3genE0ELNS1_11target_archE4294967295ELNS1_3gpuE0ELNS1_3repE0EEENS1_30default_config_static_selectorELNS0_4arch9wavefront6targetE1EEEvSR_,"axG",@progbits,_ZN7rocprim17ROCPRIM_400000_NS6detail17trampoline_kernelINS0_14default_configENS1_32segmented_reduce_config_selectorIN3c104HalfEEEZNS1_21segmented_reduce_implIS3_PKS6_PS6_PKlS6_N6hipcub16HIPCUB_304000_NS6detail27convert_result_type_wrapperISA_SB_N2at6native12_GLOBAL__N_19CustomMinEEEEE10hipError_tPvRmT0_T1_jT2_SS_T4_T3_P12ihipStream_tbEUlT_E_NS1_11comp_targetILNS1_3genE0ELNS1_11target_archE4294967295ELNS1_3gpuE0ELNS1_3repE0EEENS1_30default_config_static_selectorELNS0_4arch9wavefront6targetE1EEEvSR_,comdat
.Lfunc_end230:
	.size	_ZN7rocprim17ROCPRIM_400000_NS6detail17trampoline_kernelINS0_14default_configENS1_32segmented_reduce_config_selectorIN3c104HalfEEEZNS1_21segmented_reduce_implIS3_PKS6_PS6_PKlS6_N6hipcub16HIPCUB_304000_NS6detail27convert_result_type_wrapperISA_SB_N2at6native12_GLOBAL__N_19CustomMinEEEEE10hipError_tPvRmT0_T1_jT2_SS_T4_T3_P12ihipStream_tbEUlT_E_NS1_11comp_targetILNS1_3genE0ELNS1_11target_archE4294967295ELNS1_3gpuE0ELNS1_3repE0EEENS1_30default_config_static_selectorELNS0_4arch9wavefront6targetE1EEEvSR_, .Lfunc_end230-_ZN7rocprim17ROCPRIM_400000_NS6detail17trampoline_kernelINS0_14default_configENS1_32segmented_reduce_config_selectorIN3c104HalfEEEZNS1_21segmented_reduce_implIS3_PKS6_PS6_PKlS6_N6hipcub16HIPCUB_304000_NS6detail27convert_result_type_wrapperISA_SB_N2at6native12_GLOBAL__N_19CustomMinEEEEE10hipError_tPvRmT0_T1_jT2_SS_T4_T3_P12ihipStream_tbEUlT_E_NS1_11comp_targetILNS1_3genE0ELNS1_11target_archE4294967295ELNS1_3gpuE0ELNS1_3repE0EEENS1_30default_config_static_selectorELNS0_4arch9wavefront6targetE1EEEvSR_
                                        ; -- End function
	.set _ZN7rocprim17ROCPRIM_400000_NS6detail17trampoline_kernelINS0_14default_configENS1_32segmented_reduce_config_selectorIN3c104HalfEEEZNS1_21segmented_reduce_implIS3_PKS6_PS6_PKlS6_N6hipcub16HIPCUB_304000_NS6detail27convert_result_type_wrapperISA_SB_N2at6native12_GLOBAL__N_19CustomMinEEEEE10hipError_tPvRmT0_T1_jT2_SS_T4_T3_P12ihipStream_tbEUlT_E_NS1_11comp_targetILNS1_3genE0ELNS1_11target_archE4294967295ELNS1_3gpuE0ELNS1_3repE0EEENS1_30default_config_static_selectorELNS0_4arch9wavefront6targetE1EEEvSR_.num_vgpr, 0
	.set _ZN7rocprim17ROCPRIM_400000_NS6detail17trampoline_kernelINS0_14default_configENS1_32segmented_reduce_config_selectorIN3c104HalfEEEZNS1_21segmented_reduce_implIS3_PKS6_PS6_PKlS6_N6hipcub16HIPCUB_304000_NS6detail27convert_result_type_wrapperISA_SB_N2at6native12_GLOBAL__N_19CustomMinEEEEE10hipError_tPvRmT0_T1_jT2_SS_T4_T3_P12ihipStream_tbEUlT_E_NS1_11comp_targetILNS1_3genE0ELNS1_11target_archE4294967295ELNS1_3gpuE0ELNS1_3repE0EEENS1_30default_config_static_selectorELNS0_4arch9wavefront6targetE1EEEvSR_.num_agpr, 0
	.set _ZN7rocprim17ROCPRIM_400000_NS6detail17trampoline_kernelINS0_14default_configENS1_32segmented_reduce_config_selectorIN3c104HalfEEEZNS1_21segmented_reduce_implIS3_PKS6_PS6_PKlS6_N6hipcub16HIPCUB_304000_NS6detail27convert_result_type_wrapperISA_SB_N2at6native12_GLOBAL__N_19CustomMinEEEEE10hipError_tPvRmT0_T1_jT2_SS_T4_T3_P12ihipStream_tbEUlT_E_NS1_11comp_targetILNS1_3genE0ELNS1_11target_archE4294967295ELNS1_3gpuE0ELNS1_3repE0EEENS1_30default_config_static_selectorELNS0_4arch9wavefront6targetE1EEEvSR_.numbered_sgpr, 0
	.set _ZN7rocprim17ROCPRIM_400000_NS6detail17trampoline_kernelINS0_14default_configENS1_32segmented_reduce_config_selectorIN3c104HalfEEEZNS1_21segmented_reduce_implIS3_PKS6_PS6_PKlS6_N6hipcub16HIPCUB_304000_NS6detail27convert_result_type_wrapperISA_SB_N2at6native12_GLOBAL__N_19CustomMinEEEEE10hipError_tPvRmT0_T1_jT2_SS_T4_T3_P12ihipStream_tbEUlT_E_NS1_11comp_targetILNS1_3genE0ELNS1_11target_archE4294967295ELNS1_3gpuE0ELNS1_3repE0EEENS1_30default_config_static_selectorELNS0_4arch9wavefront6targetE1EEEvSR_.num_named_barrier, 0
	.set _ZN7rocprim17ROCPRIM_400000_NS6detail17trampoline_kernelINS0_14default_configENS1_32segmented_reduce_config_selectorIN3c104HalfEEEZNS1_21segmented_reduce_implIS3_PKS6_PS6_PKlS6_N6hipcub16HIPCUB_304000_NS6detail27convert_result_type_wrapperISA_SB_N2at6native12_GLOBAL__N_19CustomMinEEEEE10hipError_tPvRmT0_T1_jT2_SS_T4_T3_P12ihipStream_tbEUlT_E_NS1_11comp_targetILNS1_3genE0ELNS1_11target_archE4294967295ELNS1_3gpuE0ELNS1_3repE0EEENS1_30default_config_static_selectorELNS0_4arch9wavefront6targetE1EEEvSR_.private_seg_size, 0
	.set _ZN7rocprim17ROCPRIM_400000_NS6detail17trampoline_kernelINS0_14default_configENS1_32segmented_reduce_config_selectorIN3c104HalfEEEZNS1_21segmented_reduce_implIS3_PKS6_PS6_PKlS6_N6hipcub16HIPCUB_304000_NS6detail27convert_result_type_wrapperISA_SB_N2at6native12_GLOBAL__N_19CustomMinEEEEE10hipError_tPvRmT0_T1_jT2_SS_T4_T3_P12ihipStream_tbEUlT_E_NS1_11comp_targetILNS1_3genE0ELNS1_11target_archE4294967295ELNS1_3gpuE0ELNS1_3repE0EEENS1_30default_config_static_selectorELNS0_4arch9wavefront6targetE1EEEvSR_.uses_vcc, 0
	.set _ZN7rocprim17ROCPRIM_400000_NS6detail17trampoline_kernelINS0_14default_configENS1_32segmented_reduce_config_selectorIN3c104HalfEEEZNS1_21segmented_reduce_implIS3_PKS6_PS6_PKlS6_N6hipcub16HIPCUB_304000_NS6detail27convert_result_type_wrapperISA_SB_N2at6native12_GLOBAL__N_19CustomMinEEEEE10hipError_tPvRmT0_T1_jT2_SS_T4_T3_P12ihipStream_tbEUlT_E_NS1_11comp_targetILNS1_3genE0ELNS1_11target_archE4294967295ELNS1_3gpuE0ELNS1_3repE0EEENS1_30default_config_static_selectorELNS0_4arch9wavefront6targetE1EEEvSR_.uses_flat_scratch, 0
	.set _ZN7rocprim17ROCPRIM_400000_NS6detail17trampoline_kernelINS0_14default_configENS1_32segmented_reduce_config_selectorIN3c104HalfEEEZNS1_21segmented_reduce_implIS3_PKS6_PS6_PKlS6_N6hipcub16HIPCUB_304000_NS6detail27convert_result_type_wrapperISA_SB_N2at6native12_GLOBAL__N_19CustomMinEEEEE10hipError_tPvRmT0_T1_jT2_SS_T4_T3_P12ihipStream_tbEUlT_E_NS1_11comp_targetILNS1_3genE0ELNS1_11target_archE4294967295ELNS1_3gpuE0ELNS1_3repE0EEENS1_30default_config_static_selectorELNS0_4arch9wavefront6targetE1EEEvSR_.has_dyn_sized_stack, 0
	.set _ZN7rocprim17ROCPRIM_400000_NS6detail17trampoline_kernelINS0_14default_configENS1_32segmented_reduce_config_selectorIN3c104HalfEEEZNS1_21segmented_reduce_implIS3_PKS6_PS6_PKlS6_N6hipcub16HIPCUB_304000_NS6detail27convert_result_type_wrapperISA_SB_N2at6native12_GLOBAL__N_19CustomMinEEEEE10hipError_tPvRmT0_T1_jT2_SS_T4_T3_P12ihipStream_tbEUlT_E_NS1_11comp_targetILNS1_3genE0ELNS1_11target_archE4294967295ELNS1_3gpuE0ELNS1_3repE0EEENS1_30default_config_static_selectorELNS0_4arch9wavefront6targetE1EEEvSR_.has_recursion, 0
	.set _ZN7rocprim17ROCPRIM_400000_NS6detail17trampoline_kernelINS0_14default_configENS1_32segmented_reduce_config_selectorIN3c104HalfEEEZNS1_21segmented_reduce_implIS3_PKS6_PS6_PKlS6_N6hipcub16HIPCUB_304000_NS6detail27convert_result_type_wrapperISA_SB_N2at6native12_GLOBAL__N_19CustomMinEEEEE10hipError_tPvRmT0_T1_jT2_SS_T4_T3_P12ihipStream_tbEUlT_E_NS1_11comp_targetILNS1_3genE0ELNS1_11target_archE4294967295ELNS1_3gpuE0ELNS1_3repE0EEENS1_30default_config_static_selectorELNS0_4arch9wavefront6targetE1EEEvSR_.has_indirect_call, 0
	.section	.AMDGPU.csdata,"",@progbits
; Kernel info:
; codeLenInByte = 0
; TotalNumSgprs: 4
; NumVgprs: 0
; ScratchSize: 0
; MemoryBound: 0
; FloatMode: 240
; IeeeMode: 1
; LDSByteSize: 0 bytes/workgroup (compile time only)
; SGPRBlocks: 0
; VGPRBlocks: 0
; NumSGPRsForWavesPerEU: 4
; NumVGPRsForWavesPerEU: 1
; Occupancy: 10
; WaveLimiterHint : 0
; COMPUTE_PGM_RSRC2:SCRATCH_EN: 0
; COMPUTE_PGM_RSRC2:USER_SGPR: 6
; COMPUTE_PGM_RSRC2:TRAP_HANDLER: 0
; COMPUTE_PGM_RSRC2:TGID_X_EN: 1
; COMPUTE_PGM_RSRC2:TGID_Y_EN: 0
; COMPUTE_PGM_RSRC2:TGID_Z_EN: 0
; COMPUTE_PGM_RSRC2:TIDIG_COMP_CNT: 0
	.section	.text._ZN7rocprim17ROCPRIM_400000_NS6detail17trampoline_kernelINS0_14default_configENS1_32segmented_reduce_config_selectorIN3c104HalfEEEZNS1_21segmented_reduce_implIS3_PKS6_PS6_PKlS6_N6hipcub16HIPCUB_304000_NS6detail27convert_result_type_wrapperISA_SB_N2at6native12_GLOBAL__N_19CustomMinEEEEE10hipError_tPvRmT0_T1_jT2_SS_T4_T3_P12ihipStream_tbEUlT_E_NS1_11comp_targetILNS1_3genE5ELNS1_11target_archE942ELNS1_3gpuE9ELNS1_3repE0EEENS1_30default_config_static_selectorELNS0_4arch9wavefront6targetE1EEEvSR_,"axG",@progbits,_ZN7rocprim17ROCPRIM_400000_NS6detail17trampoline_kernelINS0_14default_configENS1_32segmented_reduce_config_selectorIN3c104HalfEEEZNS1_21segmented_reduce_implIS3_PKS6_PS6_PKlS6_N6hipcub16HIPCUB_304000_NS6detail27convert_result_type_wrapperISA_SB_N2at6native12_GLOBAL__N_19CustomMinEEEEE10hipError_tPvRmT0_T1_jT2_SS_T4_T3_P12ihipStream_tbEUlT_E_NS1_11comp_targetILNS1_3genE5ELNS1_11target_archE942ELNS1_3gpuE9ELNS1_3repE0EEENS1_30default_config_static_selectorELNS0_4arch9wavefront6targetE1EEEvSR_,comdat
	.globl	_ZN7rocprim17ROCPRIM_400000_NS6detail17trampoline_kernelINS0_14default_configENS1_32segmented_reduce_config_selectorIN3c104HalfEEEZNS1_21segmented_reduce_implIS3_PKS6_PS6_PKlS6_N6hipcub16HIPCUB_304000_NS6detail27convert_result_type_wrapperISA_SB_N2at6native12_GLOBAL__N_19CustomMinEEEEE10hipError_tPvRmT0_T1_jT2_SS_T4_T3_P12ihipStream_tbEUlT_E_NS1_11comp_targetILNS1_3genE5ELNS1_11target_archE942ELNS1_3gpuE9ELNS1_3repE0EEENS1_30default_config_static_selectorELNS0_4arch9wavefront6targetE1EEEvSR_ ; -- Begin function _ZN7rocprim17ROCPRIM_400000_NS6detail17trampoline_kernelINS0_14default_configENS1_32segmented_reduce_config_selectorIN3c104HalfEEEZNS1_21segmented_reduce_implIS3_PKS6_PS6_PKlS6_N6hipcub16HIPCUB_304000_NS6detail27convert_result_type_wrapperISA_SB_N2at6native12_GLOBAL__N_19CustomMinEEEEE10hipError_tPvRmT0_T1_jT2_SS_T4_T3_P12ihipStream_tbEUlT_E_NS1_11comp_targetILNS1_3genE5ELNS1_11target_archE942ELNS1_3gpuE9ELNS1_3repE0EEENS1_30default_config_static_selectorELNS0_4arch9wavefront6targetE1EEEvSR_
	.p2align	8
	.type	_ZN7rocprim17ROCPRIM_400000_NS6detail17trampoline_kernelINS0_14default_configENS1_32segmented_reduce_config_selectorIN3c104HalfEEEZNS1_21segmented_reduce_implIS3_PKS6_PS6_PKlS6_N6hipcub16HIPCUB_304000_NS6detail27convert_result_type_wrapperISA_SB_N2at6native12_GLOBAL__N_19CustomMinEEEEE10hipError_tPvRmT0_T1_jT2_SS_T4_T3_P12ihipStream_tbEUlT_E_NS1_11comp_targetILNS1_3genE5ELNS1_11target_archE942ELNS1_3gpuE9ELNS1_3repE0EEENS1_30default_config_static_selectorELNS0_4arch9wavefront6targetE1EEEvSR_,@function
_ZN7rocprim17ROCPRIM_400000_NS6detail17trampoline_kernelINS0_14default_configENS1_32segmented_reduce_config_selectorIN3c104HalfEEEZNS1_21segmented_reduce_implIS3_PKS6_PS6_PKlS6_N6hipcub16HIPCUB_304000_NS6detail27convert_result_type_wrapperISA_SB_N2at6native12_GLOBAL__N_19CustomMinEEEEE10hipError_tPvRmT0_T1_jT2_SS_T4_T3_P12ihipStream_tbEUlT_E_NS1_11comp_targetILNS1_3genE5ELNS1_11target_archE942ELNS1_3gpuE9ELNS1_3repE0EEENS1_30default_config_static_selectorELNS0_4arch9wavefront6targetE1EEEvSR_: ; @_ZN7rocprim17ROCPRIM_400000_NS6detail17trampoline_kernelINS0_14default_configENS1_32segmented_reduce_config_selectorIN3c104HalfEEEZNS1_21segmented_reduce_implIS3_PKS6_PS6_PKlS6_N6hipcub16HIPCUB_304000_NS6detail27convert_result_type_wrapperISA_SB_N2at6native12_GLOBAL__N_19CustomMinEEEEE10hipError_tPvRmT0_T1_jT2_SS_T4_T3_P12ihipStream_tbEUlT_E_NS1_11comp_targetILNS1_3genE5ELNS1_11target_archE942ELNS1_3gpuE9ELNS1_3repE0EEENS1_30default_config_static_selectorELNS0_4arch9wavefront6targetE1EEEvSR_
; %bb.0:
	.section	.rodata,"a",@progbits
	.p2align	6, 0x0
	.amdhsa_kernel _ZN7rocprim17ROCPRIM_400000_NS6detail17trampoline_kernelINS0_14default_configENS1_32segmented_reduce_config_selectorIN3c104HalfEEEZNS1_21segmented_reduce_implIS3_PKS6_PS6_PKlS6_N6hipcub16HIPCUB_304000_NS6detail27convert_result_type_wrapperISA_SB_N2at6native12_GLOBAL__N_19CustomMinEEEEE10hipError_tPvRmT0_T1_jT2_SS_T4_T3_P12ihipStream_tbEUlT_E_NS1_11comp_targetILNS1_3genE5ELNS1_11target_archE942ELNS1_3gpuE9ELNS1_3repE0EEENS1_30default_config_static_selectorELNS0_4arch9wavefront6targetE1EEEvSR_
		.amdhsa_group_segment_fixed_size 0
		.amdhsa_private_segment_fixed_size 0
		.amdhsa_kernarg_size 48
		.amdhsa_user_sgpr_count 6
		.amdhsa_user_sgpr_private_segment_buffer 1
		.amdhsa_user_sgpr_dispatch_ptr 0
		.amdhsa_user_sgpr_queue_ptr 0
		.amdhsa_user_sgpr_kernarg_segment_ptr 1
		.amdhsa_user_sgpr_dispatch_id 0
		.amdhsa_user_sgpr_flat_scratch_init 0
		.amdhsa_user_sgpr_private_segment_size 0
		.amdhsa_uses_dynamic_stack 0
		.amdhsa_system_sgpr_private_segment_wavefront_offset 0
		.amdhsa_system_sgpr_workgroup_id_x 1
		.amdhsa_system_sgpr_workgroup_id_y 0
		.amdhsa_system_sgpr_workgroup_id_z 0
		.amdhsa_system_sgpr_workgroup_info 0
		.amdhsa_system_vgpr_workitem_id 0
		.amdhsa_next_free_vgpr 1
		.amdhsa_next_free_sgpr 0
		.amdhsa_reserve_vcc 0
		.amdhsa_reserve_flat_scratch 0
		.amdhsa_float_round_mode_32 0
		.amdhsa_float_round_mode_16_64 0
		.amdhsa_float_denorm_mode_32 3
		.amdhsa_float_denorm_mode_16_64 3
		.amdhsa_dx10_clamp 1
		.amdhsa_ieee_mode 1
		.amdhsa_fp16_overflow 0
		.amdhsa_exception_fp_ieee_invalid_op 0
		.amdhsa_exception_fp_denorm_src 0
		.amdhsa_exception_fp_ieee_div_zero 0
		.amdhsa_exception_fp_ieee_overflow 0
		.amdhsa_exception_fp_ieee_underflow 0
		.amdhsa_exception_fp_ieee_inexact 0
		.amdhsa_exception_int_div_zero 0
	.end_amdhsa_kernel
	.section	.text._ZN7rocprim17ROCPRIM_400000_NS6detail17trampoline_kernelINS0_14default_configENS1_32segmented_reduce_config_selectorIN3c104HalfEEEZNS1_21segmented_reduce_implIS3_PKS6_PS6_PKlS6_N6hipcub16HIPCUB_304000_NS6detail27convert_result_type_wrapperISA_SB_N2at6native12_GLOBAL__N_19CustomMinEEEEE10hipError_tPvRmT0_T1_jT2_SS_T4_T3_P12ihipStream_tbEUlT_E_NS1_11comp_targetILNS1_3genE5ELNS1_11target_archE942ELNS1_3gpuE9ELNS1_3repE0EEENS1_30default_config_static_selectorELNS0_4arch9wavefront6targetE1EEEvSR_,"axG",@progbits,_ZN7rocprim17ROCPRIM_400000_NS6detail17trampoline_kernelINS0_14default_configENS1_32segmented_reduce_config_selectorIN3c104HalfEEEZNS1_21segmented_reduce_implIS3_PKS6_PS6_PKlS6_N6hipcub16HIPCUB_304000_NS6detail27convert_result_type_wrapperISA_SB_N2at6native12_GLOBAL__N_19CustomMinEEEEE10hipError_tPvRmT0_T1_jT2_SS_T4_T3_P12ihipStream_tbEUlT_E_NS1_11comp_targetILNS1_3genE5ELNS1_11target_archE942ELNS1_3gpuE9ELNS1_3repE0EEENS1_30default_config_static_selectorELNS0_4arch9wavefront6targetE1EEEvSR_,comdat
.Lfunc_end231:
	.size	_ZN7rocprim17ROCPRIM_400000_NS6detail17trampoline_kernelINS0_14default_configENS1_32segmented_reduce_config_selectorIN3c104HalfEEEZNS1_21segmented_reduce_implIS3_PKS6_PS6_PKlS6_N6hipcub16HIPCUB_304000_NS6detail27convert_result_type_wrapperISA_SB_N2at6native12_GLOBAL__N_19CustomMinEEEEE10hipError_tPvRmT0_T1_jT2_SS_T4_T3_P12ihipStream_tbEUlT_E_NS1_11comp_targetILNS1_3genE5ELNS1_11target_archE942ELNS1_3gpuE9ELNS1_3repE0EEENS1_30default_config_static_selectorELNS0_4arch9wavefront6targetE1EEEvSR_, .Lfunc_end231-_ZN7rocprim17ROCPRIM_400000_NS6detail17trampoline_kernelINS0_14default_configENS1_32segmented_reduce_config_selectorIN3c104HalfEEEZNS1_21segmented_reduce_implIS3_PKS6_PS6_PKlS6_N6hipcub16HIPCUB_304000_NS6detail27convert_result_type_wrapperISA_SB_N2at6native12_GLOBAL__N_19CustomMinEEEEE10hipError_tPvRmT0_T1_jT2_SS_T4_T3_P12ihipStream_tbEUlT_E_NS1_11comp_targetILNS1_3genE5ELNS1_11target_archE942ELNS1_3gpuE9ELNS1_3repE0EEENS1_30default_config_static_selectorELNS0_4arch9wavefront6targetE1EEEvSR_
                                        ; -- End function
	.set _ZN7rocprim17ROCPRIM_400000_NS6detail17trampoline_kernelINS0_14default_configENS1_32segmented_reduce_config_selectorIN3c104HalfEEEZNS1_21segmented_reduce_implIS3_PKS6_PS6_PKlS6_N6hipcub16HIPCUB_304000_NS6detail27convert_result_type_wrapperISA_SB_N2at6native12_GLOBAL__N_19CustomMinEEEEE10hipError_tPvRmT0_T1_jT2_SS_T4_T3_P12ihipStream_tbEUlT_E_NS1_11comp_targetILNS1_3genE5ELNS1_11target_archE942ELNS1_3gpuE9ELNS1_3repE0EEENS1_30default_config_static_selectorELNS0_4arch9wavefront6targetE1EEEvSR_.num_vgpr, 0
	.set _ZN7rocprim17ROCPRIM_400000_NS6detail17trampoline_kernelINS0_14default_configENS1_32segmented_reduce_config_selectorIN3c104HalfEEEZNS1_21segmented_reduce_implIS3_PKS6_PS6_PKlS6_N6hipcub16HIPCUB_304000_NS6detail27convert_result_type_wrapperISA_SB_N2at6native12_GLOBAL__N_19CustomMinEEEEE10hipError_tPvRmT0_T1_jT2_SS_T4_T3_P12ihipStream_tbEUlT_E_NS1_11comp_targetILNS1_3genE5ELNS1_11target_archE942ELNS1_3gpuE9ELNS1_3repE0EEENS1_30default_config_static_selectorELNS0_4arch9wavefront6targetE1EEEvSR_.num_agpr, 0
	.set _ZN7rocprim17ROCPRIM_400000_NS6detail17trampoline_kernelINS0_14default_configENS1_32segmented_reduce_config_selectorIN3c104HalfEEEZNS1_21segmented_reduce_implIS3_PKS6_PS6_PKlS6_N6hipcub16HIPCUB_304000_NS6detail27convert_result_type_wrapperISA_SB_N2at6native12_GLOBAL__N_19CustomMinEEEEE10hipError_tPvRmT0_T1_jT2_SS_T4_T3_P12ihipStream_tbEUlT_E_NS1_11comp_targetILNS1_3genE5ELNS1_11target_archE942ELNS1_3gpuE9ELNS1_3repE0EEENS1_30default_config_static_selectorELNS0_4arch9wavefront6targetE1EEEvSR_.numbered_sgpr, 0
	.set _ZN7rocprim17ROCPRIM_400000_NS6detail17trampoline_kernelINS0_14default_configENS1_32segmented_reduce_config_selectorIN3c104HalfEEEZNS1_21segmented_reduce_implIS3_PKS6_PS6_PKlS6_N6hipcub16HIPCUB_304000_NS6detail27convert_result_type_wrapperISA_SB_N2at6native12_GLOBAL__N_19CustomMinEEEEE10hipError_tPvRmT0_T1_jT2_SS_T4_T3_P12ihipStream_tbEUlT_E_NS1_11comp_targetILNS1_3genE5ELNS1_11target_archE942ELNS1_3gpuE9ELNS1_3repE0EEENS1_30default_config_static_selectorELNS0_4arch9wavefront6targetE1EEEvSR_.num_named_barrier, 0
	.set _ZN7rocprim17ROCPRIM_400000_NS6detail17trampoline_kernelINS0_14default_configENS1_32segmented_reduce_config_selectorIN3c104HalfEEEZNS1_21segmented_reduce_implIS3_PKS6_PS6_PKlS6_N6hipcub16HIPCUB_304000_NS6detail27convert_result_type_wrapperISA_SB_N2at6native12_GLOBAL__N_19CustomMinEEEEE10hipError_tPvRmT0_T1_jT2_SS_T4_T3_P12ihipStream_tbEUlT_E_NS1_11comp_targetILNS1_3genE5ELNS1_11target_archE942ELNS1_3gpuE9ELNS1_3repE0EEENS1_30default_config_static_selectorELNS0_4arch9wavefront6targetE1EEEvSR_.private_seg_size, 0
	.set _ZN7rocprim17ROCPRIM_400000_NS6detail17trampoline_kernelINS0_14default_configENS1_32segmented_reduce_config_selectorIN3c104HalfEEEZNS1_21segmented_reduce_implIS3_PKS6_PS6_PKlS6_N6hipcub16HIPCUB_304000_NS6detail27convert_result_type_wrapperISA_SB_N2at6native12_GLOBAL__N_19CustomMinEEEEE10hipError_tPvRmT0_T1_jT2_SS_T4_T3_P12ihipStream_tbEUlT_E_NS1_11comp_targetILNS1_3genE5ELNS1_11target_archE942ELNS1_3gpuE9ELNS1_3repE0EEENS1_30default_config_static_selectorELNS0_4arch9wavefront6targetE1EEEvSR_.uses_vcc, 0
	.set _ZN7rocprim17ROCPRIM_400000_NS6detail17trampoline_kernelINS0_14default_configENS1_32segmented_reduce_config_selectorIN3c104HalfEEEZNS1_21segmented_reduce_implIS3_PKS6_PS6_PKlS6_N6hipcub16HIPCUB_304000_NS6detail27convert_result_type_wrapperISA_SB_N2at6native12_GLOBAL__N_19CustomMinEEEEE10hipError_tPvRmT0_T1_jT2_SS_T4_T3_P12ihipStream_tbEUlT_E_NS1_11comp_targetILNS1_3genE5ELNS1_11target_archE942ELNS1_3gpuE9ELNS1_3repE0EEENS1_30default_config_static_selectorELNS0_4arch9wavefront6targetE1EEEvSR_.uses_flat_scratch, 0
	.set _ZN7rocprim17ROCPRIM_400000_NS6detail17trampoline_kernelINS0_14default_configENS1_32segmented_reduce_config_selectorIN3c104HalfEEEZNS1_21segmented_reduce_implIS3_PKS6_PS6_PKlS6_N6hipcub16HIPCUB_304000_NS6detail27convert_result_type_wrapperISA_SB_N2at6native12_GLOBAL__N_19CustomMinEEEEE10hipError_tPvRmT0_T1_jT2_SS_T4_T3_P12ihipStream_tbEUlT_E_NS1_11comp_targetILNS1_3genE5ELNS1_11target_archE942ELNS1_3gpuE9ELNS1_3repE0EEENS1_30default_config_static_selectorELNS0_4arch9wavefront6targetE1EEEvSR_.has_dyn_sized_stack, 0
	.set _ZN7rocprim17ROCPRIM_400000_NS6detail17trampoline_kernelINS0_14default_configENS1_32segmented_reduce_config_selectorIN3c104HalfEEEZNS1_21segmented_reduce_implIS3_PKS6_PS6_PKlS6_N6hipcub16HIPCUB_304000_NS6detail27convert_result_type_wrapperISA_SB_N2at6native12_GLOBAL__N_19CustomMinEEEEE10hipError_tPvRmT0_T1_jT2_SS_T4_T3_P12ihipStream_tbEUlT_E_NS1_11comp_targetILNS1_3genE5ELNS1_11target_archE942ELNS1_3gpuE9ELNS1_3repE0EEENS1_30default_config_static_selectorELNS0_4arch9wavefront6targetE1EEEvSR_.has_recursion, 0
	.set _ZN7rocprim17ROCPRIM_400000_NS6detail17trampoline_kernelINS0_14default_configENS1_32segmented_reduce_config_selectorIN3c104HalfEEEZNS1_21segmented_reduce_implIS3_PKS6_PS6_PKlS6_N6hipcub16HIPCUB_304000_NS6detail27convert_result_type_wrapperISA_SB_N2at6native12_GLOBAL__N_19CustomMinEEEEE10hipError_tPvRmT0_T1_jT2_SS_T4_T3_P12ihipStream_tbEUlT_E_NS1_11comp_targetILNS1_3genE5ELNS1_11target_archE942ELNS1_3gpuE9ELNS1_3repE0EEENS1_30default_config_static_selectorELNS0_4arch9wavefront6targetE1EEEvSR_.has_indirect_call, 0
	.section	.AMDGPU.csdata,"",@progbits
; Kernel info:
; codeLenInByte = 0
; TotalNumSgprs: 4
; NumVgprs: 0
; ScratchSize: 0
; MemoryBound: 0
; FloatMode: 240
; IeeeMode: 1
; LDSByteSize: 0 bytes/workgroup (compile time only)
; SGPRBlocks: 0
; VGPRBlocks: 0
; NumSGPRsForWavesPerEU: 4
; NumVGPRsForWavesPerEU: 1
; Occupancy: 10
; WaveLimiterHint : 0
; COMPUTE_PGM_RSRC2:SCRATCH_EN: 0
; COMPUTE_PGM_RSRC2:USER_SGPR: 6
; COMPUTE_PGM_RSRC2:TRAP_HANDLER: 0
; COMPUTE_PGM_RSRC2:TGID_X_EN: 1
; COMPUTE_PGM_RSRC2:TGID_Y_EN: 0
; COMPUTE_PGM_RSRC2:TGID_Z_EN: 0
; COMPUTE_PGM_RSRC2:TIDIG_COMP_CNT: 0
	.section	.text._ZN7rocprim17ROCPRIM_400000_NS6detail17trampoline_kernelINS0_14default_configENS1_32segmented_reduce_config_selectorIN3c104HalfEEEZNS1_21segmented_reduce_implIS3_PKS6_PS6_PKlS6_N6hipcub16HIPCUB_304000_NS6detail27convert_result_type_wrapperISA_SB_N2at6native12_GLOBAL__N_19CustomMinEEEEE10hipError_tPvRmT0_T1_jT2_SS_T4_T3_P12ihipStream_tbEUlT_E_NS1_11comp_targetILNS1_3genE10ELNS1_11target_archE1201ELNS1_3gpuE5ELNS1_3repE0EEENS1_30default_config_static_selectorELNS0_4arch9wavefront6targetE1EEEvSR_,"axG",@progbits,_ZN7rocprim17ROCPRIM_400000_NS6detail17trampoline_kernelINS0_14default_configENS1_32segmented_reduce_config_selectorIN3c104HalfEEEZNS1_21segmented_reduce_implIS3_PKS6_PS6_PKlS6_N6hipcub16HIPCUB_304000_NS6detail27convert_result_type_wrapperISA_SB_N2at6native12_GLOBAL__N_19CustomMinEEEEE10hipError_tPvRmT0_T1_jT2_SS_T4_T3_P12ihipStream_tbEUlT_E_NS1_11comp_targetILNS1_3genE10ELNS1_11target_archE1201ELNS1_3gpuE5ELNS1_3repE0EEENS1_30default_config_static_selectorELNS0_4arch9wavefront6targetE1EEEvSR_,comdat
	.globl	_ZN7rocprim17ROCPRIM_400000_NS6detail17trampoline_kernelINS0_14default_configENS1_32segmented_reduce_config_selectorIN3c104HalfEEEZNS1_21segmented_reduce_implIS3_PKS6_PS6_PKlS6_N6hipcub16HIPCUB_304000_NS6detail27convert_result_type_wrapperISA_SB_N2at6native12_GLOBAL__N_19CustomMinEEEEE10hipError_tPvRmT0_T1_jT2_SS_T4_T3_P12ihipStream_tbEUlT_E_NS1_11comp_targetILNS1_3genE10ELNS1_11target_archE1201ELNS1_3gpuE5ELNS1_3repE0EEENS1_30default_config_static_selectorELNS0_4arch9wavefront6targetE1EEEvSR_ ; -- Begin function _ZN7rocprim17ROCPRIM_400000_NS6detail17trampoline_kernelINS0_14default_configENS1_32segmented_reduce_config_selectorIN3c104HalfEEEZNS1_21segmented_reduce_implIS3_PKS6_PS6_PKlS6_N6hipcub16HIPCUB_304000_NS6detail27convert_result_type_wrapperISA_SB_N2at6native12_GLOBAL__N_19CustomMinEEEEE10hipError_tPvRmT0_T1_jT2_SS_T4_T3_P12ihipStream_tbEUlT_E_NS1_11comp_targetILNS1_3genE10ELNS1_11target_archE1201ELNS1_3gpuE5ELNS1_3repE0EEENS1_30default_config_static_selectorELNS0_4arch9wavefront6targetE1EEEvSR_
	.p2align	8
	.type	_ZN7rocprim17ROCPRIM_400000_NS6detail17trampoline_kernelINS0_14default_configENS1_32segmented_reduce_config_selectorIN3c104HalfEEEZNS1_21segmented_reduce_implIS3_PKS6_PS6_PKlS6_N6hipcub16HIPCUB_304000_NS6detail27convert_result_type_wrapperISA_SB_N2at6native12_GLOBAL__N_19CustomMinEEEEE10hipError_tPvRmT0_T1_jT2_SS_T4_T3_P12ihipStream_tbEUlT_E_NS1_11comp_targetILNS1_3genE10ELNS1_11target_archE1201ELNS1_3gpuE5ELNS1_3repE0EEENS1_30default_config_static_selectorELNS0_4arch9wavefront6targetE1EEEvSR_,@function
_ZN7rocprim17ROCPRIM_400000_NS6detail17trampoline_kernelINS0_14default_configENS1_32segmented_reduce_config_selectorIN3c104HalfEEEZNS1_21segmented_reduce_implIS3_PKS6_PS6_PKlS6_N6hipcub16HIPCUB_304000_NS6detail27convert_result_type_wrapperISA_SB_N2at6native12_GLOBAL__N_19CustomMinEEEEE10hipError_tPvRmT0_T1_jT2_SS_T4_T3_P12ihipStream_tbEUlT_E_NS1_11comp_targetILNS1_3genE10ELNS1_11target_archE1201ELNS1_3gpuE5ELNS1_3repE0EEENS1_30default_config_static_selectorELNS0_4arch9wavefront6targetE1EEEvSR_: ; @_ZN7rocprim17ROCPRIM_400000_NS6detail17trampoline_kernelINS0_14default_configENS1_32segmented_reduce_config_selectorIN3c104HalfEEEZNS1_21segmented_reduce_implIS3_PKS6_PS6_PKlS6_N6hipcub16HIPCUB_304000_NS6detail27convert_result_type_wrapperISA_SB_N2at6native12_GLOBAL__N_19CustomMinEEEEE10hipError_tPvRmT0_T1_jT2_SS_T4_T3_P12ihipStream_tbEUlT_E_NS1_11comp_targetILNS1_3genE10ELNS1_11target_archE1201ELNS1_3gpuE5ELNS1_3repE0EEENS1_30default_config_static_selectorELNS0_4arch9wavefront6targetE1EEEvSR_
; %bb.0:
	.section	.rodata,"a",@progbits
	.p2align	6, 0x0
	.amdhsa_kernel _ZN7rocprim17ROCPRIM_400000_NS6detail17trampoline_kernelINS0_14default_configENS1_32segmented_reduce_config_selectorIN3c104HalfEEEZNS1_21segmented_reduce_implIS3_PKS6_PS6_PKlS6_N6hipcub16HIPCUB_304000_NS6detail27convert_result_type_wrapperISA_SB_N2at6native12_GLOBAL__N_19CustomMinEEEEE10hipError_tPvRmT0_T1_jT2_SS_T4_T3_P12ihipStream_tbEUlT_E_NS1_11comp_targetILNS1_3genE10ELNS1_11target_archE1201ELNS1_3gpuE5ELNS1_3repE0EEENS1_30default_config_static_selectorELNS0_4arch9wavefront6targetE1EEEvSR_
		.amdhsa_group_segment_fixed_size 0
		.amdhsa_private_segment_fixed_size 0
		.amdhsa_kernarg_size 48
		.amdhsa_user_sgpr_count 6
		.amdhsa_user_sgpr_private_segment_buffer 1
		.amdhsa_user_sgpr_dispatch_ptr 0
		.amdhsa_user_sgpr_queue_ptr 0
		.amdhsa_user_sgpr_kernarg_segment_ptr 1
		.amdhsa_user_sgpr_dispatch_id 0
		.amdhsa_user_sgpr_flat_scratch_init 0
		.amdhsa_user_sgpr_private_segment_size 0
		.amdhsa_uses_dynamic_stack 0
		.amdhsa_system_sgpr_private_segment_wavefront_offset 0
		.amdhsa_system_sgpr_workgroup_id_x 1
		.amdhsa_system_sgpr_workgroup_id_y 0
		.amdhsa_system_sgpr_workgroup_id_z 0
		.amdhsa_system_sgpr_workgroup_info 0
		.amdhsa_system_vgpr_workitem_id 0
		.amdhsa_next_free_vgpr 1
		.amdhsa_next_free_sgpr 0
		.amdhsa_reserve_vcc 0
		.amdhsa_reserve_flat_scratch 0
		.amdhsa_float_round_mode_32 0
		.amdhsa_float_round_mode_16_64 0
		.amdhsa_float_denorm_mode_32 3
		.amdhsa_float_denorm_mode_16_64 3
		.amdhsa_dx10_clamp 1
		.amdhsa_ieee_mode 1
		.amdhsa_fp16_overflow 0
		.amdhsa_exception_fp_ieee_invalid_op 0
		.amdhsa_exception_fp_denorm_src 0
		.amdhsa_exception_fp_ieee_div_zero 0
		.amdhsa_exception_fp_ieee_overflow 0
		.amdhsa_exception_fp_ieee_underflow 0
		.amdhsa_exception_fp_ieee_inexact 0
		.amdhsa_exception_int_div_zero 0
	.end_amdhsa_kernel
	.section	.text._ZN7rocprim17ROCPRIM_400000_NS6detail17trampoline_kernelINS0_14default_configENS1_32segmented_reduce_config_selectorIN3c104HalfEEEZNS1_21segmented_reduce_implIS3_PKS6_PS6_PKlS6_N6hipcub16HIPCUB_304000_NS6detail27convert_result_type_wrapperISA_SB_N2at6native12_GLOBAL__N_19CustomMinEEEEE10hipError_tPvRmT0_T1_jT2_SS_T4_T3_P12ihipStream_tbEUlT_E_NS1_11comp_targetILNS1_3genE10ELNS1_11target_archE1201ELNS1_3gpuE5ELNS1_3repE0EEENS1_30default_config_static_selectorELNS0_4arch9wavefront6targetE1EEEvSR_,"axG",@progbits,_ZN7rocprim17ROCPRIM_400000_NS6detail17trampoline_kernelINS0_14default_configENS1_32segmented_reduce_config_selectorIN3c104HalfEEEZNS1_21segmented_reduce_implIS3_PKS6_PS6_PKlS6_N6hipcub16HIPCUB_304000_NS6detail27convert_result_type_wrapperISA_SB_N2at6native12_GLOBAL__N_19CustomMinEEEEE10hipError_tPvRmT0_T1_jT2_SS_T4_T3_P12ihipStream_tbEUlT_E_NS1_11comp_targetILNS1_3genE10ELNS1_11target_archE1201ELNS1_3gpuE5ELNS1_3repE0EEENS1_30default_config_static_selectorELNS0_4arch9wavefront6targetE1EEEvSR_,comdat
.Lfunc_end232:
	.size	_ZN7rocprim17ROCPRIM_400000_NS6detail17trampoline_kernelINS0_14default_configENS1_32segmented_reduce_config_selectorIN3c104HalfEEEZNS1_21segmented_reduce_implIS3_PKS6_PS6_PKlS6_N6hipcub16HIPCUB_304000_NS6detail27convert_result_type_wrapperISA_SB_N2at6native12_GLOBAL__N_19CustomMinEEEEE10hipError_tPvRmT0_T1_jT2_SS_T4_T3_P12ihipStream_tbEUlT_E_NS1_11comp_targetILNS1_3genE10ELNS1_11target_archE1201ELNS1_3gpuE5ELNS1_3repE0EEENS1_30default_config_static_selectorELNS0_4arch9wavefront6targetE1EEEvSR_, .Lfunc_end232-_ZN7rocprim17ROCPRIM_400000_NS6detail17trampoline_kernelINS0_14default_configENS1_32segmented_reduce_config_selectorIN3c104HalfEEEZNS1_21segmented_reduce_implIS3_PKS6_PS6_PKlS6_N6hipcub16HIPCUB_304000_NS6detail27convert_result_type_wrapperISA_SB_N2at6native12_GLOBAL__N_19CustomMinEEEEE10hipError_tPvRmT0_T1_jT2_SS_T4_T3_P12ihipStream_tbEUlT_E_NS1_11comp_targetILNS1_3genE10ELNS1_11target_archE1201ELNS1_3gpuE5ELNS1_3repE0EEENS1_30default_config_static_selectorELNS0_4arch9wavefront6targetE1EEEvSR_
                                        ; -- End function
	.set _ZN7rocprim17ROCPRIM_400000_NS6detail17trampoline_kernelINS0_14default_configENS1_32segmented_reduce_config_selectorIN3c104HalfEEEZNS1_21segmented_reduce_implIS3_PKS6_PS6_PKlS6_N6hipcub16HIPCUB_304000_NS6detail27convert_result_type_wrapperISA_SB_N2at6native12_GLOBAL__N_19CustomMinEEEEE10hipError_tPvRmT0_T1_jT2_SS_T4_T3_P12ihipStream_tbEUlT_E_NS1_11comp_targetILNS1_3genE10ELNS1_11target_archE1201ELNS1_3gpuE5ELNS1_3repE0EEENS1_30default_config_static_selectorELNS0_4arch9wavefront6targetE1EEEvSR_.num_vgpr, 0
	.set _ZN7rocprim17ROCPRIM_400000_NS6detail17trampoline_kernelINS0_14default_configENS1_32segmented_reduce_config_selectorIN3c104HalfEEEZNS1_21segmented_reduce_implIS3_PKS6_PS6_PKlS6_N6hipcub16HIPCUB_304000_NS6detail27convert_result_type_wrapperISA_SB_N2at6native12_GLOBAL__N_19CustomMinEEEEE10hipError_tPvRmT0_T1_jT2_SS_T4_T3_P12ihipStream_tbEUlT_E_NS1_11comp_targetILNS1_3genE10ELNS1_11target_archE1201ELNS1_3gpuE5ELNS1_3repE0EEENS1_30default_config_static_selectorELNS0_4arch9wavefront6targetE1EEEvSR_.num_agpr, 0
	.set _ZN7rocprim17ROCPRIM_400000_NS6detail17trampoline_kernelINS0_14default_configENS1_32segmented_reduce_config_selectorIN3c104HalfEEEZNS1_21segmented_reduce_implIS3_PKS6_PS6_PKlS6_N6hipcub16HIPCUB_304000_NS6detail27convert_result_type_wrapperISA_SB_N2at6native12_GLOBAL__N_19CustomMinEEEEE10hipError_tPvRmT0_T1_jT2_SS_T4_T3_P12ihipStream_tbEUlT_E_NS1_11comp_targetILNS1_3genE10ELNS1_11target_archE1201ELNS1_3gpuE5ELNS1_3repE0EEENS1_30default_config_static_selectorELNS0_4arch9wavefront6targetE1EEEvSR_.numbered_sgpr, 0
	.set _ZN7rocprim17ROCPRIM_400000_NS6detail17trampoline_kernelINS0_14default_configENS1_32segmented_reduce_config_selectorIN3c104HalfEEEZNS1_21segmented_reduce_implIS3_PKS6_PS6_PKlS6_N6hipcub16HIPCUB_304000_NS6detail27convert_result_type_wrapperISA_SB_N2at6native12_GLOBAL__N_19CustomMinEEEEE10hipError_tPvRmT0_T1_jT2_SS_T4_T3_P12ihipStream_tbEUlT_E_NS1_11comp_targetILNS1_3genE10ELNS1_11target_archE1201ELNS1_3gpuE5ELNS1_3repE0EEENS1_30default_config_static_selectorELNS0_4arch9wavefront6targetE1EEEvSR_.num_named_barrier, 0
	.set _ZN7rocprim17ROCPRIM_400000_NS6detail17trampoline_kernelINS0_14default_configENS1_32segmented_reduce_config_selectorIN3c104HalfEEEZNS1_21segmented_reduce_implIS3_PKS6_PS6_PKlS6_N6hipcub16HIPCUB_304000_NS6detail27convert_result_type_wrapperISA_SB_N2at6native12_GLOBAL__N_19CustomMinEEEEE10hipError_tPvRmT0_T1_jT2_SS_T4_T3_P12ihipStream_tbEUlT_E_NS1_11comp_targetILNS1_3genE10ELNS1_11target_archE1201ELNS1_3gpuE5ELNS1_3repE0EEENS1_30default_config_static_selectorELNS0_4arch9wavefront6targetE1EEEvSR_.private_seg_size, 0
	.set _ZN7rocprim17ROCPRIM_400000_NS6detail17trampoline_kernelINS0_14default_configENS1_32segmented_reduce_config_selectorIN3c104HalfEEEZNS1_21segmented_reduce_implIS3_PKS6_PS6_PKlS6_N6hipcub16HIPCUB_304000_NS6detail27convert_result_type_wrapperISA_SB_N2at6native12_GLOBAL__N_19CustomMinEEEEE10hipError_tPvRmT0_T1_jT2_SS_T4_T3_P12ihipStream_tbEUlT_E_NS1_11comp_targetILNS1_3genE10ELNS1_11target_archE1201ELNS1_3gpuE5ELNS1_3repE0EEENS1_30default_config_static_selectorELNS0_4arch9wavefront6targetE1EEEvSR_.uses_vcc, 0
	.set _ZN7rocprim17ROCPRIM_400000_NS6detail17trampoline_kernelINS0_14default_configENS1_32segmented_reduce_config_selectorIN3c104HalfEEEZNS1_21segmented_reduce_implIS3_PKS6_PS6_PKlS6_N6hipcub16HIPCUB_304000_NS6detail27convert_result_type_wrapperISA_SB_N2at6native12_GLOBAL__N_19CustomMinEEEEE10hipError_tPvRmT0_T1_jT2_SS_T4_T3_P12ihipStream_tbEUlT_E_NS1_11comp_targetILNS1_3genE10ELNS1_11target_archE1201ELNS1_3gpuE5ELNS1_3repE0EEENS1_30default_config_static_selectorELNS0_4arch9wavefront6targetE1EEEvSR_.uses_flat_scratch, 0
	.set _ZN7rocprim17ROCPRIM_400000_NS6detail17trampoline_kernelINS0_14default_configENS1_32segmented_reduce_config_selectorIN3c104HalfEEEZNS1_21segmented_reduce_implIS3_PKS6_PS6_PKlS6_N6hipcub16HIPCUB_304000_NS6detail27convert_result_type_wrapperISA_SB_N2at6native12_GLOBAL__N_19CustomMinEEEEE10hipError_tPvRmT0_T1_jT2_SS_T4_T3_P12ihipStream_tbEUlT_E_NS1_11comp_targetILNS1_3genE10ELNS1_11target_archE1201ELNS1_3gpuE5ELNS1_3repE0EEENS1_30default_config_static_selectorELNS0_4arch9wavefront6targetE1EEEvSR_.has_dyn_sized_stack, 0
	.set _ZN7rocprim17ROCPRIM_400000_NS6detail17trampoline_kernelINS0_14default_configENS1_32segmented_reduce_config_selectorIN3c104HalfEEEZNS1_21segmented_reduce_implIS3_PKS6_PS6_PKlS6_N6hipcub16HIPCUB_304000_NS6detail27convert_result_type_wrapperISA_SB_N2at6native12_GLOBAL__N_19CustomMinEEEEE10hipError_tPvRmT0_T1_jT2_SS_T4_T3_P12ihipStream_tbEUlT_E_NS1_11comp_targetILNS1_3genE10ELNS1_11target_archE1201ELNS1_3gpuE5ELNS1_3repE0EEENS1_30default_config_static_selectorELNS0_4arch9wavefront6targetE1EEEvSR_.has_recursion, 0
	.set _ZN7rocprim17ROCPRIM_400000_NS6detail17trampoline_kernelINS0_14default_configENS1_32segmented_reduce_config_selectorIN3c104HalfEEEZNS1_21segmented_reduce_implIS3_PKS6_PS6_PKlS6_N6hipcub16HIPCUB_304000_NS6detail27convert_result_type_wrapperISA_SB_N2at6native12_GLOBAL__N_19CustomMinEEEEE10hipError_tPvRmT0_T1_jT2_SS_T4_T3_P12ihipStream_tbEUlT_E_NS1_11comp_targetILNS1_3genE10ELNS1_11target_archE1201ELNS1_3gpuE5ELNS1_3repE0EEENS1_30default_config_static_selectorELNS0_4arch9wavefront6targetE1EEEvSR_.has_indirect_call, 0
	.section	.AMDGPU.csdata,"",@progbits
; Kernel info:
; codeLenInByte = 0
; TotalNumSgprs: 4
; NumVgprs: 0
; ScratchSize: 0
; MemoryBound: 0
; FloatMode: 240
; IeeeMode: 1
; LDSByteSize: 0 bytes/workgroup (compile time only)
; SGPRBlocks: 0
; VGPRBlocks: 0
; NumSGPRsForWavesPerEU: 4
; NumVGPRsForWavesPerEU: 1
; Occupancy: 10
; WaveLimiterHint : 0
; COMPUTE_PGM_RSRC2:SCRATCH_EN: 0
; COMPUTE_PGM_RSRC2:USER_SGPR: 6
; COMPUTE_PGM_RSRC2:TRAP_HANDLER: 0
; COMPUTE_PGM_RSRC2:TGID_X_EN: 1
; COMPUTE_PGM_RSRC2:TGID_Y_EN: 0
; COMPUTE_PGM_RSRC2:TGID_Z_EN: 0
; COMPUTE_PGM_RSRC2:TIDIG_COMP_CNT: 0
	.section	.text._ZN7rocprim17ROCPRIM_400000_NS6detail17trampoline_kernelINS0_14default_configENS1_32segmented_reduce_config_selectorIN3c104HalfEEEZNS1_21segmented_reduce_implIS3_PKS6_PS6_PKlS6_N6hipcub16HIPCUB_304000_NS6detail27convert_result_type_wrapperISA_SB_N2at6native12_GLOBAL__N_19CustomMinEEEEE10hipError_tPvRmT0_T1_jT2_SS_T4_T3_P12ihipStream_tbEUlT_E_NS1_11comp_targetILNS1_3genE4ELNS1_11target_archE910ELNS1_3gpuE8ELNS1_3repE0EEENS1_30default_config_static_selectorELNS0_4arch9wavefront6targetE1EEEvSR_,"axG",@progbits,_ZN7rocprim17ROCPRIM_400000_NS6detail17trampoline_kernelINS0_14default_configENS1_32segmented_reduce_config_selectorIN3c104HalfEEEZNS1_21segmented_reduce_implIS3_PKS6_PS6_PKlS6_N6hipcub16HIPCUB_304000_NS6detail27convert_result_type_wrapperISA_SB_N2at6native12_GLOBAL__N_19CustomMinEEEEE10hipError_tPvRmT0_T1_jT2_SS_T4_T3_P12ihipStream_tbEUlT_E_NS1_11comp_targetILNS1_3genE4ELNS1_11target_archE910ELNS1_3gpuE8ELNS1_3repE0EEENS1_30default_config_static_selectorELNS0_4arch9wavefront6targetE1EEEvSR_,comdat
	.globl	_ZN7rocprim17ROCPRIM_400000_NS6detail17trampoline_kernelINS0_14default_configENS1_32segmented_reduce_config_selectorIN3c104HalfEEEZNS1_21segmented_reduce_implIS3_PKS6_PS6_PKlS6_N6hipcub16HIPCUB_304000_NS6detail27convert_result_type_wrapperISA_SB_N2at6native12_GLOBAL__N_19CustomMinEEEEE10hipError_tPvRmT0_T1_jT2_SS_T4_T3_P12ihipStream_tbEUlT_E_NS1_11comp_targetILNS1_3genE4ELNS1_11target_archE910ELNS1_3gpuE8ELNS1_3repE0EEENS1_30default_config_static_selectorELNS0_4arch9wavefront6targetE1EEEvSR_ ; -- Begin function _ZN7rocprim17ROCPRIM_400000_NS6detail17trampoline_kernelINS0_14default_configENS1_32segmented_reduce_config_selectorIN3c104HalfEEEZNS1_21segmented_reduce_implIS3_PKS6_PS6_PKlS6_N6hipcub16HIPCUB_304000_NS6detail27convert_result_type_wrapperISA_SB_N2at6native12_GLOBAL__N_19CustomMinEEEEE10hipError_tPvRmT0_T1_jT2_SS_T4_T3_P12ihipStream_tbEUlT_E_NS1_11comp_targetILNS1_3genE4ELNS1_11target_archE910ELNS1_3gpuE8ELNS1_3repE0EEENS1_30default_config_static_selectorELNS0_4arch9wavefront6targetE1EEEvSR_
	.p2align	8
	.type	_ZN7rocprim17ROCPRIM_400000_NS6detail17trampoline_kernelINS0_14default_configENS1_32segmented_reduce_config_selectorIN3c104HalfEEEZNS1_21segmented_reduce_implIS3_PKS6_PS6_PKlS6_N6hipcub16HIPCUB_304000_NS6detail27convert_result_type_wrapperISA_SB_N2at6native12_GLOBAL__N_19CustomMinEEEEE10hipError_tPvRmT0_T1_jT2_SS_T4_T3_P12ihipStream_tbEUlT_E_NS1_11comp_targetILNS1_3genE4ELNS1_11target_archE910ELNS1_3gpuE8ELNS1_3repE0EEENS1_30default_config_static_selectorELNS0_4arch9wavefront6targetE1EEEvSR_,@function
_ZN7rocprim17ROCPRIM_400000_NS6detail17trampoline_kernelINS0_14default_configENS1_32segmented_reduce_config_selectorIN3c104HalfEEEZNS1_21segmented_reduce_implIS3_PKS6_PS6_PKlS6_N6hipcub16HIPCUB_304000_NS6detail27convert_result_type_wrapperISA_SB_N2at6native12_GLOBAL__N_19CustomMinEEEEE10hipError_tPvRmT0_T1_jT2_SS_T4_T3_P12ihipStream_tbEUlT_E_NS1_11comp_targetILNS1_3genE4ELNS1_11target_archE910ELNS1_3gpuE8ELNS1_3repE0EEENS1_30default_config_static_selectorELNS0_4arch9wavefront6targetE1EEEvSR_: ; @_ZN7rocprim17ROCPRIM_400000_NS6detail17trampoline_kernelINS0_14default_configENS1_32segmented_reduce_config_selectorIN3c104HalfEEEZNS1_21segmented_reduce_implIS3_PKS6_PS6_PKlS6_N6hipcub16HIPCUB_304000_NS6detail27convert_result_type_wrapperISA_SB_N2at6native12_GLOBAL__N_19CustomMinEEEEE10hipError_tPvRmT0_T1_jT2_SS_T4_T3_P12ihipStream_tbEUlT_E_NS1_11comp_targetILNS1_3genE4ELNS1_11target_archE910ELNS1_3gpuE8ELNS1_3repE0EEENS1_30default_config_static_selectorELNS0_4arch9wavefront6targetE1EEEvSR_
; %bb.0:
	.section	.rodata,"a",@progbits
	.p2align	6, 0x0
	.amdhsa_kernel _ZN7rocprim17ROCPRIM_400000_NS6detail17trampoline_kernelINS0_14default_configENS1_32segmented_reduce_config_selectorIN3c104HalfEEEZNS1_21segmented_reduce_implIS3_PKS6_PS6_PKlS6_N6hipcub16HIPCUB_304000_NS6detail27convert_result_type_wrapperISA_SB_N2at6native12_GLOBAL__N_19CustomMinEEEEE10hipError_tPvRmT0_T1_jT2_SS_T4_T3_P12ihipStream_tbEUlT_E_NS1_11comp_targetILNS1_3genE4ELNS1_11target_archE910ELNS1_3gpuE8ELNS1_3repE0EEENS1_30default_config_static_selectorELNS0_4arch9wavefront6targetE1EEEvSR_
		.amdhsa_group_segment_fixed_size 0
		.amdhsa_private_segment_fixed_size 0
		.amdhsa_kernarg_size 48
		.amdhsa_user_sgpr_count 6
		.amdhsa_user_sgpr_private_segment_buffer 1
		.amdhsa_user_sgpr_dispatch_ptr 0
		.amdhsa_user_sgpr_queue_ptr 0
		.amdhsa_user_sgpr_kernarg_segment_ptr 1
		.amdhsa_user_sgpr_dispatch_id 0
		.amdhsa_user_sgpr_flat_scratch_init 0
		.amdhsa_user_sgpr_private_segment_size 0
		.amdhsa_uses_dynamic_stack 0
		.amdhsa_system_sgpr_private_segment_wavefront_offset 0
		.amdhsa_system_sgpr_workgroup_id_x 1
		.amdhsa_system_sgpr_workgroup_id_y 0
		.amdhsa_system_sgpr_workgroup_id_z 0
		.amdhsa_system_sgpr_workgroup_info 0
		.amdhsa_system_vgpr_workitem_id 0
		.amdhsa_next_free_vgpr 1
		.amdhsa_next_free_sgpr 0
		.amdhsa_reserve_vcc 0
		.amdhsa_reserve_flat_scratch 0
		.amdhsa_float_round_mode_32 0
		.amdhsa_float_round_mode_16_64 0
		.amdhsa_float_denorm_mode_32 3
		.amdhsa_float_denorm_mode_16_64 3
		.amdhsa_dx10_clamp 1
		.amdhsa_ieee_mode 1
		.amdhsa_fp16_overflow 0
		.amdhsa_exception_fp_ieee_invalid_op 0
		.amdhsa_exception_fp_denorm_src 0
		.amdhsa_exception_fp_ieee_div_zero 0
		.amdhsa_exception_fp_ieee_overflow 0
		.amdhsa_exception_fp_ieee_underflow 0
		.amdhsa_exception_fp_ieee_inexact 0
		.amdhsa_exception_int_div_zero 0
	.end_amdhsa_kernel
	.section	.text._ZN7rocprim17ROCPRIM_400000_NS6detail17trampoline_kernelINS0_14default_configENS1_32segmented_reduce_config_selectorIN3c104HalfEEEZNS1_21segmented_reduce_implIS3_PKS6_PS6_PKlS6_N6hipcub16HIPCUB_304000_NS6detail27convert_result_type_wrapperISA_SB_N2at6native12_GLOBAL__N_19CustomMinEEEEE10hipError_tPvRmT0_T1_jT2_SS_T4_T3_P12ihipStream_tbEUlT_E_NS1_11comp_targetILNS1_3genE4ELNS1_11target_archE910ELNS1_3gpuE8ELNS1_3repE0EEENS1_30default_config_static_selectorELNS0_4arch9wavefront6targetE1EEEvSR_,"axG",@progbits,_ZN7rocprim17ROCPRIM_400000_NS6detail17trampoline_kernelINS0_14default_configENS1_32segmented_reduce_config_selectorIN3c104HalfEEEZNS1_21segmented_reduce_implIS3_PKS6_PS6_PKlS6_N6hipcub16HIPCUB_304000_NS6detail27convert_result_type_wrapperISA_SB_N2at6native12_GLOBAL__N_19CustomMinEEEEE10hipError_tPvRmT0_T1_jT2_SS_T4_T3_P12ihipStream_tbEUlT_E_NS1_11comp_targetILNS1_3genE4ELNS1_11target_archE910ELNS1_3gpuE8ELNS1_3repE0EEENS1_30default_config_static_selectorELNS0_4arch9wavefront6targetE1EEEvSR_,comdat
.Lfunc_end233:
	.size	_ZN7rocprim17ROCPRIM_400000_NS6detail17trampoline_kernelINS0_14default_configENS1_32segmented_reduce_config_selectorIN3c104HalfEEEZNS1_21segmented_reduce_implIS3_PKS6_PS6_PKlS6_N6hipcub16HIPCUB_304000_NS6detail27convert_result_type_wrapperISA_SB_N2at6native12_GLOBAL__N_19CustomMinEEEEE10hipError_tPvRmT0_T1_jT2_SS_T4_T3_P12ihipStream_tbEUlT_E_NS1_11comp_targetILNS1_3genE4ELNS1_11target_archE910ELNS1_3gpuE8ELNS1_3repE0EEENS1_30default_config_static_selectorELNS0_4arch9wavefront6targetE1EEEvSR_, .Lfunc_end233-_ZN7rocprim17ROCPRIM_400000_NS6detail17trampoline_kernelINS0_14default_configENS1_32segmented_reduce_config_selectorIN3c104HalfEEEZNS1_21segmented_reduce_implIS3_PKS6_PS6_PKlS6_N6hipcub16HIPCUB_304000_NS6detail27convert_result_type_wrapperISA_SB_N2at6native12_GLOBAL__N_19CustomMinEEEEE10hipError_tPvRmT0_T1_jT2_SS_T4_T3_P12ihipStream_tbEUlT_E_NS1_11comp_targetILNS1_3genE4ELNS1_11target_archE910ELNS1_3gpuE8ELNS1_3repE0EEENS1_30default_config_static_selectorELNS0_4arch9wavefront6targetE1EEEvSR_
                                        ; -- End function
	.set _ZN7rocprim17ROCPRIM_400000_NS6detail17trampoline_kernelINS0_14default_configENS1_32segmented_reduce_config_selectorIN3c104HalfEEEZNS1_21segmented_reduce_implIS3_PKS6_PS6_PKlS6_N6hipcub16HIPCUB_304000_NS6detail27convert_result_type_wrapperISA_SB_N2at6native12_GLOBAL__N_19CustomMinEEEEE10hipError_tPvRmT0_T1_jT2_SS_T4_T3_P12ihipStream_tbEUlT_E_NS1_11comp_targetILNS1_3genE4ELNS1_11target_archE910ELNS1_3gpuE8ELNS1_3repE0EEENS1_30default_config_static_selectorELNS0_4arch9wavefront6targetE1EEEvSR_.num_vgpr, 0
	.set _ZN7rocprim17ROCPRIM_400000_NS6detail17trampoline_kernelINS0_14default_configENS1_32segmented_reduce_config_selectorIN3c104HalfEEEZNS1_21segmented_reduce_implIS3_PKS6_PS6_PKlS6_N6hipcub16HIPCUB_304000_NS6detail27convert_result_type_wrapperISA_SB_N2at6native12_GLOBAL__N_19CustomMinEEEEE10hipError_tPvRmT0_T1_jT2_SS_T4_T3_P12ihipStream_tbEUlT_E_NS1_11comp_targetILNS1_3genE4ELNS1_11target_archE910ELNS1_3gpuE8ELNS1_3repE0EEENS1_30default_config_static_selectorELNS0_4arch9wavefront6targetE1EEEvSR_.num_agpr, 0
	.set _ZN7rocprim17ROCPRIM_400000_NS6detail17trampoline_kernelINS0_14default_configENS1_32segmented_reduce_config_selectorIN3c104HalfEEEZNS1_21segmented_reduce_implIS3_PKS6_PS6_PKlS6_N6hipcub16HIPCUB_304000_NS6detail27convert_result_type_wrapperISA_SB_N2at6native12_GLOBAL__N_19CustomMinEEEEE10hipError_tPvRmT0_T1_jT2_SS_T4_T3_P12ihipStream_tbEUlT_E_NS1_11comp_targetILNS1_3genE4ELNS1_11target_archE910ELNS1_3gpuE8ELNS1_3repE0EEENS1_30default_config_static_selectorELNS0_4arch9wavefront6targetE1EEEvSR_.numbered_sgpr, 0
	.set _ZN7rocprim17ROCPRIM_400000_NS6detail17trampoline_kernelINS0_14default_configENS1_32segmented_reduce_config_selectorIN3c104HalfEEEZNS1_21segmented_reduce_implIS3_PKS6_PS6_PKlS6_N6hipcub16HIPCUB_304000_NS6detail27convert_result_type_wrapperISA_SB_N2at6native12_GLOBAL__N_19CustomMinEEEEE10hipError_tPvRmT0_T1_jT2_SS_T4_T3_P12ihipStream_tbEUlT_E_NS1_11comp_targetILNS1_3genE4ELNS1_11target_archE910ELNS1_3gpuE8ELNS1_3repE0EEENS1_30default_config_static_selectorELNS0_4arch9wavefront6targetE1EEEvSR_.num_named_barrier, 0
	.set _ZN7rocprim17ROCPRIM_400000_NS6detail17trampoline_kernelINS0_14default_configENS1_32segmented_reduce_config_selectorIN3c104HalfEEEZNS1_21segmented_reduce_implIS3_PKS6_PS6_PKlS6_N6hipcub16HIPCUB_304000_NS6detail27convert_result_type_wrapperISA_SB_N2at6native12_GLOBAL__N_19CustomMinEEEEE10hipError_tPvRmT0_T1_jT2_SS_T4_T3_P12ihipStream_tbEUlT_E_NS1_11comp_targetILNS1_3genE4ELNS1_11target_archE910ELNS1_3gpuE8ELNS1_3repE0EEENS1_30default_config_static_selectorELNS0_4arch9wavefront6targetE1EEEvSR_.private_seg_size, 0
	.set _ZN7rocprim17ROCPRIM_400000_NS6detail17trampoline_kernelINS0_14default_configENS1_32segmented_reduce_config_selectorIN3c104HalfEEEZNS1_21segmented_reduce_implIS3_PKS6_PS6_PKlS6_N6hipcub16HIPCUB_304000_NS6detail27convert_result_type_wrapperISA_SB_N2at6native12_GLOBAL__N_19CustomMinEEEEE10hipError_tPvRmT0_T1_jT2_SS_T4_T3_P12ihipStream_tbEUlT_E_NS1_11comp_targetILNS1_3genE4ELNS1_11target_archE910ELNS1_3gpuE8ELNS1_3repE0EEENS1_30default_config_static_selectorELNS0_4arch9wavefront6targetE1EEEvSR_.uses_vcc, 0
	.set _ZN7rocprim17ROCPRIM_400000_NS6detail17trampoline_kernelINS0_14default_configENS1_32segmented_reduce_config_selectorIN3c104HalfEEEZNS1_21segmented_reduce_implIS3_PKS6_PS6_PKlS6_N6hipcub16HIPCUB_304000_NS6detail27convert_result_type_wrapperISA_SB_N2at6native12_GLOBAL__N_19CustomMinEEEEE10hipError_tPvRmT0_T1_jT2_SS_T4_T3_P12ihipStream_tbEUlT_E_NS1_11comp_targetILNS1_3genE4ELNS1_11target_archE910ELNS1_3gpuE8ELNS1_3repE0EEENS1_30default_config_static_selectorELNS0_4arch9wavefront6targetE1EEEvSR_.uses_flat_scratch, 0
	.set _ZN7rocprim17ROCPRIM_400000_NS6detail17trampoline_kernelINS0_14default_configENS1_32segmented_reduce_config_selectorIN3c104HalfEEEZNS1_21segmented_reduce_implIS3_PKS6_PS6_PKlS6_N6hipcub16HIPCUB_304000_NS6detail27convert_result_type_wrapperISA_SB_N2at6native12_GLOBAL__N_19CustomMinEEEEE10hipError_tPvRmT0_T1_jT2_SS_T4_T3_P12ihipStream_tbEUlT_E_NS1_11comp_targetILNS1_3genE4ELNS1_11target_archE910ELNS1_3gpuE8ELNS1_3repE0EEENS1_30default_config_static_selectorELNS0_4arch9wavefront6targetE1EEEvSR_.has_dyn_sized_stack, 0
	.set _ZN7rocprim17ROCPRIM_400000_NS6detail17trampoline_kernelINS0_14default_configENS1_32segmented_reduce_config_selectorIN3c104HalfEEEZNS1_21segmented_reduce_implIS3_PKS6_PS6_PKlS6_N6hipcub16HIPCUB_304000_NS6detail27convert_result_type_wrapperISA_SB_N2at6native12_GLOBAL__N_19CustomMinEEEEE10hipError_tPvRmT0_T1_jT2_SS_T4_T3_P12ihipStream_tbEUlT_E_NS1_11comp_targetILNS1_3genE4ELNS1_11target_archE910ELNS1_3gpuE8ELNS1_3repE0EEENS1_30default_config_static_selectorELNS0_4arch9wavefront6targetE1EEEvSR_.has_recursion, 0
	.set _ZN7rocprim17ROCPRIM_400000_NS6detail17trampoline_kernelINS0_14default_configENS1_32segmented_reduce_config_selectorIN3c104HalfEEEZNS1_21segmented_reduce_implIS3_PKS6_PS6_PKlS6_N6hipcub16HIPCUB_304000_NS6detail27convert_result_type_wrapperISA_SB_N2at6native12_GLOBAL__N_19CustomMinEEEEE10hipError_tPvRmT0_T1_jT2_SS_T4_T3_P12ihipStream_tbEUlT_E_NS1_11comp_targetILNS1_3genE4ELNS1_11target_archE910ELNS1_3gpuE8ELNS1_3repE0EEENS1_30default_config_static_selectorELNS0_4arch9wavefront6targetE1EEEvSR_.has_indirect_call, 0
	.section	.AMDGPU.csdata,"",@progbits
; Kernel info:
; codeLenInByte = 0
; TotalNumSgprs: 4
; NumVgprs: 0
; ScratchSize: 0
; MemoryBound: 0
; FloatMode: 240
; IeeeMode: 1
; LDSByteSize: 0 bytes/workgroup (compile time only)
; SGPRBlocks: 0
; VGPRBlocks: 0
; NumSGPRsForWavesPerEU: 4
; NumVGPRsForWavesPerEU: 1
; Occupancy: 10
; WaveLimiterHint : 0
; COMPUTE_PGM_RSRC2:SCRATCH_EN: 0
; COMPUTE_PGM_RSRC2:USER_SGPR: 6
; COMPUTE_PGM_RSRC2:TRAP_HANDLER: 0
; COMPUTE_PGM_RSRC2:TGID_X_EN: 1
; COMPUTE_PGM_RSRC2:TGID_Y_EN: 0
; COMPUTE_PGM_RSRC2:TGID_Z_EN: 0
; COMPUTE_PGM_RSRC2:TIDIG_COMP_CNT: 0
	.section	.text._ZN7rocprim17ROCPRIM_400000_NS6detail17trampoline_kernelINS0_14default_configENS1_32segmented_reduce_config_selectorIN3c104HalfEEEZNS1_21segmented_reduce_implIS3_PKS6_PS6_PKlS6_N6hipcub16HIPCUB_304000_NS6detail27convert_result_type_wrapperISA_SB_N2at6native12_GLOBAL__N_19CustomMinEEEEE10hipError_tPvRmT0_T1_jT2_SS_T4_T3_P12ihipStream_tbEUlT_E_NS1_11comp_targetILNS1_3genE3ELNS1_11target_archE908ELNS1_3gpuE7ELNS1_3repE0EEENS1_30default_config_static_selectorELNS0_4arch9wavefront6targetE1EEEvSR_,"axG",@progbits,_ZN7rocprim17ROCPRIM_400000_NS6detail17trampoline_kernelINS0_14default_configENS1_32segmented_reduce_config_selectorIN3c104HalfEEEZNS1_21segmented_reduce_implIS3_PKS6_PS6_PKlS6_N6hipcub16HIPCUB_304000_NS6detail27convert_result_type_wrapperISA_SB_N2at6native12_GLOBAL__N_19CustomMinEEEEE10hipError_tPvRmT0_T1_jT2_SS_T4_T3_P12ihipStream_tbEUlT_E_NS1_11comp_targetILNS1_3genE3ELNS1_11target_archE908ELNS1_3gpuE7ELNS1_3repE0EEENS1_30default_config_static_selectorELNS0_4arch9wavefront6targetE1EEEvSR_,comdat
	.globl	_ZN7rocprim17ROCPRIM_400000_NS6detail17trampoline_kernelINS0_14default_configENS1_32segmented_reduce_config_selectorIN3c104HalfEEEZNS1_21segmented_reduce_implIS3_PKS6_PS6_PKlS6_N6hipcub16HIPCUB_304000_NS6detail27convert_result_type_wrapperISA_SB_N2at6native12_GLOBAL__N_19CustomMinEEEEE10hipError_tPvRmT0_T1_jT2_SS_T4_T3_P12ihipStream_tbEUlT_E_NS1_11comp_targetILNS1_3genE3ELNS1_11target_archE908ELNS1_3gpuE7ELNS1_3repE0EEENS1_30default_config_static_selectorELNS0_4arch9wavefront6targetE1EEEvSR_ ; -- Begin function _ZN7rocprim17ROCPRIM_400000_NS6detail17trampoline_kernelINS0_14default_configENS1_32segmented_reduce_config_selectorIN3c104HalfEEEZNS1_21segmented_reduce_implIS3_PKS6_PS6_PKlS6_N6hipcub16HIPCUB_304000_NS6detail27convert_result_type_wrapperISA_SB_N2at6native12_GLOBAL__N_19CustomMinEEEEE10hipError_tPvRmT0_T1_jT2_SS_T4_T3_P12ihipStream_tbEUlT_E_NS1_11comp_targetILNS1_3genE3ELNS1_11target_archE908ELNS1_3gpuE7ELNS1_3repE0EEENS1_30default_config_static_selectorELNS0_4arch9wavefront6targetE1EEEvSR_
	.p2align	8
	.type	_ZN7rocprim17ROCPRIM_400000_NS6detail17trampoline_kernelINS0_14default_configENS1_32segmented_reduce_config_selectorIN3c104HalfEEEZNS1_21segmented_reduce_implIS3_PKS6_PS6_PKlS6_N6hipcub16HIPCUB_304000_NS6detail27convert_result_type_wrapperISA_SB_N2at6native12_GLOBAL__N_19CustomMinEEEEE10hipError_tPvRmT0_T1_jT2_SS_T4_T3_P12ihipStream_tbEUlT_E_NS1_11comp_targetILNS1_3genE3ELNS1_11target_archE908ELNS1_3gpuE7ELNS1_3repE0EEENS1_30default_config_static_selectorELNS0_4arch9wavefront6targetE1EEEvSR_,@function
_ZN7rocprim17ROCPRIM_400000_NS6detail17trampoline_kernelINS0_14default_configENS1_32segmented_reduce_config_selectorIN3c104HalfEEEZNS1_21segmented_reduce_implIS3_PKS6_PS6_PKlS6_N6hipcub16HIPCUB_304000_NS6detail27convert_result_type_wrapperISA_SB_N2at6native12_GLOBAL__N_19CustomMinEEEEE10hipError_tPvRmT0_T1_jT2_SS_T4_T3_P12ihipStream_tbEUlT_E_NS1_11comp_targetILNS1_3genE3ELNS1_11target_archE908ELNS1_3gpuE7ELNS1_3repE0EEENS1_30default_config_static_selectorELNS0_4arch9wavefront6targetE1EEEvSR_: ; @_ZN7rocprim17ROCPRIM_400000_NS6detail17trampoline_kernelINS0_14default_configENS1_32segmented_reduce_config_selectorIN3c104HalfEEEZNS1_21segmented_reduce_implIS3_PKS6_PS6_PKlS6_N6hipcub16HIPCUB_304000_NS6detail27convert_result_type_wrapperISA_SB_N2at6native12_GLOBAL__N_19CustomMinEEEEE10hipError_tPvRmT0_T1_jT2_SS_T4_T3_P12ihipStream_tbEUlT_E_NS1_11comp_targetILNS1_3genE3ELNS1_11target_archE908ELNS1_3gpuE7ELNS1_3repE0EEENS1_30default_config_static_selectorELNS0_4arch9wavefront6targetE1EEEvSR_
; %bb.0:
	.section	.rodata,"a",@progbits
	.p2align	6, 0x0
	.amdhsa_kernel _ZN7rocprim17ROCPRIM_400000_NS6detail17trampoline_kernelINS0_14default_configENS1_32segmented_reduce_config_selectorIN3c104HalfEEEZNS1_21segmented_reduce_implIS3_PKS6_PS6_PKlS6_N6hipcub16HIPCUB_304000_NS6detail27convert_result_type_wrapperISA_SB_N2at6native12_GLOBAL__N_19CustomMinEEEEE10hipError_tPvRmT0_T1_jT2_SS_T4_T3_P12ihipStream_tbEUlT_E_NS1_11comp_targetILNS1_3genE3ELNS1_11target_archE908ELNS1_3gpuE7ELNS1_3repE0EEENS1_30default_config_static_selectorELNS0_4arch9wavefront6targetE1EEEvSR_
		.amdhsa_group_segment_fixed_size 0
		.amdhsa_private_segment_fixed_size 0
		.amdhsa_kernarg_size 48
		.amdhsa_user_sgpr_count 6
		.amdhsa_user_sgpr_private_segment_buffer 1
		.amdhsa_user_sgpr_dispatch_ptr 0
		.amdhsa_user_sgpr_queue_ptr 0
		.amdhsa_user_sgpr_kernarg_segment_ptr 1
		.amdhsa_user_sgpr_dispatch_id 0
		.amdhsa_user_sgpr_flat_scratch_init 0
		.amdhsa_user_sgpr_private_segment_size 0
		.amdhsa_uses_dynamic_stack 0
		.amdhsa_system_sgpr_private_segment_wavefront_offset 0
		.amdhsa_system_sgpr_workgroup_id_x 1
		.amdhsa_system_sgpr_workgroup_id_y 0
		.amdhsa_system_sgpr_workgroup_id_z 0
		.amdhsa_system_sgpr_workgroup_info 0
		.amdhsa_system_vgpr_workitem_id 0
		.amdhsa_next_free_vgpr 1
		.amdhsa_next_free_sgpr 0
		.amdhsa_reserve_vcc 0
		.amdhsa_reserve_flat_scratch 0
		.amdhsa_float_round_mode_32 0
		.amdhsa_float_round_mode_16_64 0
		.amdhsa_float_denorm_mode_32 3
		.amdhsa_float_denorm_mode_16_64 3
		.amdhsa_dx10_clamp 1
		.amdhsa_ieee_mode 1
		.amdhsa_fp16_overflow 0
		.amdhsa_exception_fp_ieee_invalid_op 0
		.amdhsa_exception_fp_denorm_src 0
		.amdhsa_exception_fp_ieee_div_zero 0
		.amdhsa_exception_fp_ieee_overflow 0
		.amdhsa_exception_fp_ieee_underflow 0
		.amdhsa_exception_fp_ieee_inexact 0
		.amdhsa_exception_int_div_zero 0
	.end_amdhsa_kernel
	.section	.text._ZN7rocprim17ROCPRIM_400000_NS6detail17trampoline_kernelINS0_14default_configENS1_32segmented_reduce_config_selectorIN3c104HalfEEEZNS1_21segmented_reduce_implIS3_PKS6_PS6_PKlS6_N6hipcub16HIPCUB_304000_NS6detail27convert_result_type_wrapperISA_SB_N2at6native12_GLOBAL__N_19CustomMinEEEEE10hipError_tPvRmT0_T1_jT2_SS_T4_T3_P12ihipStream_tbEUlT_E_NS1_11comp_targetILNS1_3genE3ELNS1_11target_archE908ELNS1_3gpuE7ELNS1_3repE0EEENS1_30default_config_static_selectorELNS0_4arch9wavefront6targetE1EEEvSR_,"axG",@progbits,_ZN7rocprim17ROCPRIM_400000_NS6detail17trampoline_kernelINS0_14default_configENS1_32segmented_reduce_config_selectorIN3c104HalfEEEZNS1_21segmented_reduce_implIS3_PKS6_PS6_PKlS6_N6hipcub16HIPCUB_304000_NS6detail27convert_result_type_wrapperISA_SB_N2at6native12_GLOBAL__N_19CustomMinEEEEE10hipError_tPvRmT0_T1_jT2_SS_T4_T3_P12ihipStream_tbEUlT_E_NS1_11comp_targetILNS1_3genE3ELNS1_11target_archE908ELNS1_3gpuE7ELNS1_3repE0EEENS1_30default_config_static_selectorELNS0_4arch9wavefront6targetE1EEEvSR_,comdat
.Lfunc_end234:
	.size	_ZN7rocprim17ROCPRIM_400000_NS6detail17trampoline_kernelINS0_14default_configENS1_32segmented_reduce_config_selectorIN3c104HalfEEEZNS1_21segmented_reduce_implIS3_PKS6_PS6_PKlS6_N6hipcub16HIPCUB_304000_NS6detail27convert_result_type_wrapperISA_SB_N2at6native12_GLOBAL__N_19CustomMinEEEEE10hipError_tPvRmT0_T1_jT2_SS_T4_T3_P12ihipStream_tbEUlT_E_NS1_11comp_targetILNS1_3genE3ELNS1_11target_archE908ELNS1_3gpuE7ELNS1_3repE0EEENS1_30default_config_static_selectorELNS0_4arch9wavefront6targetE1EEEvSR_, .Lfunc_end234-_ZN7rocprim17ROCPRIM_400000_NS6detail17trampoline_kernelINS0_14default_configENS1_32segmented_reduce_config_selectorIN3c104HalfEEEZNS1_21segmented_reduce_implIS3_PKS6_PS6_PKlS6_N6hipcub16HIPCUB_304000_NS6detail27convert_result_type_wrapperISA_SB_N2at6native12_GLOBAL__N_19CustomMinEEEEE10hipError_tPvRmT0_T1_jT2_SS_T4_T3_P12ihipStream_tbEUlT_E_NS1_11comp_targetILNS1_3genE3ELNS1_11target_archE908ELNS1_3gpuE7ELNS1_3repE0EEENS1_30default_config_static_selectorELNS0_4arch9wavefront6targetE1EEEvSR_
                                        ; -- End function
	.set _ZN7rocprim17ROCPRIM_400000_NS6detail17trampoline_kernelINS0_14default_configENS1_32segmented_reduce_config_selectorIN3c104HalfEEEZNS1_21segmented_reduce_implIS3_PKS6_PS6_PKlS6_N6hipcub16HIPCUB_304000_NS6detail27convert_result_type_wrapperISA_SB_N2at6native12_GLOBAL__N_19CustomMinEEEEE10hipError_tPvRmT0_T1_jT2_SS_T4_T3_P12ihipStream_tbEUlT_E_NS1_11comp_targetILNS1_3genE3ELNS1_11target_archE908ELNS1_3gpuE7ELNS1_3repE0EEENS1_30default_config_static_selectorELNS0_4arch9wavefront6targetE1EEEvSR_.num_vgpr, 0
	.set _ZN7rocprim17ROCPRIM_400000_NS6detail17trampoline_kernelINS0_14default_configENS1_32segmented_reduce_config_selectorIN3c104HalfEEEZNS1_21segmented_reduce_implIS3_PKS6_PS6_PKlS6_N6hipcub16HIPCUB_304000_NS6detail27convert_result_type_wrapperISA_SB_N2at6native12_GLOBAL__N_19CustomMinEEEEE10hipError_tPvRmT0_T1_jT2_SS_T4_T3_P12ihipStream_tbEUlT_E_NS1_11comp_targetILNS1_3genE3ELNS1_11target_archE908ELNS1_3gpuE7ELNS1_3repE0EEENS1_30default_config_static_selectorELNS0_4arch9wavefront6targetE1EEEvSR_.num_agpr, 0
	.set _ZN7rocprim17ROCPRIM_400000_NS6detail17trampoline_kernelINS0_14default_configENS1_32segmented_reduce_config_selectorIN3c104HalfEEEZNS1_21segmented_reduce_implIS3_PKS6_PS6_PKlS6_N6hipcub16HIPCUB_304000_NS6detail27convert_result_type_wrapperISA_SB_N2at6native12_GLOBAL__N_19CustomMinEEEEE10hipError_tPvRmT0_T1_jT2_SS_T4_T3_P12ihipStream_tbEUlT_E_NS1_11comp_targetILNS1_3genE3ELNS1_11target_archE908ELNS1_3gpuE7ELNS1_3repE0EEENS1_30default_config_static_selectorELNS0_4arch9wavefront6targetE1EEEvSR_.numbered_sgpr, 0
	.set _ZN7rocprim17ROCPRIM_400000_NS6detail17trampoline_kernelINS0_14default_configENS1_32segmented_reduce_config_selectorIN3c104HalfEEEZNS1_21segmented_reduce_implIS3_PKS6_PS6_PKlS6_N6hipcub16HIPCUB_304000_NS6detail27convert_result_type_wrapperISA_SB_N2at6native12_GLOBAL__N_19CustomMinEEEEE10hipError_tPvRmT0_T1_jT2_SS_T4_T3_P12ihipStream_tbEUlT_E_NS1_11comp_targetILNS1_3genE3ELNS1_11target_archE908ELNS1_3gpuE7ELNS1_3repE0EEENS1_30default_config_static_selectorELNS0_4arch9wavefront6targetE1EEEvSR_.num_named_barrier, 0
	.set _ZN7rocprim17ROCPRIM_400000_NS6detail17trampoline_kernelINS0_14default_configENS1_32segmented_reduce_config_selectorIN3c104HalfEEEZNS1_21segmented_reduce_implIS3_PKS6_PS6_PKlS6_N6hipcub16HIPCUB_304000_NS6detail27convert_result_type_wrapperISA_SB_N2at6native12_GLOBAL__N_19CustomMinEEEEE10hipError_tPvRmT0_T1_jT2_SS_T4_T3_P12ihipStream_tbEUlT_E_NS1_11comp_targetILNS1_3genE3ELNS1_11target_archE908ELNS1_3gpuE7ELNS1_3repE0EEENS1_30default_config_static_selectorELNS0_4arch9wavefront6targetE1EEEvSR_.private_seg_size, 0
	.set _ZN7rocprim17ROCPRIM_400000_NS6detail17trampoline_kernelINS0_14default_configENS1_32segmented_reduce_config_selectorIN3c104HalfEEEZNS1_21segmented_reduce_implIS3_PKS6_PS6_PKlS6_N6hipcub16HIPCUB_304000_NS6detail27convert_result_type_wrapperISA_SB_N2at6native12_GLOBAL__N_19CustomMinEEEEE10hipError_tPvRmT0_T1_jT2_SS_T4_T3_P12ihipStream_tbEUlT_E_NS1_11comp_targetILNS1_3genE3ELNS1_11target_archE908ELNS1_3gpuE7ELNS1_3repE0EEENS1_30default_config_static_selectorELNS0_4arch9wavefront6targetE1EEEvSR_.uses_vcc, 0
	.set _ZN7rocprim17ROCPRIM_400000_NS6detail17trampoline_kernelINS0_14default_configENS1_32segmented_reduce_config_selectorIN3c104HalfEEEZNS1_21segmented_reduce_implIS3_PKS6_PS6_PKlS6_N6hipcub16HIPCUB_304000_NS6detail27convert_result_type_wrapperISA_SB_N2at6native12_GLOBAL__N_19CustomMinEEEEE10hipError_tPvRmT0_T1_jT2_SS_T4_T3_P12ihipStream_tbEUlT_E_NS1_11comp_targetILNS1_3genE3ELNS1_11target_archE908ELNS1_3gpuE7ELNS1_3repE0EEENS1_30default_config_static_selectorELNS0_4arch9wavefront6targetE1EEEvSR_.uses_flat_scratch, 0
	.set _ZN7rocprim17ROCPRIM_400000_NS6detail17trampoline_kernelINS0_14default_configENS1_32segmented_reduce_config_selectorIN3c104HalfEEEZNS1_21segmented_reduce_implIS3_PKS6_PS6_PKlS6_N6hipcub16HIPCUB_304000_NS6detail27convert_result_type_wrapperISA_SB_N2at6native12_GLOBAL__N_19CustomMinEEEEE10hipError_tPvRmT0_T1_jT2_SS_T4_T3_P12ihipStream_tbEUlT_E_NS1_11comp_targetILNS1_3genE3ELNS1_11target_archE908ELNS1_3gpuE7ELNS1_3repE0EEENS1_30default_config_static_selectorELNS0_4arch9wavefront6targetE1EEEvSR_.has_dyn_sized_stack, 0
	.set _ZN7rocprim17ROCPRIM_400000_NS6detail17trampoline_kernelINS0_14default_configENS1_32segmented_reduce_config_selectorIN3c104HalfEEEZNS1_21segmented_reduce_implIS3_PKS6_PS6_PKlS6_N6hipcub16HIPCUB_304000_NS6detail27convert_result_type_wrapperISA_SB_N2at6native12_GLOBAL__N_19CustomMinEEEEE10hipError_tPvRmT0_T1_jT2_SS_T4_T3_P12ihipStream_tbEUlT_E_NS1_11comp_targetILNS1_3genE3ELNS1_11target_archE908ELNS1_3gpuE7ELNS1_3repE0EEENS1_30default_config_static_selectorELNS0_4arch9wavefront6targetE1EEEvSR_.has_recursion, 0
	.set _ZN7rocprim17ROCPRIM_400000_NS6detail17trampoline_kernelINS0_14default_configENS1_32segmented_reduce_config_selectorIN3c104HalfEEEZNS1_21segmented_reduce_implIS3_PKS6_PS6_PKlS6_N6hipcub16HIPCUB_304000_NS6detail27convert_result_type_wrapperISA_SB_N2at6native12_GLOBAL__N_19CustomMinEEEEE10hipError_tPvRmT0_T1_jT2_SS_T4_T3_P12ihipStream_tbEUlT_E_NS1_11comp_targetILNS1_3genE3ELNS1_11target_archE908ELNS1_3gpuE7ELNS1_3repE0EEENS1_30default_config_static_selectorELNS0_4arch9wavefront6targetE1EEEvSR_.has_indirect_call, 0
	.section	.AMDGPU.csdata,"",@progbits
; Kernel info:
; codeLenInByte = 0
; TotalNumSgprs: 4
; NumVgprs: 0
; ScratchSize: 0
; MemoryBound: 0
; FloatMode: 240
; IeeeMode: 1
; LDSByteSize: 0 bytes/workgroup (compile time only)
; SGPRBlocks: 0
; VGPRBlocks: 0
; NumSGPRsForWavesPerEU: 4
; NumVGPRsForWavesPerEU: 1
; Occupancy: 10
; WaveLimiterHint : 0
; COMPUTE_PGM_RSRC2:SCRATCH_EN: 0
; COMPUTE_PGM_RSRC2:USER_SGPR: 6
; COMPUTE_PGM_RSRC2:TRAP_HANDLER: 0
; COMPUTE_PGM_RSRC2:TGID_X_EN: 1
; COMPUTE_PGM_RSRC2:TGID_Y_EN: 0
; COMPUTE_PGM_RSRC2:TGID_Z_EN: 0
; COMPUTE_PGM_RSRC2:TIDIG_COMP_CNT: 0
	.section	.text._ZN7rocprim17ROCPRIM_400000_NS6detail17trampoline_kernelINS0_14default_configENS1_32segmented_reduce_config_selectorIN3c104HalfEEEZNS1_21segmented_reduce_implIS3_PKS6_PS6_PKlS6_N6hipcub16HIPCUB_304000_NS6detail27convert_result_type_wrapperISA_SB_N2at6native12_GLOBAL__N_19CustomMinEEEEE10hipError_tPvRmT0_T1_jT2_SS_T4_T3_P12ihipStream_tbEUlT_E_NS1_11comp_targetILNS1_3genE2ELNS1_11target_archE906ELNS1_3gpuE6ELNS1_3repE0EEENS1_30default_config_static_selectorELNS0_4arch9wavefront6targetE1EEEvSR_,"axG",@progbits,_ZN7rocprim17ROCPRIM_400000_NS6detail17trampoline_kernelINS0_14default_configENS1_32segmented_reduce_config_selectorIN3c104HalfEEEZNS1_21segmented_reduce_implIS3_PKS6_PS6_PKlS6_N6hipcub16HIPCUB_304000_NS6detail27convert_result_type_wrapperISA_SB_N2at6native12_GLOBAL__N_19CustomMinEEEEE10hipError_tPvRmT0_T1_jT2_SS_T4_T3_P12ihipStream_tbEUlT_E_NS1_11comp_targetILNS1_3genE2ELNS1_11target_archE906ELNS1_3gpuE6ELNS1_3repE0EEENS1_30default_config_static_selectorELNS0_4arch9wavefront6targetE1EEEvSR_,comdat
	.globl	_ZN7rocprim17ROCPRIM_400000_NS6detail17trampoline_kernelINS0_14default_configENS1_32segmented_reduce_config_selectorIN3c104HalfEEEZNS1_21segmented_reduce_implIS3_PKS6_PS6_PKlS6_N6hipcub16HIPCUB_304000_NS6detail27convert_result_type_wrapperISA_SB_N2at6native12_GLOBAL__N_19CustomMinEEEEE10hipError_tPvRmT0_T1_jT2_SS_T4_T3_P12ihipStream_tbEUlT_E_NS1_11comp_targetILNS1_3genE2ELNS1_11target_archE906ELNS1_3gpuE6ELNS1_3repE0EEENS1_30default_config_static_selectorELNS0_4arch9wavefront6targetE1EEEvSR_ ; -- Begin function _ZN7rocprim17ROCPRIM_400000_NS6detail17trampoline_kernelINS0_14default_configENS1_32segmented_reduce_config_selectorIN3c104HalfEEEZNS1_21segmented_reduce_implIS3_PKS6_PS6_PKlS6_N6hipcub16HIPCUB_304000_NS6detail27convert_result_type_wrapperISA_SB_N2at6native12_GLOBAL__N_19CustomMinEEEEE10hipError_tPvRmT0_T1_jT2_SS_T4_T3_P12ihipStream_tbEUlT_E_NS1_11comp_targetILNS1_3genE2ELNS1_11target_archE906ELNS1_3gpuE6ELNS1_3repE0EEENS1_30default_config_static_selectorELNS0_4arch9wavefront6targetE1EEEvSR_
	.p2align	8
	.type	_ZN7rocprim17ROCPRIM_400000_NS6detail17trampoline_kernelINS0_14default_configENS1_32segmented_reduce_config_selectorIN3c104HalfEEEZNS1_21segmented_reduce_implIS3_PKS6_PS6_PKlS6_N6hipcub16HIPCUB_304000_NS6detail27convert_result_type_wrapperISA_SB_N2at6native12_GLOBAL__N_19CustomMinEEEEE10hipError_tPvRmT0_T1_jT2_SS_T4_T3_P12ihipStream_tbEUlT_E_NS1_11comp_targetILNS1_3genE2ELNS1_11target_archE906ELNS1_3gpuE6ELNS1_3repE0EEENS1_30default_config_static_selectorELNS0_4arch9wavefront6targetE1EEEvSR_,@function
_ZN7rocprim17ROCPRIM_400000_NS6detail17trampoline_kernelINS0_14default_configENS1_32segmented_reduce_config_selectorIN3c104HalfEEEZNS1_21segmented_reduce_implIS3_PKS6_PS6_PKlS6_N6hipcub16HIPCUB_304000_NS6detail27convert_result_type_wrapperISA_SB_N2at6native12_GLOBAL__N_19CustomMinEEEEE10hipError_tPvRmT0_T1_jT2_SS_T4_T3_P12ihipStream_tbEUlT_E_NS1_11comp_targetILNS1_3genE2ELNS1_11target_archE906ELNS1_3gpuE6ELNS1_3repE0EEENS1_30default_config_static_selectorELNS0_4arch9wavefront6targetE1EEEvSR_: ; @_ZN7rocprim17ROCPRIM_400000_NS6detail17trampoline_kernelINS0_14default_configENS1_32segmented_reduce_config_selectorIN3c104HalfEEEZNS1_21segmented_reduce_implIS3_PKS6_PS6_PKlS6_N6hipcub16HIPCUB_304000_NS6detail27convert_result_type_wrapperISA_SB_N2at6native12_GLOBAL__N_19CustomMinEEEEE10hipError_tPvRmT0_T1_jT2_SS_T4_T3_P12ihipStream_tbEUlT_E_NS1_11comp_targetILNS1_3genE2ELNS1_11target_archE906ELNS1_3gpuE6ELNS1_3repE0EEENS1_30default_config_static_selectorELNS0_4arch9wavefront6targetE1EEEvSR_
; %bb.0:
	s_load_dword s2, s[4:5], 0x28
	s_load_dwordx8 s[36:43], s[4:5], 0x0
	s_load_dwordx2 s[0:1], s[4:5], 0x20
	s_mov_b32 s7, 0
	s_waitcnt lgkmcnt(0)
	s_lshr_b32 s33, s2, 16
	s_lshl_b64 s[2:3], s[40:41], 3
	s_add_u32 s4, s42, s2
	s_addc_u32 s5, s43, s3
	s_add_u32 s8, s0, s2
	s_addc_u32 s9, s1, s3
	s_lshl_b64 s[0:1], s[6:7], 3
	s_add_u32 s2, s4, s0
	s_addc_u32 s3, s5, s1
	s_load_dwordx2 s[44:45], s[2:3], 0x0
	s_add_u32 s0, s8, s0
	s_addc_u32 s1, s9, s1
	s_load_dwordx2 s[42:43], s[0:1], 0x0
	v_cmp_eq_u32_e64 s[0:1], 0, v0
	s_waitcnt lgkmcnt(0)
	v_mov_b32_e32 v1, s44
	v_mov_b32_e32 v2, s45
	v_cmp_gt_i64_e32 vcc, s[42:43], v[1:2]
	s_cbranch_vccnz .LBB235_3
; %bb.1:
	s_and_b64 s[34:35], s[0:1], exec
	s_cbranch_execz .LBB235_4
; %bb.2:
	v_mov_b32_e32 v1, s33
	s_and_saveexec_b64 s[0:1], s[34:35]
	s_cbranch_execnz .LBB235_409
	s_branch .LBB235_410
.LBB235_3:
	s_mov_b64 s[34:35], 0
.LBB235_4:
	s_add_u32 s0, s44, 0x1000
	v_mov_b32_e32 v1, s42
	s_addc_u32 s1, s45, 0
	v_mov_b32_e32 v2, s43
	v_cmp_le_i64_e32 vcc, s[0:1], v[1:2]
	s_cbranch_vccz .LBB235_20
; %bb.5:
	s_lshl_b64 s[2:3], s[44:45], 1
	s_add_u32 s4, s36, s2
	s_addc_u32 s5, s37, s3
	v_lshlrev_b32_e32 v20, 1, v0
	v_mov_b32_e32 v1, s5
	v_add_co_u32_e32 v2, vcc, s4, v20
	v_addc_co_u32_e32 v3, vcc, 0, v1, vcc
	v_add_co_u32_e32 v1, vcc, 0x1000, v2
	v_addc_co_u32_e32 v2, vcc, 0, v3, vcc
	global_load_ushort v19, v20, s[4:5]
	global_load_ushort v18, v20, s[4:5] offset:512
	global_load_ushort v17, v20, s[4:5] offset:1024
	;; [unrolled: 1-line block ×7, first 2 shown]
	global_load_ushort v10, v[1:2], off
	global_load_ushort v9, v[1:2], off offset:512
	global_load_ushort v8, v[1:2], off offset:1024
	;; [unrolled: 1-line block ×7, first 2 shown]
	s_waitcnt vmcnt(15)
	v_cmp_o_f16_e32 vcc, v19, v19
	v_mov_b32_e32 v11, v19
	s_and_saveexec_b64 s[4:5], vcc
	s_cbranch_execnz .LBB235_21
; %bb.6:
	s_or_b64 exec, exec, s[4:5]
	v_cmp_o_f16_e32 vcc, v11, v11
	s_and_saveexec_b64 s[4:5], vcc
	s_cbranch_execnz .LBB235_24
.LBB235_7:
	s_or_b64 exec, exec, s[4:5]
	v_cmp_o_f16_e32 vcc, v11, v11
	s_and_saveexec_b64 s[4:5], vcc
	s_cbranch_execnz .LBB235_27
.LBB235_8:
	s_or_b64 exec, exec, s[4:5]
	v_cmp_o_f16_e32 vcc, v11, v11
	s_and_saveexec_b64 s[4:5], vcc
	s_cbranch_execnz .LBB235_30
.LBB235_9:
	s_or_b64 exec, exec, s[4:5]
	v_cmp_o_f16_e32 vcc, v11, v11
	s_and_saveexec_b64 s[4:5], vcc
	s_cbranch_execnz .LBB235_33
.LBB235_10:
	s_or_b64 exec, exec, s[4:5]
	v_cmp_o_f16_e32 vcc, v11, v11
	s_and_saveexec_b64 s[4:5], vcc
	s_cbranch_execnz .LBB235_36
.LBB235_11:
	s_or_b64 exec, exec, s[4:5]
	v_cmp_o_f16_e32 vcc, v11, v11
	s_and_saveexec_b64 s[4:5], vcc
	s_cbranch_execnz .LBB235_39
.LBB235_12:
	s_or_b64 exec, exec, s[4:5]
	v_cmp_o_f16_e32 vcc, v11, v11
	s_and_saveexec_b64 s[4:5], vcc
	s_cbranch_execnz .LBB235_42
.LBB235_13:
	s_or_b64 exec, exec, s[4:5]
	v_cmp_o_f16_e32 vcc, v11, v11
	s_and_saveexec_b64 s[4:5], vcc
	s_cbranch_execnz .LBB235_45
.LBB235_14:
	s_or_b64 exec, exec, s[4:5]
	v_cmp_o_f16_e32 vcc, v11, v11
	s_and_saveexec_b64 s[4:5], vcc
	s_cbranch_execnz .LBB235_48
.LBB235_15:
	s_or_b64 exec, exec, s[4:5]
	v_cmp_o_f16_e32 vcc, v11, v11
	s_and_saveexec_b64 s[4:5], vcc
	s_cbranch_execnz .LBB235_51
.LBB235_16:
	s_or_b64 exec, exec, s[4:5]
	v_cmp_o_f16_e32 vcc, v11, v11
	s_and_saveexec_b64 s[4:5], vcc
	s_cbranch_execnz .LBB235_54
.LBB235_17:
	s_or_b64 exec, exec, s[4:5]
	v_cmp_o_f16_e32 vcc, v11, v11
	s_and_saveexec_b64 s[4:5], vcc
	s_cbranch_execnz .LBB235_57
.LBB235_18:
	s_or_b64 exec, exec, s[4:5]
	v_cmp_o_f16_e32 vcc, v11, v11
	s_and_saveexec_b64 s[4:5], vcc
	s_cbranch_execnz .LBB235_60
.LBB235_19:
	s_or_b64 exec, exec, s[4:5]
	v_cmp_o_f16_e32 vcc, v11, v11
	s_and_saveexec_b64 s[4:5], vcc
	s_cbranch_execnz .LBB235_63
	s_branch .LBB235_66
.LBB235_20:
                                        ; implicit-def: $vgpr3
	s_cbranch_execnz .LBB235_300
	s_branch .LBB235_402
.LBB235_21:
	s_waitcnt vmcnt(14)
	v_cmp_o_f16_e32 vcc, v18, v18
	v_mov_b32_e32 v11, v18
	s_and_saveexec_b64 s[8:9], vcc
; %bb.22:
	v_cmp_lt_f16_e32 vcc, v18, v19
	v_cndmask_b32_e32 v11, v19, v18, vcc
; %bb.23:
	s_or_b64 exec, exec, s[8:9]
	s_or_b64 exec, exec, s[4:5]
	v_cmp_o_f16_e32 vcc, v11, v11
	s_and_saveexec_b64 s[4:5], vcc
	s_cbranch_execz .LBB235_7
.LBB235_24:
	s_waitcnt vmcnt(13)
	v_cmp_o_f16_e32 vcc, v17, v17
	v_mov_b32_e32 v1, v17
	s_and_saveexec_b64 s[8:9], vcc
; %bb.25:
	v_cmp_gt_f16_e32 vcc, v11, v17
	v_cndmask_b32_e32 v1, v11, v17, vcc
; %bb.26:
	s_or_b64 exec, exec, s[8:9]
	v_mov_b32_e32 v11, v1
	s_or_b64 exec, exec, s[4:5]
	v_cmp_o_f16_e32 vcc, v11, v11
	s_and_saveexec_b64 s[4:5], vcc
	s_cbranch_execz .LBB235_8
.LBB235_27:
	s_waitcnt vmcnt(12)
	v_cmp_o_f16_e32 vcc, v16, v16
	v_mov_b32_e32 v1, v16
	s_and_saveexec_b64 s[8:9], vcc
; %bb.28:
	v_cmp_gt_f16_e32 vcc, v11, v16
	v_cndmask_b32_e32 v1, v11, v16, vcc
; %bb.29:
	s_or_b64 exec, exec, s[8:9]
	v_mov_b32_e32 v11, v1
	s_or_b64 exec, exec, s[4:5]
	v_cmp_o_f16_e32 vcc, v11, v11
	s_and_saveexec_b64 s[4:5], vcc
	s_cbranch_execz .LBB235_9
.LBB235_30:
	s_waitcnt vmcnt(11)
	v_cmp_o_f16_e32 vcc, v15, v15
	v_mov_b32_e32 v1, v15
	s_and_saveexec_b64 s[8:9], vcc
; %bb.31:
	v_cmp_gt_f16_e32 vcc, v11, v15
	v_cndmask_b32_e32 v1, v11, v15, vcc
; %bb.32:
	s_or_b64 exec, exec, s[8:9]
	v_mov_b32_e32 v11, v1
	s_or_b64 exec, exec, s[4:5]
	v_cmp_o_f16_e32 vcc, v11, v11
	s_and_saveexec_b64 s[4:5], vcc
	s_cbranch_execz .LBB235_10
.LBB235_33:
	s_waitcnt vmcnt(10)
	v_cmp_o_f16_e32 vcc, v14, v14
	v_mov_b32_e32 v1, v14
	s_and_saveexec_b64 s[8:9], vcc
; %bb.34:
	v_cmp_gt_f16_e32 vcc, v11, v14
	v_cndmask_b32_e32 v1, v11, v14, vcc
; %bb.35:
	s_or_b64 exec, exec, s[8:9]
	v_mov_b32_e32 v11, v1
	s_or_b64 exec, exec, s[4:5]
	v_cmp_o_f16_e32 vcc, v11, v11
	s_and_saveexec_b64 s[4:5], vcc
	s_cbranch_execz .LBB235_11
.LBB235_36:
	s_waitcnt vmcnt(9)
	v_cmp_o_f16_e32 vcc, v13, v13
	v_mov_b32_e32 v1, v13
	s_and_saveexec_b64 s[8:9], vcc
; %bb.37:
	v_cmp_gt_f16_e32 vcc, v11, v13
	v_cndmask_b32_e32 v1, v11, v13, vcc
; %bb.38:
	s_or_b64 exec, exec, s[8:9]
	v_mov_b32_e32 v11, v1
	s_or_b64 exec, exec, s[4:5]
	v_cmp_o_f16_e32 vcc, v11, v11
	s_and_saveexec_b64 s[4:5], vcc
	s_cbranch_execz .LBB235_12
.LBB235_39:
	s_waitcnt vmcnt(8)
	v_cmp_o_f16_e32 vcc, v12, v12
	v_mov_b32_e32 v1, v12
	s_and_saveexec_b64 s[8:9], vcc
; %bb.40:
	v_cmp_gt_f16_e32 vcc, v11, v12
	v_cndmask_b32_e32 v1, v11, v12, vcc
; %bb.41:
	s_or_b64 exec, exec, s[8:9]
	v_mov_b32_e32 v11, v1
	s_or_b64 exec, exec, s[4:5]
	v_cmp_o_f16_e32 vcc, v11, v11
	s_and_saveexec_b64 s[4:5], vcc
	s_cbranch_execz .LBB235_13
.LBB235_42:
	s_waitcnt vmcnt(7)
	v_cmp_o_f16_e32 vcc, v10, v10
	v_mov_b32_e32 v1, v10
	s_and_saveexec_b64 s[8:9], vcc
; %bb.43:
	v_cmp_gt_f16_e32 vcc, v11, v10
	v_cndmask_b32_e32 v1, v11, v10, vcc
; %bb.44:
	s_or_b64 exec, exec, s[8:9]
	v_mov_b32_e32 v11, v1
	s_or_b64 exec, exec, s[4:5]
	v_cmp_o_f16_e32 vcc, v11, v11
	s_and_saveexec_b64 s[4:5], vcc
	s_cbranch_execz .LBB235_14
.LBB235_45:
	s_waitcnt vmcnt(6)
	v_cmp_o_f16_e32 vcc, v9, v9
	v_mov_b32_e32 v1, v9
	s_and_saveexec_b64 s[8:9], vcc
; %bb.46:
	v_cmp_gt_f16_e32 vcc, v11, v9
	v_cndmask_b32_e32 v1, v11, v9, vcc
; %bb.47:
	s_or_b64 exec, exec, s[8:9]
	v_mov_b32_e32 v11, v1
	s_or_b64 exec, exec, s[4:5]
	v_cmp_o_f16_e32 vcc, v11, v11
	s_and_saveexec_b64 s[4:5], vcc
	s_cbranch_execz .LBB235_15
.LBB235_48:
	s_waitcnt vmcnt(5)
	v_cmp_o_f16_e32 vcc, v8, v8
	v_mov_b32_e32 v1, v8
	s_and_saveexec_b64 s[8:9], vcc
; %bb.49:
	v_cmp_gt_f16_e32 vcc, v11, v8
	v_cndmask_b32_e32 v1, v11, v8, vcc
; %bb.50:
	s_or_b64 exec, exec, s[8:9]
	v_mov_b32_e32 v11, v1
	s_or_b64 exec, exec, s[4:5]
	v_cmp_o_f16_e32 vcc, v11, v11
	s_and_saveexec_b64 s[4:5], vcc
	s_cbranch_execz .LBB235_16
.LBB235_51:
	s_waitcnt vmcnt(4)
	v_cmp_o_f16_e32 vcc, v7, v7
	v_mov_b32_e32 v1, v7
	s_and_saveexec_b64 s[8:9], vcc
; %bb.52:
	v_cmp_gt_f16_e32 vcc, v11, v7
	v_cndmask_b32_e32 v1, v11, v7, vcc
; %bb.53:
	s_or_b64 exec, exec, s[8:9]
	v_mov_b32_e32 v11, v1
	s_or_b64 exec, exec, s[4:5]
	v_cmp_o_f16_e32 vcc, v11, v11
	s_and_saveexec_b64 s[4:5], vcc
	s_cbranch_execz .LBB235_17
.LBB235_54:
	s_waitcnt vmcnt(3)
	v_cmp_o_f16_e32 vcc, v6, v6
	v_mov_b32_e32 v1, v6
	s_and_saveexec_b64 s[8:9], vcc
; %bb.55:
	v_cmp_gt_f16_e32 vcc, v11, v6
	v_cndmask_b32_e32 v1, v11, v6, vcc
; %bb.56:
	s_or_b64 exec, exec, s[8:9]
	v_mov_b32_e32 v11, v1
	s_or_b64 exec, exec, s[4:5]
	v_cmp_o_f16_e32 vcc, v11, v11
	s_and_saveexec_b64 s[4:5], vcc
	s_cbranch_execz .LBB235_18
.LBB235_57:
	s_waitcnt vmcnt(2)
	v_cmp_o_f16_e32 vcc, v5, v5
	v_mov_b32_e32 v1, v5
	s_and_saveexec_b64 s[8:9], vcc
; %bb.58:
	v_cmp_gt_f16_e32 vcc, v11, v5
	v_cndmask_b32_e32 v1, v11, v5, vcc
; %bb.59:
	s_or_b64 exec, exec, s[8:9]
	v_mov_b32_e32 v11, v1
	s_or_b64 exec, exec, s[4:5]
	v_cmp_o_f16_e32 vcc, v11, v11
	s_and_saveexec_b64 s[4:5], vcc
	s_cbranch_execz .LBB235_19
.LBB235_60:
	s_waitcnt vmcnt(1)
	v_cmp_o_f16_e32 vcc, v4, v4
	v_mov_b32_e32 v1, v4
	s_and_saveexec_b64 s[8:9], vcc
; %bb.61:
	v_cmp_gt_f16_e32 vcc, v11, v4
	v_cndmask_b32_e32 v1, v11, v4, vcc
; %bb.62:
	s_or_b64 exec, exec, s[8:9]
	v_mov_b32_e32 v11, v1
	s_or_b64 exec, exec, s[4:5]
	v_cmp_o_f16_e32 vcc, v11, v11
	s_and_saveexec_b64 s[4:5], vcc
	s_cbranch_execz .LBB235_66
.LBB235_63:
	s_waitcnt vmcnt(0)
	v_cmp_o_f16_e32 vcc, v3, v3
	v_mov_b32_e32 v1, v3
	s_and_saveexec_b64 s[8:9], vcc
; %bb.64:
	v_cmp_gt_f16_e32 vcc, v11, v3
	v_cndmask_b32_e32 v1, v11, v3, vcc
; %bb.65:
	s_or_b64 exec, exec, s[8:9]
	v_mov_b32_e32 v11, v1
.LBB235_66:
	s_or_b64 exec, exec, s[4:5]
	s_add_u32 s4, s44, 0x2000
	v_mov_b32_e32 v1, s42
	s_addc_u32 s5, s45, 0
	v_mov_b32_e32 v2, s43
	v_cmp_ge_i64_e32 vcc, s[4:5], v[1:2]
	s_cbranch_vccnz .LBB235_134
; %bb.67:
	s_add_u32 s2, s36, s2
	s_addc_u32 s3, s37, s3
	v_mov_b32_e32 v1, s3
	v_add_co_u32_e32 v2, vcc, s2, v20
	s_waitcnt vmcnt(0)
	v_addc_co_u32_e32 v3, vcc, 0, v1, vcc
	v_add_co_u32_e32 v1, vcc, 0x2000, v2
	v_addc_co_u32_e32 v2, vcc, 0, v3, vcc
.LBB235_68:                             ; =>This Inner Loop Header: Depth=1
	v_add_co_u32_e32 v21, vcc, 0x1000, v1
	v_addc_co_u32_e32 v22, vcc, 0, v2, vcc
	global_load_ushort v19, v[1:2], off
	global_load_ushort v18, v[1:2], off offset:512
	global_load_ushort v17, v[1:2], off offset:1024
	;; [unrolled: 1-line block ×7, first 2 shown]
	global_load_ushort v10, v[21:22], off
	global_load_ushort v9, v[21:22], off offset:512
	global_load_ushort v8, v[21:22], off offset:1024
	;; [unrolled: 1-line block ×7, first 2 shown]
	v_cmp_o_f16_e32 vcc, v11, v11
	v_mov_b32_e32 v21, v11
	s_and_saveexec_b64 s[2:3], vcc
	s_cbranch_execnz .LBB235_84
; %bb.69:                               ;   in Loop: Header=BB235_68 Depth=1
	s_or_b64 exec, exec, s[2:3]
	v_cmp_o_f16_e32 vcc, v21, v21
	s_and_saveexec_b64 s[2:3], vcc
	s_cbranch_execnz .LBB235_87
.LBB235_70:                             ;   in Loop: Header=BB235_68 Depth=1
	s_or_b64 exec, exec, s[2:3]
	v_cmp_o_f16_e32 vcc, v21, v21
	s_and_saveexec_b64 s[2:3], vcc
	s_cbranch_execnz .LBB235_90
.LBB235_71:                             ;   in Loop: Header=BB235_68 Depth=1
	s_or_b64 exec, exec, s[2:3]
	v_cmp_o_f16_e32 vcc, v21, v21
	s_and_saveexec_b64 s[2:3], vcc
	s_cbranch_execnz .LBB235_93
.LBB235_72:                             ;   in Loop: Header=BB235_68 Depth=1
	s_or_b64 exec, exec, s[2:3]
	v_cmp_o_f16_e32 vcc, v21, v21
	s_and_saveexec_b64 s[2:3], vcc
	s_cbranch_execnz .LBB235_96
.LBB235_73:                             ;   in Loop: Header=BB235_68 Depth=1
	s_or_b64 exec, exec, s[2:3]
	v_cmp_o_f16_e32 vcc, v21, v21
	s_and_saveexec_b64 s[2:3], vcc
	s_cbranch_execnz .LBB235_99
.LBB235_74:                             ;   in Loop: Header=BB235_68 Depth=1
	s_or_b64 exec, exec, s[2:3]
	v_cmp_o_f16_e32 vcc, v21, v21
	s_and_saveexec_b64 s[2:3], vcc
	s_cbranch_execnz .LBB235_102
.LBB235_75:                             ;   in Loop: Header=BB235_68 Depth=1
	s_or_b64 exec, exec, s[2:3]
	v_cmp_o_f16_e32 vcc, v21, v21
	s_and_saveexec_b64 s[2:3], vcc
	s_cbranch_execnz .LBB235_105
.LBB235_76:                             ;   in Loop: Header=BB235_68 Depth=1
	s_or_b64 exec, exec, s[2:3]
	v_cmp_o_f16_e32 vcc, v21, v21
	s_and_saveexec_b64 s[2:3], vcc
	s_cbranch_execnz .LBB235_108
.LBB235_77:                             ;   in Loop: Header=BB235_68 Depth=1
	s_or_b64 exec, exec, s[2:3]
	v_cmp_o_f16_e32 vcc, v21, v21
	s_and_saveexec_b64 s[2:3], vcc
	s_cbranch_execnz .LBB235_111
.LBB235_78:                             ;   in Loop: Header=BB235_68 Depth=1
	s_or_b64 exec, exec, s[2:3]
	v_cmp_o_f16_e32 vcc, v21, v21
	s_and_saveexec_b64 s[2:3], vcc
	s_cbranch_execnz .LBB235_114
.LBB235_79:                             ;   in Loop: Header=BB235_68 Depth=1
	s_or_b64 exec, exec, s[2:3]
	v_cmp_o_f16_e32 vcc, v21, v21
	s_and_saveexec_b64 s[2:3], vcc
	s_cbranch_execnz .LBB235_117
.LBB235_80:                             ;   in Loop: Header=BB235_68 Depth=1
	s_or_b64 exec, exec, s[2:3]
	v_cmp_o_f16_e32 vcc, v21, v21
	s_and_saveexec_b64 s[2:3], vcc
	s_cbranch_execnz .LBB235_120
.LBB235_81:                             ;   in Loop: Header=BB235_68 Depth=1
	s_or_b64 exec, exec, s[2:3]
	v_cmp_o_f16_e32 vcc, v21, v21
	s_and_saveexec_b64 s[2:3], vcc
	s_cbranch_execnz .LBB235_123
.LBB235_82:                             ;   in Loop: Header=BB235_68 Depth=1
	s_or_b64 exec, exec, s[2:3]
	v_cmp_o_f16_e32 vcc, v21, v21
	s_and_saveexec_b64 s[2:3], vcc
	s_cbranch_execnz .LBB235_126
.LBB235_83:                             ;   in Loop: Header=BB235_68 Depth=1
	s_or_b64 exec, exec, s[2:3]
	v_cmp_o_f16_e32 vcc, v21, v21
	s_and_saveexec_b64 s[2:3], vcc
	s_cbranch_execnz .LBB235_129
	s_branch .LBB235_132
.LBB235_84:                             ;   in Loop: Header=BB235_68 Depth=1
	s_waitcnt vmcnt(15)
	v_cmp_o_f16_e32 vcc, v19, v19
	v_mov_b32_e32 v21, v19
	s_and_saveexec_b64 s[4:5], vcc
; %bb.85:                               ;   in Loop: Header=BB235_68 Depth=1
	v_cmp_lt_f16_e32 vcc, v19, v11
	v_cndmask_b32_e32 v21, v11, v19, vcc
; %bb.86:                               ;   in Loop: Header=BB235_68 Depth=1
	s_or_b64 exec, exec, s[4:5]
	v_mov_b32_e32 v11, v21
	s_or_b64 exec, exec, s[2:3]
	v_cmp_o_f16_e32 vcc, v21, v21
	s_and_saveexec_b64 s[2:3], vcc
	s_cbranch_execz .LBB235_70
.LBB235_87:                             ;   in Loop: Header=BB235_68 Depth=1
	s_waitcnt vmcnt(14)
	v_cmp_o_f16_e32 vcc, v18, v18
	v_mov_b32_e32 v22, v18
	s_and_saveexec_b64 s[4:5], vcc
; %bb.88:                               ;   in Loop: Header=BB235_68 Depth=1
	v_cmp_gt_f16_e32 vcc, v21, v18
	v_cndmask_b32_e32 v22, v11, v18, vcc
; %bb.89:                               ;   in Loop: Header=BB235_68 Depth=1
	s_or_b64 exec, exec, s[4:5]
	v_mov_b32_e32 v21, v22
	v_mov_b32_e32 v11, v22
	s_or_b64 exec, exec, s[2:3]
	v_cmp_o_f16_e32 vcc, v21, v21
	s_and_saveexec_b64 s[2:3], vcc
	s_cbranch_execz .LBB235_71
.LBB235_90:                             ;   in Loop: Header=BB235_68 Depth=1
	s_waitcnt vmcnt(13)
	v_cmp_o_f16_e32 vcc, v17, v17
	v_mov_b32_e32 v22, v17
	s_and_saveexec_b64 s[4:5], vcc
; %bb.91:                               ;   in Loop: Header=BB235_68 Depth=1
	v_cmp_gt_f16_e32 vcc, v21, v17
	v_cndmask_b32_e32 v22, v11, v17, vcc
; %bb.92:                               ;   in Loop: Header=BB235_68 Depth=1
	s_or_b64 exec, exec, s[4:5]
	v_mov_b32_e32 v21, v22
	v_mov_b32_e32 v11, v22
	s_or_b64 exec, exec, s[2:3]
	v_cmp_o_f16_e32 vcc, v21, v21
	s_and_saveexec_b64 s[2:3], vcc
	s_cbranch_execz .LBB235_72
.LBB235_93:                             ;   in Loop: Header=BB235_68 Depth=1
	s_waitcnt vmcnt(12)
	v_cmp_o_f16_e32 vcc, v16, v16
	v_mov_b32_e32 v22, v16
	s_and_saveexec_b64 s[4:5], vcc
; %bb.94:                               ;   in Loop: Header=BB235_68 Depth=1
	v_cmp_gt_f16_e32 vcc, v21, v16
	v_cndmask_b32_e32 v22, v11, v16, vcc
; %bb.95:                               ;   in Loop: Header=BB235_68 Depth=1
	s_or_b64 exec, exec, s[4:5]
	v_mov_b32_e32 v21, v22
	v_mov_b32_e32 v11, v22
	s_or_b64 exec, exec, s[2:3]
	v_cmp_o_f16_e32 vcc, v21, v21
	s_and_saveexec_b64 s[2:3], vcc
	s_cbranch_execz .LBB235_73
.LBB235_96:                             ;   in Loop: Header=BB235_68 Depth=1
	s_waitcnt vmcnt(11)
	v_cmp_o_f16_e32 vcc, v15, v15
	v_mov_b32_e32 v22, v15
	s_and_saveexec_b64 s[4:5], vcc
; %bb.97:                               ;   in Loop: Header=BB235_68 Depth=1
	v_cmp_gt_f16_e32 vcc, v21, v15
	v_cndmask_b32_e32 v22, v11, v15, vcc
; %bb.98:                               ;   in Loop: Header=BB235_68 Depth=1
	s_or_b64 exec, exec, s[4:5]
	v_mov_b32_e32 v21, v22
	v_mov_b32_e32 v11, v22
	s_or_b64 exec, exec, s[2:3]
	v_cmp_o_f16_e32 vcc, v21, v21
	s_and_saveexec_b64 s[2:3], vcc
	s_cbranch_execz .LBB235_74
.LBB235_99:                             ;   in Loop: Header=BB235_68 Depth=1
	s_waitcnt vmcnt(10)
	v_cmp_o_f16_e32 vcc, v14, v14
	v_mov_b32_e32 v22, v14
	s_and_saveexec_b64 s[4:5], vcc
; %bb.100:                              ;   in Loop: Header=BB235_68 Depth=1
	v_cmp_gt_f16_e32 vcc, v21, v14
	v_cndmask_b32_e32 v22, v11, v14, vcc
; %bb.101:                              ;   in Loop: Header=BB235_68 Depth=1
	s_or_b64 exec, exec, s[4:5]
	v_mov_b32_e32 v21, v22
	v_mov_b32_e32 v11, v22
	s_or_b64 exec, exec, s[2:3]
	v_cmp_o_f16_e32 vcc, v21, v21
	s_and_saveexec_b64 s[2:3], vcc
	s_cbranch_execz .LBB235_75
.LBB235_102:                            ;   in Loop: Header=BB235_68 Depth=1
	s_waitcnt vmcnt(9)
	v_cmp_o_f16_e32 vcc, v13, v13
	v_mov_b32_e32 v22, v13
	s_and_saveexec_b64 s[4:5], vcc
; %bb.103:                              ;   in Loop: Header=BB235_68 Depth=1
	v_cmp_gt_f16_e32 vcc, v21, v13
	v_cndmask_b32_e32 v22, v11, v13, vcc
; %bb.104:                              ;   in Loop: Header=BB235_68 Depth=1
	s_or_b64 exec, exec, s[4:5]
	v_mov_b32_e32 v21, v22
	v_mov_b32_e32 v11, v22
	s_or_b64 exec, exec, s[2:3]
	v_cmp_o_f16_e32 vcc, v21, v21
	s_and_saveexec_b64 s[2:3], vcc
	s_cbranch_execz .LBB235_76
.LBB235_105:                            ;   in Loop: Header=BB235_68 Depth=1
	s_waitcnt vmcnt(8)
	v_cmp_o_f16_e32 vcc, v12, v12
	v_mov_b32_e32 v22, v12
	s_and_saveexec_b64 s[4:5], vcc
; %bb.106:                              ;   in Loop: Header=BB235_68 Depth=1
	v_cmp_gt_f16_e32 vcc, v21, v12
	v_cndmask_b32_e32 v22, v11, v12, vcc
; %bb.107:                              ;   in Loop: Header=BB235_68 Depth=1
	s_or_b64 exec, exec, s[4:5]
	v_mov_b32_e32 v21, v22
	v_mov_b32_e32 v11, v22
	s_or_b64 exec, exec, s[2:3]
	v_cmp_o_f16_e32 vcc, v21, v21
	s_and_saveexec_b64 s[2:3], vcc
	s_cbranch_execz .LBB235_77
.LBB235_108:                            ;   in Loop: Header=BB235_68 Depth=1
	s_waitcnt vmcnt(7)
	v_cmp_o_f16_e32 vcc, v10, v10
	v_mov_b32_e32 v22, v10
	s_and_saveexec_b64 s[4:5], vcc
; %bb.109:                              ;   in Loop: Header=BB235_68 Depth=1
	v_cmp_gt_f16_e32 vcc, v21, v10
	v_cndmask_b32_e32 v22, v11, v10, vcc
; %bb.110:                              ;   in Loop: Header=BB235_68 Depth=1
	s_or_b64 exec, exec, s[4:5]
	v_mov_b32_e32 v21, v22
	v_mov_b32_e32 v11, v22
	s_or_b64 exec, exec, s[2:3]
	v_cmp_o_f16_e32 vcc, v21, v21
	s_and_saveexec_b64 s[2:3], vcc
	s_cbranch_execz .LBB235_78
.LBB235_111:                            ;   in Loop: Header=BB235_68 Depth=1
	s_waitcnt vmcnt(6)
	v_cmp_o_f16_e32 vcc, v9, v9
	v_mov_b32_e32 v22, v9
	s_and_saveexec_b64 s[4:5], vcc
; %bb.112:                              ;   in Loop: Header=BB235_68 Depth=1
	v_cmp_gt_f16_e32 vcc, v21, v9
	v_cndmask_b32_e32 v22, v11, v9, vcc
; %bb.113:                              ;   in Loop: Header=BB235_68 Depth=1
	s_or_b64 exec, exec, s[4:5]
	v_mov_b32_e32 v21, v22
	v_mov_b32_e32 v11, v22
	s_or_b64 exec, exec, s[2:3]
	v_cmp_o_f16_e32 vcc, v21, v21
	s_and_saveexec_b64 s[2:3], vcc
	s_cbranch_execz .LBB235_79
.LBB235_114:                            ;   in Loop: Header=BB235_68 Depth=1
	s_waitcnt vmcnt(5)
	v_cmp_o_f16_e32 vcc, v8, v8
	v_mov_b32_e32 v22, v8
	s_and_saveexec_b64 s[4:5], vcc
; %bb.115:                              ;   in Loop: Header=BB235_68 Depth=1
	v_cmp_gt_f16_e32 vcc, v21, v8
	v_cndmask_b32_e32 v22, v11, v8, vcc
; %bb.116:                              ;   in Loop: Header=BB235_68 Depth=1
	s_or_b64 exec, exec, s[4:5]
	v_mov_b32_e32 v21, v22
	v_mov_b32_e32 v11, v22
	s_or_b64 exec, exec, s[2:3]
	v_cmp_o_f16_e32 vcc, v21, v21
	s_and_saveexec_b64 s[2:3], vcc
	s_cbranch_execz .LBB235_80
.LBB235_117:                            ;   in Loop: Header=BB235_68 Depth=1
	s_waitcnt vmcnt(4)
	v_cmp_o_f16_e32 vcc, v7, v7
	v_mov_b32_e32 v22, v7
	s_and_saveexec_b64 s[4:5], vcc
; %bb.118:                              ;   in Loop: Header=BB235_68 Depth=1
	v_cmp_gt_f16_e32 vcc, v21, v7
	v_cndmask_b32_e32 v22, v11, v7, vcc
; %bb.119:                              ;   in Loop: Header=BB235_68 Depth=1
	s_or_b64 exec, exec, s[4:5]
	v_mov_b32_e32 v21, v22
	v_mov_b32_e32 v11, v22
	s_or_b64 exec, exec, s[2:3]
	v_cmp_o_f16_e32 vcc, v21, v21
	s_and_saveexec_b64 s[2:3], vcc
	s_cbranch_execz .LBB235_81
.LBB235_120:                            ;   in Loop: Header=BB235_68 Depth=1
	s_waitcnt vmcnt(3)
	v_cmp_o_f16_e32 vcc, v6, v6
	v_mov_b32_e32 v22, v6
	s_and_saveexec_b64 s[4:5], vcc
; %bb.121:                              ;   in Loop: Header=BB235_68 Depth=1
	v_cmp_gt_f16_e32 vcc, v21, v6
	v_cndmask_b32_e32 v22, v11, v6, vcc
; %bb.122:                              ;   in Loop: Header=BB235_68 Depth=1
	s_or_b64 exec, exec, s[4:5]
	v_mov_b32_e32 v21, v22
	v_mov_b32_e32 v11, v22
	s_or_b64 exec, exec, s[2:3]
	v_cmp_o_f16_e32 vcc, v21, v21
	s_and_saveexec_b64 s[2:3], vcc
	s_cbranch_execz .LBB235_82
.LBB235_123:                            ;   in Loop: Header=BB235_68 Depth=1
	s_waitcnt vmcnt(2)
	v_cmp_o_f16_e32 vcc, v5, v5
	v_mov_b32_e32 v22, v5
	s_and_saveexec_b64 s[4:5], vcc
; %bb.124:                              ;   in Loop: Header=BB235_68 Depth=1
	v_cmp_gt_f16_e32 vcc, v21, v5
	v_cndmask_b32_e32 v22, v11, v5, vcc
; %bb.125:                              ;   in Loop: Header=BB235_68 Depth=1
	s_or_b64 exec, exec, s[4:5]
	v_mov_b32_e32 v21, v22
	v_mov_b32_e32 v11, v22
	s_or_b64 exec, exec, s[2:3]
	v_cmp_o_f16_e32 vcc, v21, v21
	s_and_saveexec_b64 s[2:3], vcc
	s_cbranch_execz .LBB235_83
.LBB235_126:                            ;   in Loop: Header=BB235_68 Depth=1
	s_waitcnt vmcnt(1)
	v_cmp_o_f16_e32 vcc, v4, v4
	v_mov_b32_e32 v22, v4
	s_and_saveexec_b64 s[4:5], vcc
; %bb.127:                              ;   in Loop: Header=BB235_68 Depth=1
	v_cmp_gt_f16_e32 vcc, v21, v4
	v_cndmask_b32_e32 v22, v11, v4, vcc
; %bb.128:                              ;   in Loop: Header=BB235_68 Depth=1
	s_or_b64 exec, exec, s[4:5]
	v_mov_b32_e32 v21, v22
	v_mov_b32_e32 v11, v22
	s_or_b64 exec, exec, s[2:3]
	v_cmp_o_f16_e32 vcc, v21, v21
	s_and_saveexec_b64 s[2:3], vcc
	s_cbranch_execz .LBB235_132
.LBB235_129:                            ;   in Loop: Header=BB235_68 Depth=1
	s_waitcnt vmcnt(0)
	v_cmp_o_f16_e32 vcc, v3, v3
	v_mov_b32_e32 v22, v3
	s_and_saveexec_b64 s[4:5], vcc
; %bb.130:                              ;   in Loop: Header=BB235_68 Depth=1
	v_cmp_gt_f16_e32 vcc, v21, v3
	v_cndmask_b32_e32 v22, v11, v3, vcc
; %bb.131:                              ;   in Loop: Header=BB235_68 Depth=1
	s_or_b64 exec, exec, s[4:5]
	v_mov_b32_e32 v11, v22
.LBB235_132:                            ;   in Loop: Header=BB235_68 Depth=1
	s_or_b64 exec, exec, s[2:3]
	s_add_u32 s2, s0, 0x1000
	s_addc_u32 s3, s1, 0
	s_add_u32 s0, s0, 0x2000
	v_mov_b32_e32 v21, s42
	s_addc_u32 s1, s1, 0
	v_mov_b32_e32 v22, s43
	v_add_co_u32_e32 v1, vcc, 0x2000, v1
	v_cmp_lt_i64_e64 s[0:1], s[0:1], v[21:22]
	v_addc_co_u32_e32 v2, vcc, 0, v2, vcc
	s_and_b64 vcc, exec, s[0:1]
	s_cbranch_vccz .LBB235_135
; %bb.133:                              ;   in Loop: Header=BB235_68 Depth=1
	s_mov_b64 s[0:1], s[2:3]
	s_branch .LBB235_68
.LBB235_134:
	s_mov_b64 s[2:3], s[0:1]
.LBB235_135:
	s_sub_i32 s50, s42, s2
	s_lshl_b64 s[0:1], s[2:3], 1
	s_add_u32 s46, s36, s0
	s_addc_u32 s47, s37, s1
	v_cmp_gt_u32_e64 s[30:31], s50, v0
	s_and_saveexec_b64 s[0:1], s[30:31]
	s_cbranch_execz .LBB235_137
; %bb.136:
	global_load_ushort v19, v20, s[46:47]
.LBB235_137:
	s_or_b64 exec, exec, s[0:1]
	v_or_b32_e32 v1, 0x100, v0
	v_cmp_gt_u32_e64 s[28:29], s50, v1
	s_and_saveexec_b64 s[0:1], s[28:29]
	s_cbranch_execz .LBB235_139
; %bb.138:
	global_load_ushort v18, v20, s[46:47] offset:512
.LBB235_139:
	s_or_b64 exec, exec, s[0:1]
	v_or_b32_e32 v1, 0x200, v0
	v_cmp_gt_u32_e64 s[26:27], s50, v1
	s_and_saveexec_b64 s[0:1], s[26:27]
	s_cbranch_execz .LBB235_141
; %bb.140:
	global_load_ushort v17, v20, s[46:47] offset:1024
.LBB235_141:
	;; [unrolled: 8-line block ×7, first 2 shown]
	s_or_b64 exec, exec, s[0:1]
	v_or_b32_e32 v1, 0x800, v0
	v_cmp_gt_u32_e64 s[14:15], s50, v1
	s_and_saveexec_b64 s[0:1], s[14:15]
	s_cbranch_execz .LBB235_153
; %bb.152:
	v_lshlrev_b32_e32 v1, 1, v1
	global_load_ushort v10, v1, s[46:47]
.LBB235_153:
	s_or_b64 exec, exec, s[0:1]
	v_or_b32_e32 v1, 0x900, v0
	v_cmp_gt_u32_e64 s[12:13], s50, v1
	s_and_saveexec_b64 s[0:1], s[12:13]
	s_cbranch_execz .LBB235_155
; %bb.154:
	v_lshlrev_b32_e32 v1, 1, v1
	global_load_ushort v9, v1, s[46:47]
.LBB235_155:
	;; [unrolled: 9-line block ×7, first 2 shown]
	s_or_b64 exec, exec, s[48:49]
	v_or_b32_e32 v1, 0xf00, v0
	v_cmp_gt_u32_e32 vcc, s50, v1
	s_and_saveexec_b64 s[48:49], vcc
	s_cbranch_execnz .LBB235_182
; %bb.166:
	s_or_b64 exec, exec, s[48:49]
	s_and_saveexec_b64 s[46:47], s[30:31]
	s_cbranch_execnz .LBB235_183
.LBB235_167:
	s_or_b64 exec, exec, s[46:47]
	s_and_saveexec_b64 s[30:31], s[28:29]
	s_cbranch_execnz .LBB235_188
.LBB235_168:
	s_or_b64 exec, exec, s[30:31]
	s_and_saveexec_b64 s[28:29], s[26:27]
	s_cbranch_execnz .LBB235_193
.LBB235_169:
	s_or_b64 exec, exec, s[28:29]
	s_and_saveexec_b64 s[26:27], s[24:25]
	s_cbranch_execnz .LBB235_198
.LBB235_170:
	s_or_b64 exec, exec, s[26:27]
	s_and_saveexec_b64 s[24:25], s[22:23]
	s_cbranch_execnz .LBB235_203
.LBB235_171:
	s_or_b64 exec, exec, s[24:25]
	s_and_saveexec_b64 s[22:23], s[20:21]
	s_cbranch_execnz .LBB235_208
.LBB235_172:
	s_or_b64 exec, exec, s[22:23]
	s_and_saveexec_b64 s[20:21], s[18:19]
	s_cbranch_execnz .LBB235_213
.LBB235_173:
	s_or_b64 exec, exec, s[20:21]
	s_and_saveexec_b64 s[18:19], s[16:17]
	s_cbranch_execnz .LBB235_218
.LBB235_174:
	s_or_b64 exec, exec, s[18:19]
	s_and_saveexec_b64 s[16:17], s[14:15]
	s_cbranch_execnz .LBB235_223
.LBB235_175:
	s_or_b64 exec, exec, s[16:17]
	s_and_saveexec_b64 s[14:15], s[12:13]
	s_cbranch_execnz .LBB235_228
.LBB235_176:
	s_or_b64 exec, exec, s[14:15]
	s_and_saveexec_b64 s[12:13], s[10:11]
	s_cbranch_execnz .LBB235_233
.LBB235_177:
	s_or_b64 exec, exec, s[12:13]
	s_and_saveexec_b64 s[10:11], s[8:9]
	s_cbranch_execnz .LBB235_238
.LBB235_178:
	s_or_b64 exec, exec, s[10:11]
	s_and_saveexec_b64 s[8:9], s[4:5]
	s_cbranch_execnz .LBB235_243
.LBB235_179:
	s_or_b64 exec, exec, s[8:9]
	s_and_saveexec_b64 s[4:5], s[2:3]
	s_cbranch_execnz .LBB235_248
.LBB235_180:
	s_or_b64 exec, exec, s[4:5]
	s_and_saveexec_b64 s[2:3], s[0:1]
	s_cbranch_execnz .LBB235_253
.LBB235_181:
	s_or_b64 exec, exec, s[2:3]
	s_and_saveexec_b64 s[0:1], vcc
	s_cbranch_execnz .LBB235_258
	s_branch .LBB235_263
.LBB235_182:
	v_lshlrev_b32_e32 v1, 1, v1
	global_load_ushort v3, v1, s[46:47]
	s_or_b64 exec, exec, s[48:49]
	s_and_saveexec_b64 s[46:47], s[30:31]
	s_cbranch_execz .LBB235_167
.LBB235_183:
	v_cmp_o_f16_e64 s[30:31], v11, v11
	s_and_saveexec_b64 s[48:49], s[30:31]
	s_cbranch_execz .LBB235_187
; %bb.184:
	s_waitcnt vmcnt(0)
	v_cmp_o_f16_e64 s[30:31], v19, v19
	s_and_saveexec_b64 s[50:51], s[30:31]
; %bb.185:
	v_cmp_lt_f16_e64 s[30:31], v19, v11
	v_cndmask_b32_e64 v19, v11, v19, s[30:31]
; %bb.186:
	s_or_b64 exec, exec, s[50:51]
	v_mov_b32_e32 v11, v19
.LBB235_187:
	s_or_b64 exec, exec, s[48:49]
	s_or_b64 exec, exec, s[46:47]
	s_and_saveexec_b64 s[30:31], s[28:29]
	s_cbranch_execz .LBB235_168
.LBB235_188:
	v_cmp_o_f16_e64 s[28:29], v11, v11
	s_and_saveexec_b64 s[46:47], s[28:29]
	s_cbranch_execz .LBB235_192
; %bb.189:
	s_waitcnt vmcnt(0)
	v_cmp_o_f16_e64 s[28:29], v18, v18
	s_and_saveexec_b64 s[48:49], s[28:29]
; %bb.190:
	v_cmp_lt_f16_e64 s[28:29], v18, v11
	v_cndmask_b32_e64 v18, v11, v18, s[28:29]
; %bb.191:
	s_or_b64 exec, exec, s[48:49]
	v_mov_b32_e32 v11, v18
.LBB235_192:
	s_or_b64 exec, exec, s[46:47]
	s_or_b64 exec, exec, s[30:31]
	s_and_saveexec_b64 s[28:29], s[26:27]
	s_cbranch_execz .LBB235_169
.LBB235_193:
	v_cmp_o_f16_e64 s[26:27], v11, v11
	s_and_saveexec_b64 s[30:31], s[26:27]
	s_cbranch_execz .LBB235_197
; %bb.194:
	s_waitcnt vmcnt(0)
	v_cmp_o_f16_e64 s[26:27], v17, v17
	s_and_saveexec_b64 s[46:47], s[26:27]
; %bb.195:
	v_cmp_lt_f16_e64 s[26:27], v17, v11
	v_cndmask_b32_e64 v17, v11, v17, s[26:27]
; %bb.196:
	s_or_b64 exec, exec, s[46:47]
	v_mov_b32_e32 v11, v17
.LBB235_197:
	s_or_b64 exec, exec, s[30:31]
	s_or_b64 exec, exec, s[28:29]
	s_and_saveexec_b64 s[26:27], s[24:25]
	s_cbranch_execz .LBB235_170
.LBB235_198:
	v_cmp_o_f16_e64 s[24:25], v11, v11
	s_and_saveexec_b64 s[28:29], s[24:25]
	s_cbranch_execz .LBB235_202
; %bb.199:
	s_waitcnt vmcnt(0)
	v_cmp_o_f16_e64 s[24:25], v16, v16
	s_and_saveexec_b64 s[30:31], s[24:25]
; %bb.200:
	v_cmp_lt_f16_e64 s[24:25], v16, v11
	v_cndmask_b32_e64 v16, v11, v16, s[24:25]
; %bb.201:
	s_or_b64 exec, exec, s[30:31]
	v_mov_b32_e32 v11, v16
.LBB235_202:
	s_or_b64 exec, exec, s[28:29]
	s_or_b64 exec, exec, s[26:27]
	s_and_saveexec_b64 s[24:25], s[22:23]
	s_cbranch_execz .LBB235_171
.LBB235_203:
	v_cmp_o_f16_e64 s[22:23], v11, v11
	s_and_saveexec_b64 s[26:27], s[22:23]
	s_cbranch_execz .LBB235_207
; %bb.204:
	s_waitcnt vmcnt(0)
	v_cmp_o_f16_e64 s[22:23], v15, v15
	s_and_saveexec_b64 s[28:29], s[22:23]
; %bb.205:
	v_cmp_lt_f16_e64 s[22:23], v15, v11
	v_cndmask_b32_e64 v15, v11, v15, s[22:23]
; %bb.206:
	s_or_b64 exec, exec, s[28:29]
	v_mov_b32_e32 v11, v15
.LBB235_207:
	s_or_b64 exec, exec, s[26:27]
	s_or_b64 exec, exec, s[24:25]
	s_and_saveexec_b64 s[22:23], s[20:21]
	s_cbranch_execz .LBB235_172
.LBB235_208:
	v_cmp_o_f16_e64 s[20:21], v11, v11
	s_and_saveexec_b64 s[24:25], s[20:21]
	s_cbranch_execz .LBB235_212
; %bb.209:
	s_waitcnt vmcnt(0)
	v_cmp_o_f16_e64 s[20:21], v14, v14
	s_and_saveexec_b64 s[26:27], s[20:21]
; %bb.210:
	v_cmp_lt_f16_e64 s[20:21], v14, v11
	v_cndmask_b32_e64 v14, v11, v14, s[20:21]
; %bb.211:
	s_or_b64 exec, exec, s[26:27]
	v_mov_b32_e32 v11, v14
.LBB235_212:
	s_or_b64 exec, exec, s[24:25]
	s_or_b64 exec, exec, s[22:23]
	s_and_saveexec_b64 s[20:21], s[18:19]
	s_cbranch_execz .LBB235_173
.LBB235_213:
	v_cmp_o_f16_e64 s[18:19], v11, v11
	s_and_saveexec_b64 s[22:23], s[18:19]
	s_cbranch_execz .LBB235_217
; %bb.214:
	s_waitcnt vmcnt(0)
	v_cmp_o_f16_e64 s[18:19], v13, v13
	s_and_saveexec_b64 s[24:25], s[18:19]
; %bb.215:
	v_cmp_lt_f16_e64 s[18:19], v13, v11
	v_cndmask_b32_e64 v13, v11, v13, s[18:19]
; %bb.216:
	s_or_b64 exec, exec, s[24:25]
	v_mov_b32_e32 v11, v13
.LBB235_217:
	s_or_b64 exec, exec, s[22:23]
	s_or_b64 exec, exec, s[20:21]
	s_and_saveexec_b64 s[18:19], s[16:17]
	s_cbranch_execz .LBB235_174
.LBB235_218:
	v_cmp_o_f16_e64 s[16:17], v11, v11
	s_and_saveexec_b64 s[20:21], s[16:17]
	s_cbranch_execz .LBB235_222
; %bb.219:
	s_waitcnt vmcnt(0)
	v_cmp_o_f16_e64 s[16:17], v12, v12
	s_and_saveexec_b64 s[22:23], s[16:17]
; %bb.220:
	v_cmp_lt_f16_e64 s[16:17], v12, v11
	v_cndmask_b32_e64 v12, v11, v12, s[16:17]
; %bb.221:
	s_or_b64 exec, exec, s[22:23]
	v_mov_b32_e32 v11, v12
.LBB235_222:
	s_or_b64 exec, exec, s[20:21]
	s_or_b64 exec, exec, s[18:19]
	s_and_saveexec_b64 s[16:17], s[14:15]
	s_cbranch_execz .LBB235_175
.LBB235_223:
	v_cmp_o_f16_e64 s[14:15], v11, v11
	s_and_saveexec_b64 s[18:19], s[14:15]
	s_cbranch_execz .LBB235_227
; %bb.224:
	s_waitcnt vmcnt(0)
	v_cmp_o_f16_e64 s[14:15], v10, v10
	s_and_saveexec_b64 s[20:21], s[14:15]
; %bb.225:
	v_cmp_lt_f16_e64 s[14:15], v10, v11
	v_cndmask_b32_e64 v10, v11, v10, s[14:15]
; %bb.226:
	s_or_b64 exec, exec, s[20:21]
	v_mov_b32_e32 v11, v10
.LBB235_227:
	s_or_b64 exec, exec, s[18:19]
	s_or_b64 exec, exec, s[16:17]
	s_and_saveexec_b64 s[14:15], s[12:13]
	s_cbranch_execz .LBB235_176
.LBB235_228:
	v_cmp_o_f16_e64 s[12:13], v11, v11
	s_and_saveexec_b64 s[16:17], s[12:13]
	s_cbranch_execz .LBB235_232
; %bb.229:
	s_waitcnt vmcnt(0)
	v_cmp_o_f16_e64 s[12:13], v9, v9
	s_and_saveexec_b64 s[18:19], s[12:13]
; %bb.230:
	v_cmp_lt_f16_e64 s[12:13], v9, v11
	v_cndmask_b32_e64 v9, v11, v9, s[12:13]
; %bb.231:
	s_or_b64 exec, exec, s[18:19]
	v_mov_b32_e32 v11, v9
.LBB235_232:
	s_or_b64 exec, exec, s[16:17]
	s_or_b64 exec, exec, s[14:15]
	s_and_saveexec_b64 s[12:13], s[10:11]
	s_cbranch_execz .LBB235_177
.LBB235_233:
	v_cmp_o_f16_e64 s[10:11], v11, v11
	s_and_saveexec_b64 s[14:15], s[10:11]
	s_cbranch_execz .LBB235_237
; %bb.234:
	s_waitcnt vmcnt(0)
	v_cmp_o_f16_e64 s[10:11], v8, v8
	s_and_saveexec_b64 s[16:17], s[10:11]
; %bb.235:
	v_cmp_lt_f16_e64 s[10:11], v8, v11
	v_cndmask_b32_e64 v8, v11, v8, s[10:11]
; %bb.236:
	s_or_b64 exec, exec, s[16:17]
	v_mov_b32_e32 v11, v8
.LBB235_237:
	s_or_b64 exec, exec, s[14:15]
	s_or_b64 exec, exec, s[12:13]
	s_and_saveexec_b64 s[10:11], s[8:9]
	s_cbranch_execz .LBB235_178
.LBB235_238:
	v_cmp_o_f16_e64 s[8:9], v11, v11
	s_and_saveexec_b64 s[12:13], s[8:9]
	s_cbranch_execz .LBB235_242
; %bb.239:
	s_waitcnt vmcnt(0)
	v_cmp_o_f16_e64 s[8:9], v7, v7
	s_and_saveexec_b64 s[14:15], s[8:9]
; %bb.240:
	v_cmp_lt_f16_e64 s[8:9], v7, v11
	v_cndmask_b32_e64 v7, v11, v7, s[8:9]
; %bb.241:
	s_or_b64 exec, exec, s[14:15]
	v_mov_b32_e32 v11, v7
.LBB235_242:
	s_or_b64 exec, exec, s[12:13]
	s_or_b64 exec, exec, s[10:11]
	s_and_saveexec_b64 s[8:9], s[4:5]
	s_cbranch_execz .LBB235_179
.LBB235_243:
	v_cmp_o_f16_e64 s[4:5], v11, v11
	s_and_saveexec_b64 s[10:11], s[4:5]
	s_cbranch_execz .LBB235_247
; %bb.244:
	s_waitcnt vmcnt(0)
	v_cmp_o_f16_e64 s[4:5], v6, v6
	s_and_saveexec_b64 s[12:13], s[4:5]
; %bb.245:
	v_cmp_lt_f16_e64 s[4:5], v6, v11
	v_cndmask_b32_e64 v6, v11, v6, s[4:5]
; %bb.246:
	s_or_b64 exec, exec, s[12:13]
	v_mov_b32_e32 v11, v6
.LBB235_247:
	s_or_b64 exec, exec, s[10:11]
	s_or_b64 exec, exec, s[8:9]
	s_and_saveexec_b64 s[4:5], s[2:3]
	s_cbranch_execz .LBB235_180
.LBB235_248:
	v_cmp_o_f16_e64 s[2:3], v11, v11
	s_and_saveexec_b64 s[8:9], s[2:3]
	s_cbranch_execz .LBB235_252
; %bb.249:
	s_waitcnt vmcnt(0)
	v_cmp_o_f16_e64 s[2:3], v5, v5
	s_and_saveexec_b64 s[10:11], s[2:3]
; %bb.250:
	v_cmp_lt_f16_e64 s[2:3], v5, v11
	v_cndmask_b32_e64 v5, v11, v5, s[2:3]
; %bb.251:
	s_or_b64 exec, exec, s[10:11]
	v_mov_b32_e32 v11, v5
.LBB235_252:
	s_or_b64 exec, exec, s[8:9]
	s_or_b64 exec, exec, s[4:5]
	s_and_saveexec_b64 s[2:3], s[0:1]
	s_cbranch_execz .LBB235_181
.LBB235_253:
	v_cmp_o_f16_e64 s[0:1], v11, v11
	s_and_saveexec_b64 s[4:5], s[0:1]
	s_cbranch_execz .LBB235_257
; %bb.254:
	s_waitcnt vmcnt(0)
	v_cmp_o_f16_e64 s[0:1], v4, v4
	s_and_saveexec_b64 s[8:9], s[0:1]
; %bb.255:
	v_cmp_lt_f16_e64 s[0:1], v4, v11
	v_cndmask_b32_e64 v4, v11, v4, s[0:1]
; %bb.256:
	s_or_b64 exec, exec, s[8:9]
	v_mov_b32_e32 v11, v4
.LBB235_257:
	s_or_b64 exec, exec, s[4:5]
	s_or_b64 exec, exec, s[2:3]
	s_and_saveexec_b64 s[0:1], vcc
	s_cbranch_execz .LBB235_263
.LBB235_258:
	v_cmp_o_f16_e32 vcc, v11, v11
	s_and_saveexec_b64 s[2:3], vcc
	s_cbranch_execz .LBB235_262
; %bb.259:
	s_waitcnt vmcnt(0)
	v_cmp_o_f16_e32 vcc, v3, v3
	s_and_saveexec_b64 s[4:5], vcc
; %bb.260:
	v_cmp_lt_f16_e32 vcc, v3, v11
	v_cndmask_b32_e32 v3, v11, v3, vcc
; %bb.261:
	s_or_b64 exec, exec, s[4:5]
	v_mov_b32_e32 v11, v3
.LBB235_262:
	s_or_b64 exec, exec, s[2:3]
.LBB235_263:
	s_or_b64 exec, exec, s[0:1]
	v_and_b32_e32 v1, 0xffff, v11
	s_nop 1
	v_mov_b32_dpp v1, v1 quad_perm:[1,0,3,2] row_mask:0xf bank_mask:0xf bound_ctrl:1
	v_cmp_o_f16_e32 vcc, v1, v1
	s_and_saveexec_b64 s[0:1], vcc
	s_xor_b64 s[0:1], exec, s[0:1]
	s_cbranch_execz .LBB235_267
; %bb.264:
	v_cmp_o_f16_e32 vcc, v11, v11
	s_and_saveexec_b64 s[2:3], vcc
; %bb.265:
	v_cmp_lt_f16_e32 vcc, v11, v1
	v_cndmask_b32_e32 v11, v1, v11, vcc
; %bb.266:
	s_or_b64 exec, exec, s[2:3]
	v_mov_b32_e32 v1, v11
.LBB235_267:
	s_or_b64 exec, exec, s[0:1]
	v_and_b32_e32 v2, 0xffff, v1
	s_nop 1
	v_mov_b32_dpp v2, v2 quad_perm:[2,3,0,1] row_mask:0xf bank_mask:0xf bound_ctrl:1
	v_cmp_o_f16_e32 vcc, v2, v2
	s_and_saveexec_b64 s[0:1], vcc
	s_cbranch_execz .LBB235_271
; %bb.268:
	v_cmp_o_f16_e32 vcc, v1, v1
	s_and_saveexec_b64 s[2:3], vcc
; %bb.269:
	v_cmp_lt_f16_e32 vcc, v1, v2
	v_cndmask_b32_e32 v1, v2, v1, vcc
; %bb.270:
	s_or_b64 exec, exec, s[2:3]
	v_mov_b32_e32 v2, v1
.LBB235_271:
	s_or_b64 exec, exec, s[0:1]
	v_and_b32_e32 v1, 0xffff, v2
	s_nop 1
	v_mov_b32_dpp v1, v1 row_ror:4 row_mask:0xf bank_mask:0xf bound_ctrl:1
	v_cmp_o_f16_e32 vcc, v1, v1
	s_and_saveexec_b64 s[0:1], vcc
	s_cbranch_execz .LBB235_275
; %bb.272:
	v_cmp_o_f16_e32 vcc, v2, v2
	s_and_saveexec_b64 s[2:3], vcc
; %bb.273:
	v_cmp_lt_f16_e32 vcc, v2, v1
	v_cndmask_b32_e32 v2, v1, v2, vcc
; %bb.274:
	s_or_b64 exec, exec, s[2:3]
	v_mov_b32_e32 v1, v2
.LBB235_275:
	s_or_b64 exec, exec, s[0:1]
	v_and_b32_e32 v2, 0xffff, v1
	s_nop 1
	v_mov_b32_dpp v2, v2 row_ror:8 row_mask:0xf bank_mask:0xf bound_ctrl:1
	v_cmp_o_f16_e32 vcc, v2, v2
	s_and_saveexec_b64 s[0:1], vcc
	s_cbranch_execz .LBB235_279
; %bb.276:
	v_cmp_o_f16_e32 vcc, v1, v1
	s_and_saveexec_b64 s[2:3], vcc
; %bb.277:
	v_cmp_lt_f16_e32 vcc, v1, v2
	v_cndmask_b32_e32 v1, v2, v1, vcc
; %bb.278:
	s_or_b64 exec, exec, s[2:3]
	v_mov_b32_e32 v2, v1
.LBB235_279:
	s_or_b64 exec, exec, s[0:1]
	v_and_b32_e32 v1, 0xffff, v2
	s_nop 1
	v_mov_b32_dpp v1, v1 row_bcast:15 row_mask:0xf bank_mask:0xf bound_ctrl:1
	v_cmp_o_f16_e32 vcc, v1, v1
	s_and_saveexec_b64 s[0:1], vcc
	s_cbranch_execz .LBB235_283
; %bb.280:
	v_cmp_o_f16_e32 vcc, v2, v2
	s_and_saveexec_b64 s[2:3], vcc
; %bb.281:
	v_cmp_lt_f16_e32 vcc, v2, v1
	v_cndmask_b32_e32 v2, v1, v2, vcc
; %bb.282:
	s_or_b64 exec, exec, s[2:3]
	v_mov_b32_e32 v1, v2
.LBB235_283:
	s_or_b64 exec, exec, s[0:1]
	v_and_b32_e32 v2, 0xffff, v1
	s_waitcnt vmcnt(0)
	s_nop 0
	v_mov_b32_dpp v3, v2 row_bcast:31 row_mask:0xf bank_mask:0xf bound_ctrl:1
	v_cmp_o_f16_e32 vcc, v3, v3
	s_and_saveexec_b64 s[0:1], vcc
	s_cbranch_execz .LBB235_287
; %bb.284:
	v_cmp_o_f16_e32 vcc, v1, v1
	s_and_saveexec_b64 s[2:3], vcc
; %bb.285:
	v_cmp_lt_f16_e32 vcc, v1, v3
	v_cndmask_b32_e32 v1, v3, v1, vcc
; %bb.286:
	s_or_b64 exec, exec, s[2:3]
	v_mov_b32_e32 v3, v1
.LBB235_287:
	s_or_b64 exec, exec, s[0:1]
	v_mbcnt_lo_u32_b32 v1, -1, 0
	v_mbcnt_hi_u32_b32 v2, -1, v1
	v_lshlrev_b32_e32 v1, 2, v2
	v_or_b32_e32 v4, 0xfc, v1
	v_and_b32_e32 v3, 0xffff, v3
	ds_bpermute_b32 v3, v4, v3
	v_cmp_eq_u32_e32 vcc, 0, v2
	s_and_saveexec_b64 s[0:1], vcc
	s_cbranch_execz .LBB235_289
; %bb.288:
	v_lshrrev_b32_e32 v4, 5, v0
	v_and_b32_e32 v4, 6, v4
	s_waitcnt lgkmcnt(0)
	ds_write_b16 v4, v3
.LBB235_289:
	s_or_b64 exec, exec, s[0:1]
	v_cmp_gt_u32_e32 vcc, 64, v0
	s_waitcnt lgkmcnt(0)
	s_barrier
	s_and_saveexec_b64 s[0:1], vcc
	s_cbranch_execz .LBB235_299
; %bb.290:
	v_and_b32_e32 v4, 3, v2
	v_lshlrev_b32_e32 v3, 1, v4
	ds_read_u16 v3, v3
	v_cmp_ne_u32_e32 vcc, 3, v4
	v_addc_co_u32_e32 v2, vcc, 0, v2, vcc
	v_lshlrev_b32_e32 v2, 2, v2
	s_waitcnt lgkmcnt(0)
	v_and_b32_e32 v4, 0xffff, v3
	ds_bpermute_b32 v2, v2, v4
	v_cmp_o_f16_e32 vcc, v3, v3
	s_and_saveexec_b64 s[2:3], vcc
	s_cbranch_execz .LBB235_294
; %bb.291:
	s_waitcnt lgkmcnt(0)
	v_cmp_o_f16_e32 vcc, v2, v2
	s_and_saveexec_b64 s[4:5], vcc
; %bb.292:
	v_cmp_gt_f16_e32 vcc, v3, v2
	v_cndmask_b32_e32 v2, v3, v2, vcc
; %bb.293:
	s_or_b64 exec, exec, s[4:5]
	v_mov_b32_e32 v3, v2
.LBB235_294:
	s_or_b64 exec, exec, s[2:3]
	v_or_b32_e32 v1, 8, v1
	s_waitcnt lgkmcnt(0)
	v_and_b32_e32 v2, 0xffff, v3
	ds_bpermute_b32 v1, v1, v2
	v_cmp_o_f16_e32 vcc, v3, v3
	s_and_saveexec_b64 s[2:3], vcc
	s_cbranch_execz .LBB235_298
; %bb.295:
	s_waitcnt lgkmcnt(0)
	v_cmp_o_f16_e32 vcc, v1, v1
	s_and_saveexec_b64 s[4:5], vcc
; %bb.296:
	v_cmp_gt_f16_e32 vcc, v3, v1
	v_cndmask_b32_e32 v1, v3, v1, vcc
; %bb.297:
	s_or_b64 exec, exec, s[4:5]
	v_mov_b32_e32 v3, v1
.LBB235_298:
	s_or_b64 exec, exec, s[2:3]
.LBB235_299:
	s_or_b64 exec, exec, s[0:1]
	s_branch .LBB235_402
.LBB235_300:
	s_sub_i32 s12, s42, s44
	v_cmp_gt_u32_e32 vcc, s12, v0
                                        ; implicit-def: $vgpr5
	s_and_saveexec_b64 s[2:3], vcc
	s_cbranch_execz .LBB235_310
; %bb.301:
	s_waitcnt lgkmcnt(0)
	v_mov_b32_e32 v1, s45
	v_add_co_u32_e32 v6, vcc, s44, v0
	v_addc_co_u32_e32 v7, vcc, 0, v1, vcc
	v_lshlrev_b64 v[2:3], 1, v[6:7]
	v_mov_b32_e32 v1, s37
	v_add_co_u32_e64 v4, s[0:1], s36, v2
	v_addc_co_u32_e64 v5, vcc, v1, v3, s[0:1]
	global_load_ushort v5, v[4:5], off
	v_add_co_u32_e32 v1, vcc, 0x100, v6
	v_addc_co_u32_e32 v2, vcc, 0, v7, vcc
	v_cmp_gt_i64_e32 vcc, s[42:43], v[1:2]
	s_and_saveexec_b64 s[4:5], vcc
	s_cbranch_execz .LBB235_309
; %bb.302:
	v_mov_b32_e32 v6, s37
	v_addc_co_u32_e64 v6, vcc, v6, v3, s[0:1]
	v_add_co_u32_e32 v3, vcc, 0x200, v4
	v_addc_co_u32_e32 v4, vcc, 0, v6, vcc
	s_mov_b64 s[8:9], 0
	s_branch .LBB235_305
.LBB235_303:                            ;   in Loop: Header=BB235_305 Depth=1
	s_or_b64 exec, exec, s[10:11]
	v_mov_b32_e32 v5, v6
.LBB235_304:                            ;   in Loop: Header=BB235_305 Depth=1
	s_or_b64 exec, exec, s[0:1]
	v_add_co_u32_e32 v1, vcc, 0x100, v1
	v_addc_co_u32_e32 v2, vcc, 0, v2, vcc
	v_cmp_le_i64_e64 s[0:1], s[42:43], v[1:2]
	v_add_co_u32_e32 v3, vcc, 0x200, v3
	s_or_b64 s[8:9], s[0:1], s[8:9]
	v_addc_co_u32_e32 v4, vcc, 0, v4, vcc
	s_andn2_b64 exec, exec, s[8:9]
	s_cbranch_execz .LBB235_308
.LBB235_305:                            ; =>This Inner Loop Header: Depth=1
	s_waitcnt vmcnt(0)
	v_cmp_o_f16_e32 vcc, v5, v5
	s_and_saveexec_b64 s[0:1], vcc
	s_cbranch_execz .LBB235_304
; %bb.306:                              ;   in Loop: Header=BB235_305 Depth=1
	global_load_ushort v6, v[3:4], off
	s_waitcnt vmcnt(0)
	v_cmp_o_f16_e32 vcc, v6, v6
	s_and_saveexec_b64 s[10:11], vcc
	s_cbranch_execz .LBB235_303
; %bb.307:                              ;   in Loop: Header=BB235_305 Depth=1
	v_cmp_lt_f16_e32 vcc, v6, v5
	v_cndmask_b32_e32 v6, v5, v6, vcc
	s_branch .LBB235_303
.LBB235_308:
	s_or_b64 exec, exec, s[8:9]
.LBB235_309:
	s_or_b64 exec, exec, s[4:5]
.LBB235_310:
	s_or_b64 exec, exec, s[2:3]
	s_waitcnt lgkmcnt(0)
	v_mbcnt_lo_u32_b32 v1, -1, 0
	s_cmpk_lt_u32 s12, 0x100
	v_lshrrev_b32_e32 v2, 6, v0
	v_mbcnt_hi_u32_b32 v1, -1, v1
	s_cbranch_scc0 .LBB235_364
; %bb.311:
	v_and_b32_e32 v4, 63, v1
	v_cmp_ne_u32_e32 vcc, 63, v4
	v_addc_co_u32_e32 v6, vcc, 0, v1, vcc
	v_lshlrev_b32_e32 v6, 2, v6
	s_waitcnt vmcnt(0)
	v_and_b32_e32 v8, 0xffff, v5
	ds_bpermute_b32 v7, v6, v8
	v_and_b32_e32 v3, 0xc0, v0
	v_sub_u32_e64 v6, s12, v3 clamp
	v_add_u32_e32 v3, 1, v4
	v_cmp_lt_u32_e32 vcc, v3, v6
	v_mov_b32_e32 v3, v5
	s_and_saveexec_b64 s[0:1], vcc
	s_cbranch_execz .LBB235_317
; %bb.312:
	v_cmp_o_f16_e32 vcc, v5, v5
	v_mov_b32_e32 v3, v5
	s_and_saveexec_b64 s[2:3], vcc
	s_cbranch_execz .LBB235_316
; %bb.313:
	s_waitcnt lgkmcnt(0)
	v_cmp_o_f16_e32 vcc, v7, v7
	s_and_saveexec_b64 s[4:5], vcc
; %bb.314:
	v_cmp_gt_f16_e32 vcc, v5, v7
	v_cndmask_b32_e32 v7, v5, v7, vcc
; %bb.315:
	s_or_b64 exec, exec, s[4:5]
	v_mov_b32_e32 v3, v7
.LBB235_316:
	s_or_b64 exec, exec, s[2:3]
	v_and_b32_e32 v8, 0xffff, v3
.LBB235_317:
	s_or_b64 exec, exec, s[0:1]
	v_cmp_gt_u32_e32 vcc, 62, v4
	s_waitcnt lgkmcnt(0)
	v_cndmask_b32_e64 v7, 0, 2, vcc
	v_add_lshl_u32 v7, v7, v1, 2
	ds_bpermute_b32 v7, v7, v8
	v_add_u32_e32 v9, 2, v4
	v_cmp_lt_u32_e32 vcc, v9, v6
	s_and_saveexec_b64 s[0:1], vcc
	s_cbranch_execz .LBB235_323
; %bb.318:
	v_cmp_o_f16_e32 vcc, v3, v3
	s_and_saveexec_b64 s[2:3], vcc
	s_cbranch_execz .LBB235_322
; %bb.319:
	s_waitcnt lgkmcnt(0)
	v_cmp_o_f16_e32 vcc, v7, v7
	s_and_saveexec_b64 s[4:5], vcc
; %bb.320:
	v_cmp_gt_f16_e32 vcc, v3, v7
	v_cndmask_b32_e32 v7, v3, v7, vcc
; %bb.321:
	s_or_b64 exec, exec, s[4:5]
	v_mov_b32_e32 v3, v7
.LBB235_322:
	s_or_b64 exec, exec, s[2:3]
	v_and_b32_e32 v8, 0xffff, v3
.LBB235_323:
	s_or_b64 exec, exec, s[0:1]
	v_cmp_gt_u32_e32 vcc, 60, v4
	s_waitcnt lgkmcnt(0)
	v_cndmask_b32_e64 v7, 0, 4, vcc
	v_add_lshl_u32 v7, v7, v1, 2
	ds_bpermute_b32 v7, v7, v8
	v_add_u32_e32 v9, 4, v4
	v_cmp_lt_u32_e32 vcc, v9, v6
	s_and_saveexec_b64 s[0:1], vcc
	s_cbranch_execz .LBB235_329
; %bb.324:
	v_cmp_o_f16_e32 vcc, v3, v3
	s_and_saveexec_b64 s[2:3], vcc
	s_cbranch_execz .LBB235_328
; %bb.325:
	s_waitcnt lgkmcnt(0)
	v_cmp_o_f16_e32 vcc, v7, v7
	s_and_saveexec_b64 s[4:5], vcc
; %bb.326:
	v_cmp_gt_f16_e32 vcc, v3, v7
	v_cndmask_b32_e32 v7, v3, v7, vcc
; %bb.327:
	s_or_b64 exec, exec, s[4:5]
	v_mov_b32_e32 v3, v7
.LBB235_328:
	s_or_b64 exec, exec, s[2:3]
	v_and_b32_e32 v8, 0xffff, v3
.LBB235_329:
	;; [unrolled: 28-line block ×4, first 2 shown]
	s_or_b64 exec, exec, s[0:1]
	s_waitcnt lgkmcnt(0)
	v_lshlrev_b32_e32 v7, 2, v1
	v_or_b32_e32 v9, 0x80, v7
	ds_bpermute_b32 v8, v9, v8
	v_add_u32_e32 v4, 32, v4
	v_cmp_lt_u32_e32 vcc, v4, v6
	s_and_saveexec_b64 s[0:1], vcc
	s_cbranch_execz .LBB235_347
; %bb.342:
	v_cmp_o_f16_e32 vcc, v3, v3
	s_and_saveexec_b64 s[2:3], vcc
	s_cbranch_execz .LBB235_346
; %bb.343:
	s_waitcnt lgkmcnt(0)
	v_cmp_o_f16_e32 vcc, v8, v8
	s_and_saveexec_b64 s[4:5], vcc
; %bb.344:
	v_cmp_gt_f16_e32 vcc, v3, v8
	v_cndmask_b32_e32 v8, v3, v8, vcc
; %bb.345:
	s_or_b64 exec, exec, s[4:5]
	v_mov_b32_e32 v3, v8
.LBB235_346:
	s_or_b64 exec, exec, s[2:3]
.LBB235_347:
	s_or_b64 exec, exec, s[0:1]
	v_cmp_eq_u32_e32 vcc, 0, v1
	s_and_saveexec_b64 s[0:1], vcc
; %bb.348:
	v_lshlrev_b32_e32 v4, 1, v2
	ds_write_b16 v4, v3
; %bb.349:
	s_or_b64 exec, exec, s[0:1]
	v_cmp_gt_u32_e32 vcc, 4, v0
	s_waitcnt lgkmcnt(0)
	s_barrier
	s_and_saveexec_b64 s[0:1], vcc
	s_cbranch_execz .LBB235_363
; %bb.350:
	v_lshlrev_b32_e32 v3, 1, v1
	ds_read_u16 v3, v3
	v_and_b32_e32 v4, 3, v1
	v_cmp_ne_u32_e32 vcc, 3, v4
	v_addc_co_u32_e32 v6, vcc, 0, v1, vcc
	v_lshlrev_b32_e32 v6, 2, v6
	s_waitcnt lgkmcnt(0)
	v_and_b32_e32 v8, 0xffff, v3
	ds_bpermute_b32 v6, v6, v8
	s_add_i32 s12, s12, 63
	s_lshr_b32 s10, s12, 6
	v_add_u32_e32 v9, 1, v4
	v_cmp_gt_u32_e32 vcc, s10, v9
	s_and_saveexec_b64 s[2:3], vcc
	s_cbranch_execz .LBB235_356
; %bb.351:
	v_cmp_o_f16_e32 vcc, v3, v3
	s_and_saveexec_b64 s[4:5], vcc
	s_cbranch_execz .LBB235_355
; %bb.352:
	s_waitcnt lgkmcnt(0)
	v_cmp_o_f16_e32 vcc, v6, v6
	s_and_saveexec_b64 s[8:9], vcc
; %bb.353:
	v_cmp_gt_f16_e32 vcc, v3, v6
	v_cndmask_b32_e32 v6, v3, v6, vcc
; %bb.354:
	s_or_b64 exec, exec, s[8:9]
	v_mov_b32_e32 v3, v6
.LBB235_355:
	s_or_b64 exec, exec, s[4:5]
	v_and_b32_e32 v8, 0xffff, v3
.LBB235_356:
	s_or_b64 exec, exec, s[2:3]
	s_waitcnt lgkmcnt(0)
	v_or_b32_e32 v6, 8, v7
	ds_bpermute_b32 v6, v6, v8
	v_add_u32_e32 v4, 2, v4
	v_cmp_gt_u32_e32 vcc, s10, v4
	s_and_saveexec_b64 s[2:3], vcc
	s_cbranch_execz .LBB235_362
; %bb.357:
	v_cmp_o_f16_e32 vcc, v3, v3
	s_and_saveexec_b64 s[4:5], vcc
	s_cbranch_execz .LBB235_361
; %bb.358:
	s_waitcnt lgkmcnt(0)
	v_cmp_o_f16_e32 vcc, v6, v6
	s_and_saveexec_b64 s[8:9], vcc
; %bb.359:
	v_cmp_gt_f16_e32 vcc, v3, v6
	v_cndmask_b32_e32 v6, v3, v6, vcc
; %bb.360:
	s_or_b64 exec, exec, s[8:9]
	v_mov_b32_e32 v3, v6
.LBB235_361:
	s_or_b64 exec, exec, s[4:5]
.LBB235_362:
	s_or_b64 exec, exec, s[2:3]
.LBB235_363:
	s_or_b64 exec, exec, s[0:1]
	s_branch .LBB235_402
.LBB235_364:
                                        ; implicit-def: $vgpr3
	s_cbranch_execz .LBB235_402
; %bb.365:
	s_waitcnt vmcnt(0)
	v_and_b32_e32 v3, 0xffff, v5
	s_nop 1
	v_mov_b32_dpp v3, v3 quad_perm:[1,0,3,2] row_mask:0xf bank_mask:0xf bound_ctrl:1
	v_cmp_o_f16_e32 vcc, v3, v3
	s_and_saveexec_b64 s[0:1], vcc
	s_cbranch_execz .LBB235_369
; %bb.366:
	v_cmp_o_f16_e32 vcc, v5, v5
	s_and_saveexec_b64 s[2:3], vcc
; %bb.367:
	v_cmp_lt_f16_e32 vcc, v5, v3
	v_cndmask_b32_e32 v5, v3, v5, vcc
; %bb.368:
	s_or_b64 exec, exec, s[2:3]
	v_mov_b32_e32 v3, v5
.LBB235_369:
	s_or_b64 exec, exec, s[0:1]
	v_and_b32_e32 v4, 0xffff, v3
	s_nop 1
	v_mov_b32_dpp v4, v4 quad_perm:[2,3,0,1] row_mask:0xf bank_mask:0xf bound_ctrl:1
	v_cmp_o_f16_e32 vcc, v4, v4
	s_and_saveexec_b64 s[0:1], vcc
	s_cbranch_execz .LBB235_373
; %bb.370:
	v_cmp_o_f16_e32 vcc, v3, v3
	s_and_saveexec_b64 s[2:3], vcc
; %bb.371:
	v_cmp_lt_f16_e32 vcc, v3, v4
	v_cndmask_b32_e32 v3, v4, v3, vcc
; %bb.372:
	s_or_b64 exec, exec, s[2:3]
	v_mov_b32_e32 v4, v3
.LBB235_373:
	s_or_b64 exec, exec, s[0:1]
	v_and_b32_e32 v3, 0xffff, v4
	s_nop 1
	v_mov_b32_dpp v3, v3 row_ror:4 row_mask:0xf bank_mask:0xf bound_ctrl:1
	v_cmp_o_f16_e32 vcc, v3, v3
	s_and_saveexec_b64 s[0:1], vcc
	s_cbranch_execz .LBB235_377
; %bb.374:
	v_cmp_o_f16_e32 vcc, v4, v4
	s_and_saveexec_b64 s[2:3], vcc
; %bb.375:
	v_cmp_lt_f16_e32 vcc, v4, v3
	v_cndmask_b32_e32 v4, v3, v4, vcc
; %bb.376:
	s_or_b64 exec, exec, s[2:3]
	v_mov_b32_e32 v3, v4
.LBB235_377:
	s_or_b64 exec, exec, s[0:1]
	v_and_b32_e32 v4, 0xffff, v3
	s_nop 1
	v_mov_b32_dpp v4, v4 row_ror:8 row_mask:0xf bank_mask:0xf bound_ctrl:1
	v_cmp_o_f16_e32 vcc, v4, v4
	s_and_saveexec_b64 s[0:1], vcc
	s_cbranch_execz .LBB235_381
; %bb.378:
	v_cmp_o_f16_e32 vcc, v3, v3
	s_and_saveexec_b64 s[2:3], vcc
; %bb.379:
	v_cmp_lt_f16_e32 vcc, v3, v4
	v_cndmask_b32_e32 v3, v4, v3, vcc
; %bb.380:
	s_or_b64 exec, exec, s[2:3]
	v_mov_b32_e32 v4, v3
.LBB235_381:
	s_or_b64 exec, exec, s[0:1]
	v_and_b32_e32 v3, 0xffff, v4
	s_nop 1
	v_mov_b32_dpp v3, v3 row_bcast:15 row_mask:0xf bank_mask:0xf bound_ctrl:1
	v_cmp_o_f16_e32 vcc, v3, v3
	s_and_saveexec_b64 s[0:1], vcc
	s_cbranch_execz .LBB235_385
; %bb.382:
	v_cmp_o_f16_e32 vcc, v4, v4
	s_and_saveexec_b64 s[2:3], vcc
; %bb.383:
	v_cmp_lt_f16_e32 vcc, v4, v3
	v_cndmask_b32_e32 v4, v3, v4, vcc
; %bb.384:
	s_or_b64 exec, exec, s[2:3]
	v_mov_b32_e32 v3, v4
.LBB235_385:
	s_or_b64 exec, exec, s[0:1]
	v_and_b32_e32 v4, 0xffff, v3
	s_nop 1
	v_mov_b32_dpp v5, v4 row_bcast:31 row_mask:0xf bank_mask:0xf bound_ctrl:1
	v_cmp_o_f16_e32 vcc, v5, v5
	s_and_saveexec_b64 s[0:1], vcc
	s_cbranch_execz .LBB235_389
; %bb.386:
	v_cmp_o_f16_e32 vcc, v3, v3
	s_and_saveexec_b64 s[2:3], vcc
; %bb.387:
	v_cmp_lt_f16_e32 vcc, v3, v5
	v_cndmask_b32_e32 v3, v5, v3, vcc
; %bb.388:
	s_or_b64 exec, exec, s[2:3]
	v_mov_b32_e32 v5, v3
.LBB235_389:
	s_or_b64 exec, exec, s[0:1]
	v_lshlrev_b32_e32 v4, 2, v1
	v_or_b32_e32 v3, 0xfc, v4
	v_and_b32_e32 v5, 0xffff, v5
	ds_bpermute_b32 v3, v3, v5
	v_cmp_eq_u32_e32 vcc, 0, v1
	s_and_saveexec_b64 s[0:1], vcc
	s_cbranch_execz .LBB235_391
; %bb.390:
	v_lshlrev_b32_e32 v2, 1, v2
	s_waitcnt lgkmcnt(0)
	ds_write_b16 v2, v3
.LBB235_391:
	s_or_b64 exec, exec, s[0:1]
	v_cmp_gt_u32_e32 vcc, 64, v0
	s_waitcnt lgkmcnt(0)
	s_barrier
	s_and_saveexec_b64 s[0:1], vcc
	s_cbranch_execz .LBB235_401
; %bb.392:
	v_and_b32_e32 v2, 3, v1
	v_lshlrev_b32_e32 v3, 1, v2
	ds_read_u16 v3, v3
	v_cmp_ne_u32_e32 vcc, 3, v2
	v_addc_co_u32_e32 v1, vcc, 0, v1, vcc
	v_lshlrev_b32_e32 v1, 2, v1
	s_waitcnt lgkmcnt(0)
	v_and_b32_e32 v2, 0xffff, v3
	ds_bpermute_b32 v1, v1, v2
	v_cmp_o_f16_e32 vcc, v3, v3
	s_and_saveexec_b64 s[2:3], vcc
	s_cbranch_execz .LBB235_396
; %bb.393:
	s_waitcnt lgkmcnt(0)
	v_cmp_o_f16_e32 vcc, v1, v1
	s_and_saveexec_b64 s[4:5], vcc
; %bb.394:
	v_cmp_gt_f16_e32 vcc, v3, v1
	v_cndmask_b32_e32 v1, v3, v1, vcc
; %bb.395:
	s_or_b64 exec, exec, s[4:5]
	v_mov_b32_e32 v3, v1
.LBB235_396:
	s_or_b64 exec, exec, s[2:3]
	s_waitcnt lgkmcnt(0)
	v_or_b32_e32 v1, 8, v4
	v_and_b32_e32 v2, 0xffff, v3
	ds_bpermute_b32 v1, v1, v2
	v_cmp_o_f16_e32 vcc, v3, v3
	s_and_saveexec_b64 s[2:3], vcc
	s_cbranch_execz .LBB235_400
; %bb.397:
	s_waitcnt lgkmcnt(0)
	v_cmp_o_f16_e32 vcc, v1, v1
	s_and_saveexec_b64 s[4:5], vcc
; %bb.398:
	v_cmp_gt_f16_e32 vcc, v3, v1
	v_cndmask_b32_e32 v1, v3, v1, vcc
; %bb.399:
	s_or_b64 exec, exec, s[4:5]
	v_mov_b32_e32 v3, v1
.LBB235_400:
	s_or_b64 exec, exec, s[2:3]
.LBB235_401:
	s_or_b64 exec, exec, s[0:1]
.LBB235_402:
	v_cmp_eq_u32_e32 vcc, 0, v0
                                        ; implicit-def: $vgpr1
	s_and_saveexec_b64 s[0:1], vcc
	s_cbranch_execz .LBB235_408
; %bb.403:
	v_cmp_u_f16_e64 s[2:3], s33, s33
	s_and_b64 vcc, exec, s[2:3]
	s_waitcnt lgkmcnt(0)
	v_mov_b32_e32 v1, s33
	s_cbranch_vccnz .LBB235_407
; %bb.404:
	v_cmp_o_f16_e32 vcc, v3, v3
	s_and_saveexec_b64 s[2:3], vcc
; %bb.405:
	v_mov_b32_e32 v0, s33
	v_cmp_gt_f16_e32 vcc, s33, v3
	v_cndmask_b32_e32 v3, v0, v3, vcc
; %bb.406:
	s_or_b64 exec, exec, s[2:3]
	v_mov_b32_e32 v1, v3
.LBB235_407:
	s_or_b64 s[34:35], s[34:35], exec
.LBB235_408:
	s_or_b64 exec, exec, s[0:1]
	s_and_saveexec_b64 s[0:1], s[34:35]
	s_cbranch_execz .LBB235_410
.LBB235_409:
	s_lshl_b64 s[0:1], s[40:41], 1
	s_add_u32 s2, s38, s0
	s_addc_u32 s3, s39, s1
	s_lshl_b64 s[0:1], s[6:7], 1
	s_add_u32 s0, s2, s0
	s_addc_u32 s1, s3, s1
	v_mov_b32_e32 v0, 0
	s_waitcnt lgkmcnt(0)
	global_store_short v0, v1, s[0:1]
.LBB235_410:
	s_endpgm
	.section	.rodata,"a",@progbits
	.p2align	6, 0x0
	.amdhsa_kernel _ZN7rocprim17ROCPRIM_400000_NS6detail17trampoline_kernelINS0_14default_configENS1_32segmented_reduce_config_selectorIN3c104HalfEEEZNS1_21segmented_reduce_implIS3_PKS6_PS6_PKlS6_N6hipcub16HIPCUB_304000_NS6detail27convert_result_type_wrapperISA_SB_N2at6native12_GLOBAL__N_19CustomMinEEEEE10hipError_tPvRmT0_T1_jT2_SS_T4_T3_P12ihipStream_tbEUlT_E_NS1_11comp_targetILNS1_3genE2ELNS1_11target_archE906ELNS1_3gpuE6ELNS1_3repE0EEENS1_30default_config_static_selectorELNS0_4arch9wavefront6targetE1EEEvSR_
		.amdhsa_group_segment_fixed_size 8
		.amdhsa_private_segment_fixed_size 0
		.amdhsa_kernarg_size 48
		.amdhsa_user_sgpr_count 6
		.amdhsa_user_sgpr_private_segment_buffer 1
		.amdhsa_user_sgpr_dispatch_ptr 0
		.amdhsa_user_sgpr_queue_ptr 0
		.amdhsa_user_sgpr_kernarg_segment_ptr 1
		.amdhsa_user_sgpr_dispatch_id 0
		.amdhsa_user_sgpr_flat_scratch_init 0
		.amdhsa_user_sgpr_private_segment_size 0
		.amdhsa_uses_dynamic_stack 0
		.amdhsa_system_sgpr_private_segment_wavefront_offset 0
		.amdhsa_system_sgpr_workgroup_id_x 1
		.amdhsa_system_sgpr_workgroup_id_y 0
		.amdhsa_system_sgpr_workgroup_id_z 0
		.amdhsa_system_sgpr_workgroup_info 0
		.amdhsa_system_vgpr_workitem_id 0
		.amdhsa_next_free_vgpr 23
		.amdhsa_next_free_sgpr 52
		.amdhsa_reserve_vcc 1
		.amdhsa_reserve_flat_scratch 0
		.amdhsa_float_round_mode_32 0
		.amdhsa_float_round_mode_16_64 0
		.amdhsa_float_denorm_mode_32 3
		.amdhsa_float_denorm_mode_16_64 3
		.amdhsa_dx10_clamp 1
		.amdhsa_ieee_mode 1
		.amdhsa_fp16_overflow 0
		.amdhsa_exception_fp_ieee_invalid_op 0
		.amdhsa_exception_fp_denorm_src 0
		.amdhsa_exception_fp_ieee_div_zero 0
		.amdhsa_exception_fp_ieee_overflow 0
		.amdhsa_exception_fp_ieee_underflow 0
		.amdhsa_exception_fp_ieee_inexact 0
		.amdhsa_exception_int_div_zero 0
	.end_amdhsa_kernel
	.section	.text._ZN7rocprim17ROCPRIM_400000_NS6detail17trampoline_kernelINS0_14default_configENS1_32segmented_reduce_config_selectorIN3c104HalfEEEZNS1_21segmented_reduce_implIS3_PKS6_PS6_PKlS6_N6hipcub16HIPCUB_304000_NS6detail27convert_result_type_wrapperISA_SB_N2at6native12_GLOBAL__N_19CustomMinEEEEE10hipError_tPvRmT0_T1_jT2_SS_T4_T3_P12ihipStream_tbEUlT_E_NS1_11comp_targetILNS1_3genE2ELNS1_11target_archE906ELNS1_3gpuE6ELNS1_3repE0EEENS1_30default_config_static_selectorELNS0_4arch9wavefront6targetE1EEEvSR_,"axG",@progbits,_ZN7rocprim17ROCPRIM_400000_NS6detail17trampoline_kernelINS0_14default_configENS1_32segmented_reduce_config_selectorIN3c104HalfEEEZNS1_21segmented_reduce_implIS3_PKS6_PS6_PKlS6_N6hipcub16HIPCUB_304000_NS6detail27convert_result_type_wrapperISA_SB_N2at6native12_GLOBAL__N_19CustomMinEEEEE10hipError_tPvRmT0_T1_jT2_SS_T4_T3_P12ihipStream_tbEUlT_E_NS1_11comp_targetILNS1_3genE2ELNS1_11target_archE906ELNS1_3gpuE6ELNS1_3repE0EEENS1_30default_config_static_selectorELNS0_4arch9wavefront6targetE1EEEvSR_,comdat
.Lfunc_end235:
	.size	_ZN7rocprim17ROCPRIM_400000_NS6detail17trampoline_kernelINS0_14default_configENS1_32segmented_reduce_config_selectorIN3c104HalfEEEZNS1_21segmented_reduce_implIS3_PKS6_PS6_PKlS6_N6hipcub16HIPCUB_304000_NS6detail27convert_result_type_wrapperISA_SB_N2at6native12_GLOBAL__N_19CustomMinEEEEE10hipError_tPvRmT0_T1_jT2_SS_T4_T3_P12ihipStream_tbEUlT_E_NS1_11comp_targetILNS1_3genE2ELNS1_11target_archE906ELNS1_3gpuE6ELNS1_3repE0EEENS1_30default_config_static_selectorELNS0_4arch9wavefront6targetE1EEEvSR_, .Lfunc_end235-_ZN7rocprim17ROCPRIM_400000_NS6detail17trampoline_kernelINS0_14default_configENS1_32segmented_reduce_config_selectorIN3c104HalfEEEZNS1_21segmented_reduce_implIS3_PKS6_PS6_PKlS6_N6hipcub16HIPCUB_304000_NS6detail27convert_result_type_wrapperISA_SB_N2at6native12_GLOBAL__N_19CustomMinEEEEE10hipError_tPvRmT0_T1_jT2_SS_T4_T3_P12ihipStream_tbEUlT_E_NS1_11comp_targetILNS1_3genE2ELNS1_11target_archE906ELNS1_3gpuE6ELNS1_3repE0EEENS1_30default_config_static_selectorELNS0_4arch9wavefront6targetE1EEEvSR_
                                        ; -- End function
	.set _ZN7rocprim17ROCPRIM_400000_NS6detail17trampoline_kernelINS0_14default_configENS1_32segmented_reduce_config_selectorIN3c104HalfEEEZNS1_21segmented_reduce_implIS3_PKS6_PS6_PKlS6_N6hipcub16HIPCUB_304000_NS6detail27convert_result_type_wrapperISA_SB_N2at6native12_GLOBAL__N_19CustomMinEEEEE10hipError_tPvRmT0_T1_jT2_SS_T4_T3_P12ihipStream_tbEUlT_E_NS1_11comp_targetILNS1_3genE2ELNS1_11target_archE906ELNS1_3gpuE6ELNS1_3repE0EEENS1_30default_config_static_selectorELNS0_4arch9wavefront6targetE1EEEvSR_.num_vgpr, 23
	.set _ZN7rocprim17ROCPRIM_400000_NS6detail17trampoline_kernelINS0_14default_configENS1_32segmented_reduce_config_selectorIN3c104HalfEEEZNS1_21segmented_reduce_implIS3_PKS6_PS6_PKlS6_N6hipcub16HIPCUB_304000_NS6detail27convert_result_type_wrapperISA_SB_N2at6native12_GLOBAL__N_19CustomMinEEEEE10hipError_tPvRmT0_T1_jT2_SS_T4_T3_P12ihipStream_tbEUlT_E_NS1_11comp_targetILNS1_3genE2ELNS1_11target_archE906ELNS1_3gpuE6ELNS1_3repE0EEENS1_30default_config_static_selectorELNS0_4arch9wavefront6targetE1EEEvSR_.num_agpr, 0
	.set _ZN7rocprim17ROCPRIM_400000_NS6detail17trampoline_kernelINS0_14default_configENS1_32segmented_reduce_config_selectorIN3c104HalfEEEZNS1_21segmented_reduce_implIS3_PKS6_PS6_PKlS6_N6hipcub16HIPCUB_304000_NS6detail27convert_result_type_wrapperISA_SB_N2at6native12_GLOBAL__N_19CustomMinEEEEE10hipError_tPvRmT0_T1_jT2_SS_T4_T3_P12ihipStream_tbEUlT_E_NS1_11comp_targetILNS1_3genE2ELNS1_11target_archE906ELNS1_3gpuE6ELNS1_3repE0EEENS1_30default_config_static_selectorELNS0_4arch9wavefront6targetE1EEEvSR_.numbered_sgpr, 52
	.set _ZN7rocprim17ROCPRIM_400000_NS6detail17trampoline_kernelINS0_14default_configENS1_32segmented_reduce_config_selectorIN3c104HalfEEEZNS1_21segmented_reduce_implIS3_PKS6_PS6_PKlS6_N6hipcub16HIPCUB_304000_NS6detail27convert_result_type_wrapperISA_SB_N2at6native12_GLOBAL__N_19CustomMinEEEEE10hipError_tPvRmT0_T1_jT2_SS_T4_T3_P12ihipStream_tbEUlT_E_NS1_11comp_targetILNS1_3genE2ELNS1_11target_archE906ELNS1_3gpuE6ELNS1_3repE0EEENS1_30default_config_static_selectorELNS0_4arch9wavefront6targetE1EEEvSR_.num_named_barrier, 0
	.set _ZN7rocprim17ROCPRIM_400000_NS6detail17trampoline_kernelINS0_14default_configENS1_32segmented_reduce_config_selectorIN3c104HalfEEEZNS1_21segmented_reduce_implIS3_PKS6_PS6_PKlS6_N6hipcub16HIPCUB_304000_NS6detail27convert_result_type_wrapperISA_SB_N2at6native12_GLOBAL__N_19CustomMinEEEEE10hipError_tPvRmT0_T1_jT2_SS_T4_T3_P12ihipStream_tbEUlT_E_NS1_11comp_targetILNS1_3genE2ELNS1_11target_archE906ELNS1_3gpuE6ELNS1_3repE0EEENS1_30default_config_static_selectorELNS0_4arch9wavefront6targetE1EEEvSR_.private_seg_size, 0
	.set _ZN7rocprim17ROCPRIM_400000_NS6detail17trampoline_kernelINS0_14default_configENS1_32segmented_reduce_config_selectorIN3c104HalfEEEZNS1_21segmented_reduce_implIS3_PKS6_PS6_PKlS6_N6hipcub16HIPCUB_304000_NS6detail27convert_result_type_wrapperISA_SB_N2at6native12_GLOBAL__N_19CustomMinEEEEE10hipError_tPvRmT0_T1_jT2_SS_T4_T3_P12ihipStream_tbEUlT_E_NS1_11comp_targetILNS1_3genE2ELNS1_11target_archE906ELNS1_3gpuE6ELNS1_3repE0EEENS1_30default_config_static_selectorELNS0_4arch9wavefront6targetE1EEEvSR_.uses_vcc, 1
	.set _ZN7rocprim17ROCPRIM_400000_NS6detail17trampoline_kernelINS0_14default_configENS1_32segmented_reduce_config_selectorIN3c104HalfEEEZNS1_21segmented_reduce_implIS3_PKS6_PS6_PKlS6_N6hipcub16HIPCUB_304000_NS6detail27convert_result_type_wrapperISA_SB_N2at6native12_GLOBAL__N_19CustomMinEEEEE10hipError_tPvRmT0_T1_jT2_SS_T4_T3_P12ihipStream_tbEUlT_E_NS1_11comp_targetILNS1_3genE2ELNS1_11target_archE906ELNS1_3gpuE6ELNS1_3repE0EEENS1_30default_config_static_selectorELNS0_4arch9wavefront6targetE1EEEvSR_.uses_flat_scratch, 0
	.set _ZN7rocprim17ROCPRIM_400000_NS6detail17trampoline_kernelINS0_14default_configENS1_32segmented_reduce_config_selectorIN3c104HalfEEEZNS1_21segmented_reduce_implIS3_PKS6_PS6_PKlS6_N6hipcub16HIPCUB_304000_NS6detail27convert_result_type_wrapperISA_SB_N2at6native12_GLOBAL__N_19CustomMinEEEEE10hipError_tPvRmT0_T1_jT2_SS_T4_T3_P12ihipStream_tbEUlT_E_NS1_11comp_targetILNS1_3genE2ELNS1_11target_archE906ELNS1_3gpuE6ELNS1_3repE0EEENS1_30default_config_static_selectorELNS0_4arch9wavefront6targetE1EEEvSR_.has_dyn_sized_stack, 0
	.set _ZN7rocprim17ROCPRIM_400000_NS6detail17trampoline_kernelINS0_14default_configENS1_32segmented_reduce_config_selectorIN3c104HalfEEEZNS1_21segmented_reduce_implIS3_PKS6_PS6_PKlS6_N6hipcub16HIPCUB_304000_NS6detail27convert_result_type_wrapperISA_SB_N2at6native12_GLOBAL__N_19CustomMinEEEEE10hipError_tPvRmT0_T1_jT2_SS_T4_T3_P12ihipStream_tbEUlT_E_NS1_11comp_targetILNS1_3genE2ELNS1_11target_archE906ELNS1_3gpuE6ELNS1_3repE0EEENS1_30default_config_static_selectorELNS0_4arch9wavefront6targetE1EEEvSR_.has_recursion, 0
	.set _ZN7rocprim17ROCPRIM_400000_NS6detail17trampoline_kernelINS0_14default_configENS1_32segmented_reduce_config_selectorIN3c104HalfEEEZNS1_21segmented_reduce_implIS3_PKS6_PS6_PKlS6_N6hipcub16HIPCUB_304000_NS6detail27convert_result_type_wrapperISA_SB_N2at6native12_GLOBAL__N_19CustomMinEEEEE10hipError_tPvRmT0_T1_jT2_SS_T4_T3_P12ihipStream_tbEUlT_E_NS1_11comp_targetILNS1_3genE2ELNS1_11target_archE906ELNS1_3gpuE6ELNS1_3repE0EEENS1_30default_config_static_selectorELNS0_4arch9wavefront6targetE1EEEvSR_.has_indirect_call, 0
	.section	.AMDGPU.csdata,"",@progbits
; Kernel info:
; codeLenInByte = 7140
; TotalNumSgprs: 56
; NumVgprs: 23
; ScratchSize: 0
; MemoryBound: 0
; FloatMode: 240
; IeeeMode: 1
; LDSByteSize: 8 bytes/workgroup (compile time only)
; SGPRBlocks: 6
; VGPRBlocks: 5
; NumSGPRsForWavesPerEU: 56
; NumVGPRsForWavesPerEU: 23
; Occupancy: 10
; WaveLimiterHint : 1
; COMPUTE_PGM_RSRC2:SCRATCH_EN: 0
; COMPUTE_PGM_RSRC2:USER_SGPR: 6
; COMPUTE_PGM_RSRC2:TRAP_HANDLER: 0
; COMPUTE_PGM_RSRC2:TGID_X_EN: 1
; COMPUTE_PGM_RSRC2:TGID_Y_EN: 0
; COMPUTE_PGM_RSRC2:TGID_Z_EN: 0
; COMPUTE_PGM_RSRC2:TIDIG_COMP_CNT: 0
	.section	.text._ZN7rocprim17ROCPRIM_400000_NS6detail17trampoline_kernelINS0_14default_configENS1_32segmented_reduce_config_selectorIN3c104HalfEEEZNS1_21segmented_reduce_implIS3_PKS6_PS6_PKlS6_N6hipcub16HIPCUB_304000_NS6detail27convert_result_type_wrapperISA_SB_N2at6native12_GLOBAL__N_19CustomMinEEEEE10hipError_tPvRmT0_T1_jT2_SS_T4_T3_P12ihipStream_tbEUlT_E_NS1_11comp_targetILNS1_3genE9ELNS1_11target_archE1100ELNS1_3gpuE3ELNS1_3repE0EEENS1_30default_config_static_selectorELNS0_4arch9wavefront6targetE1EEEvSR_,"axG",@progbits,_ZN7rocprim17ROCPRIM_400000_NS6detail17trampoline_kernelINS0_14default_configENS1_32segmented_reduce_config_selectorIN3c104HalfEEEZNS1_21segmented_reduce_implIS3_PKS6_PS6_PKlS6_N6hipcub16HIPCUB_304000_NS6detail27convert_result_type_wrapperISA_SB_N2at6native12_GLOBAL__N_19CustomMinEEEEE10hipError_tPvRmT0_T1_jT2_SS_T4_T3_P12ihipStream_tbEUlT_E_NS1_11comp_targetILNS1_3genE9ELNS1_11target_archE1100ELNS1_3gpuE3ELNS1_3repE0EEENS1_30default_config_static_selectorELNS0_4arch9wavefront6targetE1EEEvSR_,comdat
	.globl	_ZN7rocprim17ROCPRIM_400000_NS6detail17trampoline_kernelINS0_14default_configENS1_32segmented_reduce_config_selectorIN3c104HalfEEEZNS1_21segmented_reduce_implIS3_PKS6_PS6_PKlS6_N6hipcub16HIPCUB_304000_NS6detail27convert_result_type_wrapperISA_SB_N2at6native12_GLOBAL__N_19CustomMinEEEEE10hipError_tPvRmT0_T1_jT2_SS_T4_T3_P12ihipStream_tbEUlT_E_NS1_11comp_targetILNS1_3genE9ELNS1_11target_archE1100ELNS1_3gpuE3ELNS1_3repE0EEENS1_30default_config_static_selectorELNS0_4arch9wavefront6targetE1EEEvSR_ ; -- Begin function _ZN7rocprim17ROCPRIM_400000_NS6detail17trampoline_kernelINS0_14default_configENS1_32segmented_reduce_config_selectorIN3c104HalfEEEZNS1_21segmented_reduce_implIS3_PKS6_PS6_PKlS6_N6hipcub16HIPCUB_304000_NS6detail27convert_result_type_wrapperISA_SB_N2at6native12_GLOBAL__N_19CustomMinEEEEE10hipError_tPvRmT0_T1_jT2_SS_T4_T3_P12ihipStream_tbEUlT_E_NS1_11comp_targetILNS1_3genE9ELNS1_11target_archE1100ELNS1_3gpuE3ELNS1_3repE0EEENS1_30default_config_static_selectorELNS0_4arch9wavefront6targetE1EEEvSR_
	.p2align	8
	.type	_ZN7rocprim17ROCPRIM_400000_NS6detail17trampoline_kernelINS0_14default_configENS1_32segmented_reduce_config_selectorIN3c104HalfEEEZNS1_21segmented_reduce_implIS3_PKS6_PS6_PKlS6_N6hipcub16HIPCUB_304000_NS6detail27convert_result_type_wrapperISA_SB_N2at6native12_GLOBAL__N_19CustomMinEEEEE10hipError_tPvRmT0_T1_jT2_SS_T4_T3_P12ihipStream_tbEUlT_E_NS1_11comp_targetILNS1_3genE9ELNS1_11target_archE1100ELNS1_3gpuE3ELNS1_3repE0EEENS1_30default_config_static_selectorELNS0_4arch9wavefront6targetE1EEEvSR_,@function
_ZN7rocprim17ROCPRIM_400000_NS6detail17trampoline_kernelINS0_14default_configENS1_32segmented_reduce_config_selectorIN3c104HalfEEEZNS1_21segmented_reduce_implIS3_PKS6_PS6_PKlS6_N6hipcub16HIPCUB_304000_NS6detail27convert_result_type_wrapperISA_SB_N2at6native12_GLOBAL__N_19CustomMinEEEEE10hipError_tPvRmT0_T1_jT2_SS_T4_T3_P12ihipStream_tbEUlT_E_NS1_11comp_targetILNS1_3genE9ELNS1_11target_archE1100ELNS1_3gpuE3ELNS1_3repE0EEENS1_30default_config_static_selectorELNS0_4arch9wavefront6targetE1EEEvSR_: ; @_ZN7rocprim17ROCPRIM_400000_NS6detail17trampoline_kernelINS0_14default_configENS1_32segmented_reduce_config_selectorIN3c104HalfEEEZNS1_21segmented_reduce_implIS3_PKS6_PS6_PKlS6_N6hipcub16HIPCUB_304000_NS6detail27convert_result_type_wrapperISA_SB_N2at6native12_GLOBAL__N_19CustomMinEEEEE10hipError_tPvRmT0_T1_jT2_SS_T4_T3_P12ihipStream_tbEUlT_E_NS1_11comp_targetILNS1_3genE9ELNS1_11target_archE1100ELNS1_3gpuE3ELNS1_3repE0EEENS1_30default_config_static_selectorELNS0_4arch9wavefront6targetE1EEEvSR_
; %bb.0:
	.section	.rodata,"a",@progbits
	.p2align	6, 0x0
	.amdhsa_kernel _ZN7rocprim17ROCPRIM_400000_NS6detail17trampoline_kernelINS0_14default_configENS1_32segmented_reduce_config_selectorIN3c104HalfEEEZNS1_21segmented_reduce_implIS3_PKS6_PS6_PKlS6_N6hipcub16HIPCUB_304000_NS6detail27convert_result_type_wrapperISA_SB_N2at6native12_GLOBAL__N_19CustomMinEEEEE10hipError_tPvRmT0_T1_jT2_SS_T4_T3_P12ihipStream_tbEUlT_E_NS1_11comp_targetILNS1_3genE9ELNS1_11target_archE1100ELNS1_3gpuE3ELNS1_3repE0EEENS1_30default_config_static_selectorELNS0_4arch9wavefront6targetE1EEEvSR_
		.amdhsa_group_segment_fixed_size 0
		.amdhsa_private_segment_fixed_size 0
		.amdhsa_kernarg_size 48
		.amdhsa_user_sgpr_count 6
		.amdhsa_user_sgpr_private_segment_buffer 1
		.amdhsa_user_sgpr_dispatch_ptr 0
		.amdhsa_user_sgpr_queue_ptr 0
		.amdhsa_user_sgpr_kernarg_segment_ptr 1
		.amdhsa_user_sgpr_dispatch_id 0
		.amdhsa_user_sgpr_flat_scratch_init 0
		.amdhsa_user_sgpr_private_segment_size 0
		.amdhsa_uses_dynamic_stack 0
		.amdhsa_system_sgpr_private_segment_wavefront_offset 0
		.amdhsa_system_sgpr_workgroup_id_x 1
		.amdhsa_system_sgpr_workgroup_id_y 0
		.amdhsa_system_sgpr_workgroup_id_z 0
		.amdhsa_system_sgpr_workgroup_info 0
		.amdhsa_system_vgpr_workitem_id 0
		.amdhsa_next_free_vgpr 1
		.amdhsa_next_free_sgpr 0
		.amdhsa_reserve_vcc 0
		.amdhsa_reserve_flat_scratch 0
		.amdhsa_float_round_mode_32 0
		.amdhsa_float_round_mode_16_64 0
		.amdhsa_float_denorm_mode_32 3
		.amdhsa_float_denorm_mode_16_64 3
		.amdhsa_dx10_clamp 1
		.amdhsa_ieee_mode 1
		.amdhsa_fp16_overflow 0
		.amdhsa_exception_fp_ieee_invalid_op 0
		.amdhsa_exception_fp_denorm_src 0
		.amdhsa_exception_fp_ieee_div_zero 0
		.amdhsa_exception_fp_ieee_overflow 0
		.amdhsa_exception_fp_ieee_underflow 0
		.amdhsa_exception_fp_ieee_inexact 0
		.amdhsa_exception_int_div_zero 0
	.end_amdhsa_kernel
	.section	.text._ZN7rocprim17ROCPRIM_400000_NS6detail17trampoline_kernelINS0_14default_configENS1_32segmented_reduce_config_selectorIN3c104HalfEEEZNS1_21segmented_reduce_implIS3_PKS6_PS6_PKlS6_N6hipcub16HIPCUB_304000_NS6detail27convert_result_type_wrapperISA_SB_N2at6native12_GLOBAL__N_19CustomMinEEEEE10hipError_tPvRmT0_T1_jT2_SS_T4_T3_P12ihipStream_tbEUlT_E_NS1_11comp_targetILNS1_3genE9ELNS1_11target_archE1100ELNS1_3gpuE3ELNS1_3repE0EEENS1_30default_config_static_selectorELNS0_4arch9wavefront6targetE1EEEvSR_,"axG",@progbits,_ZN7rocprim17ROCPRIM_400000_NS6detail17trampoline_kernelINS0_14default_configENS1_32segmented_reduce_config_selectorIN3c104HalfEEEZNS1_21segmented_reduce_implIS3_PKS6_PS6_PKlS6_N6hipcub16HIPCUB_304000_NS6detail27convert_result_type_wrapperISA_SB_N2at6native12_GLOBAL__N_19CustomMinEEEEE10hipError_tPvRmT0_T1_jT2_SS_T4_T3_P12ihipStream_tbEUlT_E_NS1_11comp_targetILNS1_3genE9ELNS1_11target_archE1100ELNS1_3gpuE3ELNS1_3repE0EEENS1_30default_config_static_selectorELNS0_4arch9wavefront6targetE1EEEvSR_,comdat
.Lfunc_end236:
	.size	_ZN7rocprim17ROCPRIM_400000_NS6detail17trampoline_kernelINS0_14default_configENS1_32segmented_reduce_config_selectorIN3c104HalfEEEZNS1_21segmented_reduce_implIS3_PKS6_PS6_PKlS6_N6hipcub16HIPCUB_304000_NS6detail27convert_result_type_wrapperISA_SB_N2at6native12_GLOBAL__N_19CustomMinEEEEE10hipError_tPvRmT0_T1_jT2_SS_T4_T3_P12ihipStream_tbEUlT_E_NS1_11comp_targetILNS1_3genE9ELNS1_11target_archE1100ELNS1_3gpuE3ELNS1_3repE0EEENS1_30default_config_static_selectorELNS0_4arch9wavefront6targetE1EEEvSR_, .Lfunc_end236-_ZN7rocprim17ROCPRIM_400000_NS6detail17trampoline_kernelINS0_14default_configENS1_32segmented_reduce_config_selectorIN3c104HalfEEEZNS1_21segmented_reduce_implIS3_PKS6_PS6_PKlS6_N6hipcub16HIPCUB_304000_NS6detail27convert_result_type_wrapperISA_SB_N2at6native12_GLOBAL__N_19CustomMinEEEEE10hipError_tPvRmT0_T1_jT2_SS_T4_T3_P12ihipStream_tbEUlT_E_NS1_11comp_targetILNS1_3genE9ELNS1_11target_archE1100ELNS1_3gpuE3ELNS1_3repE0EEENS1_30default_config_static_selectorELNS0_4arch9wavefront6targetE1EEEvSR_
                                        ; -- End function
	.set _ZN7rocprim17ROCPRIM_400000_NS6detail17trampoline_kernelINS0_14default_configENS1_32segmented_reduce_config_selectorIN3c104HalfEEEZNS1_21segmented_reduce_implIS3_PKS6_PS6_PKlS6_N6hipcub16HIPCUB_304000_NS6detail27convert_result_type_wrapperISA_SB_N2at6native12_GLOBAL__N_19CustomMinEEEEE10hipError_tPvRmT0_T1_jT2_SS_T4_T3_P12ihipStream_tbEUlT_E_NS1_11comp_targetILNS1_3genE9ELNS1_11target_archE1100ELNS1_3gpuE3ELNS1_3repE0EEENS1_30default_config_static_selectorELNS0_4arch9wavefront6targetE1EEEvSR_.num_vgpr, 0
	.set _ZN7rocprim17ROCPRIM_400000_NS6detail17trampoline_kernelINS0_14default_configENS1_32segmented_reduce_config_selectorIN3c104HalfEEEZNS1_21segmented_reduce_implIS3_PKS6_PS6_PKlS6_N6hipcub16HIPCUB_304000_NS6detail27convert_result_type_wrapperISA_SB_N2at6native12_GLOBAL__N_19CustomMinEEEEE10hipError_tPvRmT0_T1_jT2_SS_T4_T3_P12ihipStream_tbEUlT_E_NS1_11comp_targetILNS1_3genE9ELNS1_11target_archE1100ELNS1_3gpuE3ELNS1_3repE0EEENS1_30default_config_static_selectorELNS0_4arch9wavefront6targetE1EEEvSR_.num_agpr, 0
	.set _ZN7rocprim17ROCPRIM_400000_NS6detail17trampoline_kernelINS0_14default_configENS1_32segmented_reduce_config_selectorIN3c104HalfEEEZNS1_21segmented_reduce_implIS3_PKS6_PS6_PKlS6_N6hipcub16HIPCUB_304000_NS6detail27convert_result_type_wrapperISA_SB_N2at6native12_GLOBAL__N_19CustomMinEEEEE10hipError_tPvRmT0_T1_jT2_SS_T4_T3_P12ihipStream_tbEUlT_E_NS1_11comp_targetILNS1_3genE9ELNS1_11target_archE1100ELNS1_3gpuE3ELNS1_3repE0EEENS1_30default_config_static_selectorELNS0_4arch9wavefront6targetE1EEEvSR_.numbered_sgpr, 0
	.set _ZN7rocprim17ROCPRIM_400000_NS6detail17trampoline_kernelINS0_14default_configENS1_32segmented_reduce_config_selectorIN3c104HalfEEEZNS1_21segmented_reduce_implIS3_PKS6_PS6_PKlS6_N6hipcub16HIPCUB_304000_NS6detail27convert_result_type_wrapperISA_SB_N2at6native12_GLOBAL__N_19CustomMinEEEEE10hipError_tPvRmT0_T1_jT2_SS_T4_T3_P12ihipStream_tbEUlT_E_NS1_11comp_targetILNS1_3genE9ELNS1_11target_archE1100ELNS1_3gpuE3ELNS1_3repE0EEENS1_30default_config_static_selectorELNS0_4arch9wavefront6targetE1EEEvSR_.num_named_barrier, 0
	.set _ZN7rocprim17ROCPRIM_400000_NS6detail17trampoline_kernelINS0_14default_configENS1_32segmented_reduce_config_selectorIN3c104HalfEEEZNS1_21segmented_reduce_implIS3_PKS6_PS6_PKlS6_N6hipcub16HIPCUB_304000_NS6detail27convert_result_type_wrapperISA_SB_N2at6native12_GLOBAL__N_19CustomMinEEEEE10hipError_tPvRmT0_T1_jT2_SS_T4_T3_P12ihipStream_tbEUlT_E_NS1_11comp_targetILNS1_3genE9ELNS1_11target_archE1100ELNS1_3gpuE3ELNS1_3repE0EEENS1_30default_config_static_selectorELNS0_4arch9wavefront6targetE1EEEvSR_.private_seg_size, 0
	.set _ZN7rocprim17ROCPRIM_400000_NS6detail17trampoline_kernelINS0_14default_configENS1_32segmented_reduce_config_selectorIN3c104HalfEEEZNS1_21segmented_reduce_implIS3_PKS6_PS6_PKlS6_N6hipcub16HIPCUB_304000_NS6detail27convert_result_type_wrapperISA_SB_N2at6native12_GLOBAL__N_19CustomMinEEEEE10hipError_tPvRmT0_T1_jT2_SS_T4_T3_P12ihipStream_tbEUlT_E_NS1_11comp_targetILNS1_3genE9ELNS1_11target_archE1100ELNS1_3gpuE3ELNS1_3repE0EEENS1_30default_config_static_selectorELNS0_4arch9wavefront6targetE1EEEvSR_.uses_vcc, 0
	.set _ZN7rocprim17ROCPRIM_400000_NS6detail17trampoline_kernelINS0_14default_configENS1_32segmented_reduce_config_selectorIN3c104HalfEEEZNS1_21segmented_reduce_implIS3_PKS6_PS6_PKlS6_N6hipcub16HIPCUB_304000_NS6detail27convert_result_type_wrapperISA_SB_N2at6native12_GLOBAL__N_19CustomMinEEEEE10hipError_tPvRmT0_T1_jT2_SS_T4_T3_P12ihipStream_tbEUlT_E_NS1_11comp_targetILNS1_3genE9ELNS1_11target_archE1100ELNS1_3gpuE3ELNS1_3repE0EEENS1_30default_config_static_selectorELNS0_4arch9wavefront6targetE1EEEvSR_.uses_flat_scratch, 0
	.set _ZN7rocprim17ROCPRIM_400000_NS6detail17trampoline_kernelINS0_14default_configENS1_32segmented_reduce_config_selectorIN3c104HalfEEEZNS1_21segmented_reduce_implIS3_PKS6_PS6_PKlS6_N6hipcub16HIPCUB_304000_NS6detail27convert_result_type_wrapperISA_SB_N2at6native12_GLOBAL__N_19CustomMinEEEEE10hipError_tPvRmT0_T1_jT2_SS_T4_T3_P12ihipStream_tbEUlT_E_NS1_11comp_targetILNS1_3genE9ELNS1_11target_archE1100ELNS1_3gpuE3ELNS1_3repE0EEENS1_30default_config_static_selectorELNS0_4arch9wavefront6targetE1EEEvSR_.has_dyn_sized_stack, 0
	.set _ZN7rocprim17ROCPRIM_400000_NS6detail17trampoline_kernelINS0_14default_configENS1_32segmented_reduce_config_selectorIN3c104HalfEEEZNS1_21segmented_reduce_implIS3_PKS6_PS6_PKlS6_N6hipcub16HIPCUB_304000_NS6detail27convert_result_type_wrapperISA_SB_N2at6native12_GLOBAL__N_19CustomMinEEEEE10hipError_tPvRmT0_T1_jT2_SS_T4_T3_P12ihipStream_tbEUlT_E_NS1_11comp_targetILNS1_3genE9ELNS1_11target_archE1100ELNS1_3gpuE3ELNS1_3repE0EEENS1_30default_config_static_selectorELNS0_4arch9wavefront6targetE1EEEvSR_.has_recursion, 0
	.set _ZN7rocprim17ROCPRIM_400000_NS6detail17trampoline_kernelINS0_14default_configENS1_32segmented_reduce_config_selectorIN3c104HalfEEEZNS1_21segmented_reduce_implIS3_PKS6_PS6_PKlS6_N6hipcub16HIPCUB_304000_NS6detail27convert_result_type_wrapperISA_SB_N2at6native12_GLOBAL__N_19CustomMinEEEEE10hipError_tPvRmT0_T1_jT2_SS_T4_T3_P12ihipStream_tbEUlT_E_NS1_11comp_targetILNS1_3genE9ELNS1_11target_archE1100ELNS1_3gpuE3ELNS1_3repE0EEENS1_30default_config_static_selectorELNS0_4arch9wavefront6targetE1EEEvSR_.has_indirect_call, 0
	.section	.AMDGPU.csdata,"",@progbits
; Kernel info:
; codeLenInByte = 0
; TotalNumSgprs: 4
; NumVgprs: 0
; ScratchSize: 0
; MemoryBound: 0
; FloatMode: 240
; IeeeMode: 1
; LDSByteSize: 0 bytes/workgroup (compile time only)
; SGPRBlocks: 0
; VGPRBlocks: 0
; NumSGPRsForWavesPerEU: 4
; NumVGPRsForWavesPerEU: 1
; Occupancy: 10
; WaveLimiterHint : 0
; COMPUTE_PGM_RSRC2:SCRATCH_EN: 0
; COMPUTE_PGM_RSRC2:USER_SGPR: 6
; COMPUTE_PGM_RSRC2:TRAP_HANDLER: 0
; COMPUTE_PGM_RSRC2:TGID_X_EN: 1
; COMPUTE_PGM_RSRC2:TGID_Y_EN: 0
; COMPUTE_PGM_RSRC2:TGID_Z_EN: 0
; COMPUTE_PGM_RSRC2:TIDIG_COMP_CNT: 0
	.section	.text._ZN7rocprim17ROCPRIM_400000_NS6detail17trampoline_kernelINS0_14default_configENS1_32segmented_reduce_config_selectorIN3c104HalfEEEZNS1_21segmented_reduce_implIS3_PKS6_PS6_PKlS6_N6hipcub16HIPCUB_304000_NS6detail27convert_result_type_wrapperISA_SB_N2at6native12_GLOBAL__N_19CustomMinEEEEE10hipError_tPvRmT0_T1_jT2_SS_T4_T3_P12ihipStream_tbEUlT_E_NS1_11comp_targetILNS1_3genE8ELNS1_11target_archE1030ELNS1_3gpuE2ELNS1_3repE0EEENS1_30default_config_static_selectorELNS0_4arch9wavefront6targetE1EEEvSR_,"axG",@progbits,_ZN7rocprim17ROCPRIM_400000_NS6detail17trampoline_kernelINS0_14default_configENS1_32segmented_reduce_config_selectorIN3c104HalfEEEZNS1_21segmented_reduce_implIS3_PKS6_PS6_PKlS6_N6hipcub16HIPCUB_304000_NS6detail27convert_result_type_wrapperISA_SB_N2at6native12_GLOBAL__N_19CustomMinEEEEE10hipError_tPvRmT0_T1_jT2_SS_T4_T3_P12ihipStream_tbEUlT_E_NS1_11comp_targetILNS1_3genE8ELNS1_11target_archE1030ELNS1_3gpuE2ELNS1_3repE0EEENS1_30default_config_static_selectorELNS0_4arch9wavefront6targetE1EEEvSR_,comdat
	.globl	_ZN7rocprim17ROCPRIM_400000_NS6detail17trampoline_kernelINS0_14default_configENS1_32segmented_reduce_config_selectorIN3c104HalfEEEZNS1_21segmented_reduce_implIS3_PKS6_PS6_PKlS6_N6hipcub16HIPCUB_304000_NS6detail27convert_result_type_wrapperISA_SB_N2at6native12_GLOBAL__N_19CustomMinEEEEE10hipError_tPvRmT0_T1_jT2_SS_T4_T3_P12ihipStream_tbEUlT_E_NS1_11comp_targetILNS1_3genE8ELNS1_11target_archE1030ELNS1_3gpuE2ELNS1_3repE0EEENS1_30default_config_static_selectorELNS0_4arch9wavefront6targetE1EEEvSR_ ; -- Begin function _ZN7rocprim17ROCPRIM_400000_NS6detail17trampoline_kernelINS0_14default_configENS1_32segmented_reduce_config_selectorIN3c104HalfEEEZNS1_21segmented_reduce_implIS3_PKS6_PS6_PKlS6_N6hipcub16HIPCUB_304000_NS6detail27convert_result_type_wrapperISA_SB_N2at6native12_GLOBAL__N_19CustomMinEEEEE10hipError_tPvRmT0_T1_jT2_SS_T4_T3_P12ihipStream_tbEUlT_E_NS1_11comp_targetILNS1_3genE8ELNS1_11target_archE1030ELNS1_3gpuE2ELNS1_3repE0EEENS1_30default_config_static_selectorELNS0_4arch9wavefront6targetE1EEEvSR_
	.p2align	8
	.type	_ZN7rocprim17ROCPRIM_400000_NS6detail17trampoline_kernelINS0_14default_configENS1_32segmented_reduce_config_selectorIN3c104HalfEEEZNS1_21segmented_reduce_implIS3_PKS6_PS6_PKlS6_N6hipcub16HIPCUB_304000_NS6detail27convert_result_type_wrapperISA_SB_N2at6native12_GLOBAL__N_19CustomMinEEEEE10hipError_tPvRmT0_T1_jT2_SS_T4_T3_P12ihipStream_tbEUlT_E_NS1_11comp_targetILNS1_3genE8ELNS1_11target_archE1030ELNS1_3gpuE2ELNS1_3repE0EEENS1_30default_config_static_selectorELNS0_4arch9wavefront6targetE1EEEvSR_,@function
_ZN7rocprim17ROCPRIM_400000_NS6detail17trampoline_kernelINS0_14default_configENS1_32segmented_reduce_config_selectorIN3c104HalfEEEZNS1_21segmented_reduce_implIS3_PKS6_PS6_PKlS6_N6hipcub16HIPCUB_304000_NS6detail27convert_result_type_wrapperISA_SB_N2at6native12_GLOBAL__N_19CustomMinEEEEE10hipError_tPvRmT0_T1_jT2_SS_T4_T3_P12ihipStream_tbEUlT_E_NS1_11comp_targetILNS1_3genE8ELNS1_11target_archE1030ELNS1_3gpuE2ELNS1_3repE0EEENS1_30default_config_static_selectorELNS0_4arch9wavefront6targetE1EEEvSR_: ; @_ZN7rocprim17ROCPRIM_400000_NS6detail17trampoline_kernelINS0_14default_configENS1_32segmented_reduce_config_selectorIN3c104HalfEEEZNS1_21segmented_reduce_implIS3_PKS6_PS6_PKlS6_N6hipcub16HIPCUB_304000_NS6detail27convert_result_type_wrapperISA_SB_N2at6native12_GLOBAL__N_19CustomMinEEEEE10hipError_tPvRmT0_T1_jT2_SS_T4_T3_P12ihipStream_tbEUlT_E_NS1_11comp_targetILNS1_3genE8ELNS1_11target_archE1030ELNS1_3gpuE2ELNS1_3repE0EEENS1_30default_config_static_selectorELNS0_4arch9wavefront6targetE1EEEvSR_
; %bb.0:
	.section	.rodata,"a",@progbits
	.p2align	6, 0x0
	.amdhsa_kernel _ZN7rocprim17ROCPRIM_400000_NS6detail17trampoline_kernelINS0_14default_configENS1_32segmented_reduce_config_selectorIN3c104HalfEEEZNS1_21segmented_reduce_implIS3_PKS6_PS6_PKlS6_N6hipcub16HIPCUB_304000_NS6detail27convert_result_type_wrapperISA_SB_N2at6native12_GLOBAL__N_19CustomMinEEEEE10hipError_tPvRmT0_T1_jT2_SS_T4_T3_P12ihipStream_tbEUlT_E_NS1_11comp_targetILNS1_3genE8ELNS1_11target_archE1030ELNS1_3gpuE2ELNS1_3repE0EEENS1_30default_config_static_selectorELNS0_4arch9wavefront6targetE1EEEvSR_
		.amdhsa_group_segment_fixed_size 0
		.amdhsa_private_segment_fixed_size 0
		.amdhsa_kernarg_size 48
		.amdhsa_user_sgpr_count 6
		.amdhsa_user_sgpr_private_segment_buffer 1
		.amdhsa_user_sgpr_dispatch_ptr 0
		.amdhsa_user_sgpr_queue_ptr 0
		.amdhsa_user_sgpr_kernarg_segment_ptr 1
		.amdhsa_user_sgpr_dispatch_id 0
		.amdhsa_user_sgpr_flat_scratch_init 0
		.amdhsa_user_sgpr_private_segment_size 0
		.amdhsa_uses_dynamic_stack 0
		.amdhsa_system_sgpr_private_segment_wavefront_offset 0
		.amdhsa_system_sgpr_workgroup_id_x 1
		.amdhsa_system_sgpr_workgroup_id_y 0
		.amdhsa_system_sgpr_workgroup_id_z 0
		.amdhsa_system_sgpr_workgroup_info 0
		.amdhsa_system_vgpr_workitem_id 0
		.amdhsa_next_free_vgpr 1
		.amdhsa_next_free_sgpr 0
		.amdhsa_reserve_vcc 0
		.amdhsa_reserve_flat_scratch 0
		.amdhsa_float_round_mode_32 0
		.amdhsa_float_round_mode_16_64 0
		.amdhsa_float_denorm_mode_32 3
		.amdhsa_float_denorm_mode_16_64 3
		.amdhsa_dx10_clamp 1
		.amdhsa_ieee_mode 1
		.amdhsa_fp16_overflow 0
		.amdhsa_exception_fp_ieee_invalid_op 0
		.amdhsa_exception_fp_denorm_src 0
		.amdhsa_exception_fp_ieee_div_zero 0
		.amdhsa_exception_fp_ieee_overflow 0
		.amdhsa_exception_fp_ieee_underflow 0
		.amdhsa_exception_fp_ieee_inexact 0
		.amdhsa_exception_int_div_zero 0
	.end_amdhsa_kernel
	.section	.text._ZN7rocprim17ROCPRIM_400000_NS6detail17trampoline_kernelINS0_14default_configENS1_32segmented_reduce_config_selectorIN3c104HalfEEEZNS1_21segmented_reduce_implIS3_PKS6_PS6_PKlS6_N6hipcub16HIPCUB_304000_NS6detail27convert_result_type_wrapperISA_SB_N2at6native12_GLOBAL__N_19CustomMinEEEEE10hipError_tPvRmT0_T1_jT2_SS_T4_T3_P12ihipStream_tbEUlT_E_NS1_11comp_targetILNS1_3genE8ELNS1_11target_archE1030ELNS1_3gpuE2ELNS1_3repE0EEENS1_30default_config_static_selectorELNS0_4arch9wavefront6targetE1EEEvSR_,"axG",@progbits,_ZN7rocprim17ROCPRIM_400000_NS6detail17trampoline_kernelINS0_14default_configENS1_32segmented_reduce_config_selectorIN3c104HalfEEEZNS1_21segmented_reduce_implIS3_PKS6_PS6_PKlS6_N6hipcub16HIPCUB_304000_NS6detail27convert_result_type_wrapperISA_SB_N2at6native12_GLOBAL__N_19CustomMinEEEEE10hipError_tPvRmT0_T1_jT2_SS_T4_T3_P12ihipStream_tbEUlT_E_NS1_11comp_targetILNS1_3genE8ELNS1_11target_archE1030ELNS1_3gpuE2ELNS1_3repE0EEENS1_30default_config_static_selectorELNS0_4arch9wavefront6targetE1EEEvSR_,comdat
.Lfunc_end237:
	.size	_ZN7rocprim17ROCPRIM_400000_NS6detail17trampoline_kernelINS0_14default_configENS1_32segmented_reduce_config_selectorIN3c104HalfEEEZNS1_21segmented_reduce_implIS3_PKS6_PS6_PKlS6_N6hipcub16HIPCUB_304000_NS6detail27convert_result_type_wrapperISA_SB_N2at6native12_GLOBAL__N_19CustomMinEEEEE10hipError_tPvRmT0_T1_jT2_SS_T4_T3_P12ihipStream_tbEUlT_E_NS1_11comp_targetILNS1_3genE8ELNS1_11target_archE1030ELNS1_3gpuE2ELNS1_3repE0EEENS1_30default_config_static_selectorELNS0_4arch9wavefront6targetE1EEEvSR_, .Lfunc_end237-_ZN7rocprim17ROCPRIM_400000_NS6detail17trampoline_kernelINS0_14default_configENS1_32segmented_reduce_config_selectorIN3c104HalfEEEZNS1_21segmented_reduce_implIS3_PKS6_PS6_PKlS6_N6hipcub16HIPCUB_304000_NS6detail27convert_result_type_wrapperISA_SB_N2at6native12_GLOBAL__N_19CustomMinEEEEE10hipError_tPvRmT0_T1_jT2_SS_T4_T3_P12ihipStream_tbEUlT_E_NS1_11comp_targetILNS1_3genE8ELNS1_11target_archE1030ELNS1_3gpuE2ELNS1_3repE0EEENS1_30default_config_static_selectorELNS0_4arch9wavefront6targetE1EEEvSR_
                                        ; -- End function
	.set _ZN7rocprim17ROCPRIM_400000_NS6detail17trampoline_kernelINS0_14default_configENS1_32segmented_reduce_config_selectorIN3c104HalfEEEZNS1_21segmented_reduce_implIS3_PKS6_PS6_PKlS6_N6hipcub16HIPCUB_304000_NS6detail27convert_result_type_wrapperISA_SB_N2at6native12_GLOBAL__N_19CustomMinEEEEE10hipError_tPvRmT0_T1_jT2_SS_T4_T3_P12ihipStream_tbEUlT_E_NS1_11comp_targetILNS1_3genE8ELNS1_11target_archE1030ELNS1_3gpuE2ELNS1_3repE0EEENS1_30default_config_static_selectorELNS0_4arch9wavefront6targetE1EEEvSR_.num_vgpr, 0
	.set _ZN7rocprim17ROCPRIM_400000_NS6detail17trampoline_kernelINS0_14default_configENS1_32segmented_reduce_config_selectorIN3c104HalfEEEZNS1_21segmented_reduce_implIS3_PKS6_PS6_PKlS6_N6hipcub16HIPCUB_304000_NS6detail27convert_result_type_wrapperISA_SB_N2at6native12_GLOBAL__N_19CustomMinEEEEE10hipError_tPvRmT0_T1_jT2_SS_T4_T3_P12ihipStream_tbEUlT_E_NS1_11comp_targetILNS1_3genE8ELNS1_11target_archE1030ELNS1_3gpuE2ELNS1_3repE0EEENS1_30default_config_static_selectorELNS0_4arch9wavefront6targetE1EEEvSR_.num_agpr, 0
	.set _ZN7rocprim17ROCPRIM_400000_NS6detail17trampoline_kernelINS0_14default_configENS1_32segmented_reduce_config_selectorIN3c104HalfEEEZNS1_21segmented_reduce_implIS3_PKS6_PS6_PKlS6_N6hipcub16HIPCUB_304000_NS6detail27convert_result_type_wrapperISA_SB_N2at6native12_GLOBAL__N_19CustomMinEEEEE10hipError_tPvRmT0_T1_jT2_SS_T4_T3_P12ihipStream_tbEUlT_E_NS1_11comp_targetILNS1_3genE8ELNS1_11target_archE1030ELNS1_3gpuE2ELNS1_3repE0EEENS1_30default_config_static_selectorELNS0_4arch9wavefront6targetE1EEEvSR_.numbered_sgpr, 0
	.set _ZN7rocprim17ROCPRIM_400000_NS6detail17trampoline_kernelINS0_14default_configENS1_32segmented_reduce_config_selectorIN3c104HalfEEEZNS1_21segmented_reduce_implIS3_PKS6_PS6_PKlS6_N6hipcub16HIPCUB_304000_NS6detail27convert_result_type_wrapperISA_SB_N2at6native12_GLOBAL__N_19CustomMinEEEEE10hipError_tPvRmT0_T1_jT2_SS_T4_T3_P12ihipStream_tbEUlT_E_NS1_11comp_targetILNS1_3genE8ELNS1_11target_archE1030ELNS1_3gpuE2ELNS1_3repE0EEENS1_30default_config_static_selectorELNS0_4arch9wavefront6targetE1EEEvSR_.num_named_barrier, 0
	.set _ZN7rocprim17ROCPRIM_400000_NS6detail17trampoline_kernelINS0_14default_configENS1_32segmented_reduce_config_selectorIN3c104HalfEEEZNS1_21segmented_reduce_implIS3_PKS6_PS6_PKlS6_N6hipcub16HIPCUB_304000_NS6detail27convert_result_type_wrapperISA_SB_N2at6native12_GLOBAL__N_19CustomMinEEEEE10hipError_tPvRmT0_T1_jT2_SS_T4_T3_P12ihipStream_tbEUlT_E_NS1_11comp_targetILNS1_3genE8ELNS1_11target_archE1030ELNS1_3gpuE2ELNS1_3repE0EEENS1_30default_config_static_selectorELNS0_4arch9wavefront6targetE1EEEvSR_.private_seg_size, 0
	.set _ZN7rocprim17ROCPRIM_400000_NS6detail17trampoline_kernelINS0_14default_configENS1_32segmented_reduce_config_selectorIN3c104HalfEEEZNS1_21segmented_reduce_implIS3_PKS6_PS6_PKlS6_N6hipcub16HIPCUB_304000_NS6detail27convert_result_type_wrapperISA_SB_N2at6native12_GLOBAL__N_19CustomMinEEEEE10hipError_tPvRmT0_T1_jT2_SS_T4_T3_P12ihipStream_tbEUlT_E_NS1_11comp_targetILNS1_3genE8ELNS1_11target_archE1030ELNS1_3gpuE2ELNS1_3repE0EEENS1_30default_config_static_selectorELNS0_4arch9wavefront6targetE1EEEvSR_.uses_vcc, 0
	.set _ZN7rocprim17ROCPRIM_400000_NS6detail17trampoline_kernelINS0_14default_configENS1_32segmented_reduce_config_selectorIN3c104HalfEEEZNS1_21segmented_reduce_implIS3_PKS6_PS6_PKlS6_N6hipcub16HIPCUB_304000_NS6detail27convert_result_type_wrapperISA_SB_N2at6native12_GLOBAL__N_19CustomMinEEEEE10hipError_tPvRmT0_T1_jT2_SS_T4_T3_P12ihipStream_tbEUlT_E_NS1_11comp_targetILNS1_3genE8ELNS1_11target_archE1030ELNS1_3gpuE2ELNS1_3repE0EEENS1_30default_config_static_selectorELNS0_4arch9wavefront6targetE1EEEvSR_.uses_flat_scratch, 0
	.set _ZN7rocprim17ROCPRIM_400000_NS6detail17trampoline_kernelINS0_14default_configENS1_32segmented_reduce_config_selectorIN3c104HalfEEEZNS1_21segmented_reduce_implIS3_PKS6_PS6_PKlS6_N6hipcub16HIPCUB_304000_NS6detail27convert_result_type_wrapperISA_SB_N2at6native12_GLOBAL__N_19CustomMinEEEEE10hipError_tPvRmT0_T1_jT2_SS_T4_T3_P12ihipStream_tbEUlT_E_NS1_11comp_targetILNS1_3genE8ELNS1_11target_archE1030ELNS1_3gpuE2ELNS1_3repE0EEENS1_30default_config_static_selectorELNS0_4arch9wavefront6targetE1EEEvSR_.has_dyn_sized_stack, 0
	.set _ZN7rocprim17ROCPRIM_400000_NS6detail17trampoline_kernelINS0_14default_configENS1_32segmented_reduce_config_selectorIN3c104HalfEEEZNS1_21segmented_reduce_implIS3_PKS6_PS6_PKlS6_N6hipcub16HIPCUB_304000_NS6detail27convert_result_type_wrapperISA_SB_N2at6native12_GLOBAL__N_19CustomMinEEEEE10hipError_tPvRmT0_T1_jT2_SS_T4_T3_P12ihipStream_tbEUlT_E_NS1_11comp_targetILNS1_3genE8ELNS1_11target_archE1030ELNS1_3gpuE2ELNS1_3repE0EEENS1_30default_config_static_selectorELNS0_4arch9wavefront6targetE1EEEvSR_.has_recursion, 0
	.set _ZN7rocprim17ROCPRIM_400000_NS6detail17trampoline_kernelINS0_14default_configENS1_32segmented_reduce_config_selectorIN3c104HalfEEEZNS1_21segmented_reduce_implIS3_PKS6_PS6_PKlS6_N6hipcub16HIPCUB_304000_NS6detail27convert_result_type_wrapperISA_SB_N2at6native12_GLOBAL__N_19CustomMinEEEEE10hipError_tPvRmT0_T1_jT2_SS_T4_T3_P12ihipStream_tbEUlT_E_NS1_11comp_targetILNS1_3genE8ELNS1_11target_archE1030ELNS1_3gpuE2ELNS1_3repE0EEENS1_30default_config_static_selectorELNS0_4arch9wavefront6targetE1EEEvSR_.has_indirect_call, 0
	.section	.AMDGPU.csdata,"",@progbits
; Kernel info:
; codeLenInByte = 0
; TotalNumSgprs: 4
; NumVgprs: 0
; ScratchSize: 0
; MemoryBound: 0
; FloatMode: 240
; IeeeMode: 1
; LDSByteSize: 0 bytes/workgroup (compile time only)
; SGPRBlocks: 0
; VGPRBlocks: 0
; NumSGPRsForWavesPerEU: 4
; NumVGPRsForWavesPerEU: 1
; Occupancy: 10
; WaveLimiterHint : 0
; COMPUTE_PGM_RSRC2:SCRATCH_EN: 0
; COMPUTE_PGM_RSRC2:USER_SGPR: 6
; COMPUTE_PGM_RSRC2:TRAP_HANDLER: 0
; COMPUTE_PGM_RSRC2:TGID_X_EN: 1
; COMPUTE_PGM_RSRC2:TGID_Y_EN: 0
; COMPUTE_PGM_RSRC2:TGID_Z_EN: 0
; COMPUTE_PGM_RSRC2:TIDIG_COMP_CNT: 0
	.section	.text._ZN7rocprim17ROCPRIM_400000_NS6detail17trampoline_kernelINS0_14default_configENS1_32segmented_reduce_config_selectorIN3c104HalfEEEZNS1_21segmented_reduce_implIS3_PKS6_PS6_PKlS6_N6hipcub16HIPCUB_304000_NS6detail27convert_result_type_wrapperISA_SB_N2at6native12_GLOBAL__N_110CustomProdEEEEE10hipError_tPvRmT0_T1_jT2_SS_T4_T3_P12ihipStream_tbEUlT_E_NS1_11comp_targetILNS1_3genE0ELNS1_11target_archE4294967295ELNS1_3gpuE0ELNS1_3repE0EEENS1_30default_config_static_selectorELNS0_4arch9wavefront6targetE1EEEvSR_,"axG",@progbits,_ZN7rocprim17ROCPRIM_400000_NS6detail17trampoline_kernelINS0_14default_configENS1_32segmented_reduce_config_selectorIN3c104HalfEEEZNS1_21segmented_reduce_implIS3_PKS6_PS6_PKlS6_N6hipcub16HIPCUB_304000_NS6detail27convert_result_type_wrapperISA_SB_N2at6native12_GLOBAL__N_110CustomProdEEEEE10hipError_tPvRmT0_T1_jT2_SS_T4_T3_P12ihipStream_tbEUlT_E_NS1_11comp_targetILNS1_3genE0ELNS1_11target_archE4294967295ELNS1_3gpuE0ELNS1_3repE0EEENS1_30default_config_static_selectorELNS0_4arch9wavefront6targetE1EEEvSR_,comdat
	.globl	_ZN7rocprim17ROCPRIM_400000_NS6detail17trampoline_kernelINS0_14default_configENS1_32segmented_reduce_config_selectorIN3c104HalfEEEZNS1_21segmented_reduce_implIS3_PKS6_PS6_PKlS6_N6hipcub16HIPCUB_304000_NS6detail27convert_result_type_wrapperISA_SB_N2at6native12_GLOBAL__N_110CustomProdEEEEE10hipError_tPvRmT0_T1_jT2_SS_T4_T3_P12ihipStream_tbEUlT_E_NS1_11comp_targetILNS1_3genE0ELNS1_11target_archE4294967295ELNS1_3gpuE0ELNS1_3repE0EEENS1_30default_config_static_selectorELNS0_4arch9wavefront6targetE1EEEvSR_ ; -- Begin function _ZN7rocprim17ROCPRIM_400000_NS6detail17trampoline_kernelINS0_14default_configENS1_32segmented_reduce_config_selectorIN3c104HalfEEEZNS1_21segmented_reduce_implIS3_PKS6_PS6_PKlS6_N6hipcub16HIPCUB_304000_NS6detail27convert_result_type_wrapperISA_SB_N2at6native12_GLOBAL__N_110CustomProdEEEEE10hipError_tPvRmT0_T1_jT2_SS_T4_T3_P12ihipStream_tbEUlT_E_NS1_11comp_targetILNS1_3genE0ELNS1_11target_archE4294967295ELNS1_3gpuE0ELNS1_3repE0EEENS1_30default_config_static_selectorELNS0_4arch9wavefront6targetE1EEEvSR_
	.p2align	8
	.type	_ZN7rocprim17ROCPRIM_400000_NS6detail17trampoline_kernelINS0_14default_configENS1_32segmented_reduce_config_selectorIN3c104HalfEEEZNS1_21segmented_reduce_implIS3_PKS6_PS6_PKlS6_N6hipcub16HIPCUB_304000_NS6detail27convert_result_type_wrapperISA_SB_N2at6native12_GLOBAL__N_110CustomProdEEEEE10hipError_tPvRmT0_T1_jT2_SS_T4_T3_P12ihipStream_tbEUlT_E_NS1_11comp_targetILNS1_3genE0ELNS1_11target_archE4294967295ELNS1_3gpuE0ELNS1_3repE0EEENS1_30default_config_static_selectorELNS0_4arch9wavefront6targetE1EEEvSR_,@function
_ZN7rocprim17ROCPRIM_400000_NS6detail17trampoline_kernelINS0_14default_configENS1_32segmented_reduce_config_selectorIN3c104HalfEEEZNS1_21segmented_reduce_implIS3_PKS6_PS6_PKlS6_N6hipcub16HIPCUB_304000_NS6detail27convert_result_type_wrapperISA_SB_N2at6native12_GLOBAL__N_110CustomProdEEEEE10hipError_tPvRmT0_T1_jT2_SS_T4_T3_P12ihipStream_tbEUlT_E_NS1_11comp_targetILNS1_3genE0ELNS1_11target_archE4294967295ELNS1_3gpuE0ELNS1_3repE0EEENS1_30default_config_static_selectorELNS0_4arch9wavefront6targetE1EEEvSR_: ; @_ZN7rocprim17ROCPRIM_400000_NS6detail17trampoline_kernelINS0_14default_configENS1_32segmented_reduce_config_selectorIN3c104HalfEEEZNS1_21segmented_reduce_implIS3_PKS6_PS6_PKlS6_N6hipcub16HIPCUB_304000_NS6detail27convert_result_type_wrapperISA_SB_N2at6native12_GLOBAL__N_110CustomProdEEEEE10hipError_tPvRmT0_T1_jT2_SS_T4_T3_P12ihipStream_tbEUlT_E_NS1_11comp_targetILNS1_3genE0ELNS1_11target_archE4294967295ELNS1_3gpuE0ELNS1_3repE0EEENS1_30default_config_static_selectorELNS0_4arch9wavefront6targetE1EEEvSR_
; %bb.0:
	.section	.rodata,"a",@progbits
	.p2align	6, 0x0
	.amdhsa_kernel _ZN7rocprim17ROCPRIM_400000_NS6detail17trampoline_kernelINS0_14default_configENS1_32segmented_reduce_config_selectorIN3c104HalfEEEZNS1_21segmented_reduce_implIS3_PKS6_PS6_PKlS6_N6hipcub16HIPCUB_304000_NS6detail27convert_result_type_wrapperISA_SB_N2at6native12_GLOBAL__N_110CustomProdEEEEE10hipError_tPvRmT0_T1_jT2_SS_T4_T3_P12ihipStream_tbEUlT_E_NS1_11comp_targetILNS1_3genE0ELNS1_11target_archE4294967295ELNS1_3gpuE0ELNS1_3repE0EEENS1_30default_config_static_selectorELNS0_4arch9wavefront6targetE1EEEvSR_
		.amdhsa_group_segment_fixed_size 0
		.amdhsa_private_segment_fixed_size 0
		.amdhsa_kernarg_size 48
		.amdhsa_user_sgpr_count 6
		.amdhsa_user_sgpr_private_segment_buffer 1
		.amdhsa_user_sgpr_dispatch_ptr 0
		.amdhsa_user_sgpr_queue_ptr 0
		.amdhsa_user_sgpr_kernarg_segment_ptr 1
		.amdhsa_user_sgpr_dispatch_id 0
		.amdhsa_user_sgpr_flat_scratch_init 0
		.amdhsa_user_sgpr_private_segment_size 0
		.amdhsa_uses_dynamic_stack 0
		.amdhsa_system_sgpr_private_segment_wavefront_offset 0
		.amdhsa_system_sgpr_workgroup_id_x 1
		.amdhsa_system_sgpr_workgroup_id_y 0
		.amdhsa_system_sgpr_workgroup_id_z 0
		.amdhsa_system_sgpr_workgroup_info 0
		.amdhsa_system_vgpr_workitem_id 0
		.amdhsa_next_free_vgpr 1
		.amdhsa_next_free_sgpr 0
		.amdhsa_reserve_vcc 0
		.amdhsa_reserve_flat_scratch 0
		.amdhsa_float_round_mode_32 0
		.amdhsa_float_round_mode_16_64 0
		.amdhsa_float_denorm_mode_32 3
		.amdhsa_float_denorm_mode_16_64 3
		.amdhsa_dx10_clamp 1
		.amdhsa_ieee_mode 1
		.amdhsa_fp16_overflow 0
		.amdhsa_exception_fp_ieee_invalid_op 0
		.amdhsa_exception_fp_denorm_src 0
		.amdhsa_exception_fp_ieee_div_zero 0
		.amdhsa_exception_fp_ieee_overflow 0
		.amdhsa_exception_fp_ieee_underflow 0
		.amdhsa_exception_fp_ieee_inexact 0
		.amdhsa_exception_int_div_zero 0
	.end_amdhsa_kernel
	.section	.text._ZN7rocprim17ROCPRIM_400000_NS6detail17trampoline_kernelINS0_14default_configENS1_32segmented_reduce_config_selectorIN3c104HalfEEEZNS1_21segmented_reduce_implIS3_PKS6_PS6_PKlS6_N6hipcub16HIPCUB_304000_NS6detail27convert_result_type_wrapperISA_SB_N2at6native12_GLOBAL__N_110CustomProdEEEEE10hipError_tPvRmT0_T1_jT2_SS_T4_T3_P12ihipStream_tbEUlT_E_NS1_11comp_targetILNS1_3genE0ELNS1_11target_archE4294967295ELNS1_3gpuE0ELNS1_3repE0EEENS1_30default_config_static_selectorELNS0_4arch9wavefront6targetE1EEEvSR_,"axG",@progbits,_ZN7rocprim17ROCPRIM_400000_NS6detail17trampoline_kernelINS0_14default_configENS1_32segmented_reduce_config_selectorIN3c104HalfEEEZNS1_21segmented_reduce_implIS3_PKS6_PS6_PKlS6_N6hipcub16HIPCUB_304000_NS6detail27convert_result_type_wrapperISA_SB_N2at6native12_GLOBAL__N_110CustomProdEEEEE10hipError_tPvRmT0_T1_jT2_SS_T4_T3_P12ihipStream_tbEUlT_E_NS1_11comp_targetILNS1_3genE0ELNS1_11target_archE4294967295ELNS1_3gpuE0ELNS1_3repE0EEENS1_30default_config_static_selectorELNS0_4arch9wavefront6targetE1EEEvSR_,comdat
.Lfunc_end238:
	.size	_ZN7rocprim17ROCPRIM_400000_NS6detail17trampoline_kernelINS0_14default_configENS1_32segmented_reduce_config_selectorIN3c104HalfEEEZNS1_21segmented_reduce_implIS3_PKS6_PS6_PKlS6_N6hipcub16HIPCUB_304000_NS6detail27convert_result_type_wrapperISA_SB_N2at6native12_GLOBAL__N_110CustomProdEEEEE10hipError_tPvRmT0_T1_jT2_SS_T4_T3_P12ihipStream_tbEUlT_E_NS1_11comp_targetILNS1_3genE0ELNS1_11target_archE4294967295ELNS1_3gpuE0ELNS1_3repE0EEENS1_30default_config_static_selectorELNS0_4arch9wavefront6targetE1EEEvSR_, .Lfunc_end238-_ZN7rocprim17ROCPRIM_400000_NS6detail17trampoline_kernelINS0_14default_configENS1_32segmented_reduce_config_selectorIN3c104HalfEEEZNS1_21segmented_reduce_implIS3_PKS6_PS6_PKlS6_N6hipcub16HIPCUB_304000_NS6detail27convert_result_type_wrapperISA_SB_N2at6native12_GLOBAL__N_110CustomProdEEEEE10hipError_tPvRmT0_T1_jT2_SS_T4_T3_P12ihipStream_tbEUlT_E_NS1_11comp_targetILNS1_3genE0ELNS1_11target_archE4294967295ELNS1_3gpuE0ELNS1_3repE0EEENS1_30default_config_static_selectorELNS0_4arch9wavefront6targetE1EEEvSR_
                                        ; -- End function
	.set _ZN7rocprim17ROCPRIM_400000_NS6detail17trampoline_kernelINS0_14default_configENS1_32segmented_reduce_config_selectorIN3c104HalfEEEZNS1_21segmented_reduce_implIS3_PKS6_PS6_PKlS6_N6hipcub16HIPCUB_304000_NS6detail27convert_result_type_wrapperISA_SB_N2at6native12_GLOBAL__N_110CustomProdEEEEE10hipError_tPvRmT0_T1_jT2_SS_T4_T3_P12ihipStream_tbEUlT_E_NS1_11comp_targetILNS1_3genE0ELNS1_11target_archE4294967295ELNS1_3gpuE0ELNS1_3repE0EEENS1_30default_config_static_selectorELNS0_4arch9wavefront6targetE1EEEvSR_.num_vgpr, 0
	.set _ZN7rocprim17ROCPRIM_400000_NS6detail17trampoline_kernelINS0_14default_configENS1_32segmented_reduce_config_selectorIN3c104HalfEEEZNS1_21segmented_reduce_implIS3_PKS6_PS6_PKlS6_N6hipcub16HIPCUB_304000_NS6detail27convert_result_type_wrapperISA_SB_N2at6native12_GLOBAL__N_110CustomProdEEEEE10hipError_tPvRmT0_T1_jT2_SS_T4_T3_P12ihipStream_tbEUlT_E_NS1_11comp_targetILNS1_3genE0ELNS1_11target_archE4294967295ELNS1_3gpuE0ELNS1_3repE0EEENS1_30default_config_static_selectorELNS0_4arch9wavefront6targetE1EEEvSR_.num_agpr, 0
	.set _ZN7rocprim17ROCPRIM_400000_NS6detail17trampoline_kernelINS0_14default_configENS1_32segmented_reduce_config_selectorIN3c104HalfEEEZNS1_21segmented_reduce_implIS3_PKS6_PS6_PKlS6_N6hipcub16HIPCUB_304000_NS6detail27convert_result_type_wrapperISA_SB_N2at6native12_GLOBAL__N_110CustomProdEEEEE10hipError_tPvRmT0_T1_jT2_SS_T4_T3_P12ihipStream_tbEUlT_E_NS1_11comp_targetILNS1_3genE0ELNS1_11target_archE4294967295ELNS1_3gpuE0ELNS1_3repE0EEENS1_30default_config_static_selectorELNS0_4arch9wavefront6targetE1EEEvSR_.numbered_sgpr, 0
	.set _ZN7rocprim17ROCPRIM_400000_NS6detail17trampoline_kernelINS0_14default_configENS1_32segmented_reduce_config_selectorIN3c104HalfEEEZNS1_21segmented_reduce_implIS3_PKS6_PS6_PKlS6_N6hipcub16HIPCUB_304000_NS6detail27convert_result_type_wrapperISA_SB_N2at6native12_GLOBAL__N_110CustomProdEEEEE10hipError_tPvRmT0_T1_jT2_SS_T4_T3_P12ihipStream_tbEUlT_E_NS1_11comp_targetILNS1_3genE0ELNS1_11target_archE4294967295ELNS1_3gpuE0ELNS1_3repE0EEENS1_30default_config_static_selectorELNS0_4arch9wavefront6targetE1EEEvSR_.num_named_barrier, 0
	.set _ZN7rocprim17ROCPRIM_400000_NS6detail17trampoline_kernelINS0_14default_configENS1_32segmented_reduce_config_selectorIN3c104HalfEEEZNS1_21segmented_reduce_implIS3_PKS6_PS6_PKlS6_N6hipcub16HIPCUB_304000_NS6detail27convert_result_type_wrapperISA_SB_N2at6native12_GLOBAL__N_110CustomProdEEEEE10hipError_tPvRmT0_T1_jT2_SS_T4_T3_P12ihipStream_tbEUlT_E_NS1_11comp_targetILNS1_3genE0ELNS1_11target_archE4294967295ELNS1_3gpuE0ELNS1_3repE0EEENS1_30default_config_static_selectorELNS0_4arch9wavefront6targetE1EEEvSR_.private_seg_size, 0
	.set _ZN7rocprim17ROCPRIM_400000_NS6detail17trampoline_kernelINS0_14default_configENS1_32segmented_reduce_config_selectorIN3c104HalfEEEZNS1_21segmented_reduce_implIS3_PKS6_PS6_PKlS6_N6hipcub16HIPCUB_304000_NS6detail27convert_result_type_wrapperISA_SB_N2at6native12_GLOBAL__N_110CustomProdEEEEE10hipError_tPvRmT0_T1_jT2_SS_T4_T3_P12ihipStream_tbEUlT_E_NS1_11comp_targetILNS1_3genE0ELNS1_11target_archE4294967295ELNS1_3gpuE0ELNS1_3repE0EEENS1_30default_config_static_selectorELNS0_4arch9wavefront6targetE1EEEvSR_.uses_vcc, 0
	.set _ZN7rocprim17ROCPRIM_400000_NS6detail17trampoline_kernelINS0_14default_configENS1_32segmented_reduce_config_selectorIN3c104HalfEEEZNS1_21segmented_reduce_implIS3_PKS6_PS6_PKlS6_N6hipcub16HIPCUB_304000_NS6detail27convert_result_type_wrapperISA_SB_N2at6native12_GLOBAL__N_110CustomProdEEEEE10hipError_tPvRmT0_T1_jT2_SS_T4_T3_P12ihipStream_tbEUlT_E_NS1_11comp_targetILNS1_3genE0ELNS1_11target_archE4294967295ELNS1_3gpuE0ELNS1_3repE0EEENS1_30default_config_static_selectorELNS0_4arch9wavefront6targetE1EEEvSR_.uses_flat_scratch, 0
	.set _ZN7rocprim17ROCPRIM_400000_NS6detail17trampoline_kernelINS0_14default_configENS1_32segmented_reduce_config_selectorIN3c104HalfEEEZNS1_21segmented_reduce_implIS3_PKS6_PS6_PKlS6_N6hipcub16HIPCUB_304000_NS6detail27convert_result_type_wrapperISA_SB_N2at6native12_GLOBAL__N_110CustomProdEEEEE10hipError_tPvRmT0_T1_jT2_SS_T4_T3_P12ihipStream_tbEUlT_E_NS1_11comp_targetILNS1_3genE0ELNS1_11target_archE4294967295ELNS1_3gpuE0ELNS1_3repE0EEENS1_30default_config_static_selectorELNS0_4arch9wavefront6targetE1EEEvSR_.has_dyn_sized_stack, 0
	.set _ZN7rocprim17ROCPRIM_400000_NS6detail17trampoline_kernelINS0_14default_configENS1_32segmented_reduce_config_selectorIN3c104HalfEEEZNS1_21segmented_reduce_implIS3_PKS6_PS6_PKlS6_N6hipcub16HIPCUB_304000_NS6detail27convert_result_type_wrapperISA_SB_N2at6native12_GLOBAL__N_110CustomProdEEEEE10hipError_tPvRmT0_T1_jT2_SS_T4_T3_P12ihipStream_tbEUlT_E_NS1_11comp_targetILNS1_3genE0ELNS1_11target_archE4294967295ELNS1_3gpuE0ELNS1_3repE0EEENS1_30default_config_static_selectorELNS0_4arch9wavefront6targetE1EEEvSR_.has_recursion, 0
	.set _ZN7rocprim17ROCPRIM_400000_NS6detail17trampoline_kernelINS0_14default_configENS1_32segmented_reduce_config_selectorIN3c104HalfEEEZNS1_21segmented_reduce_implIS3_PKS6_PS6_PKlS6_N6hipcub16HIPCUB_304000_NS6detail27convert_result_type_wrapperISA_SB_N2at6native12_GLOBAL__N_110CustomProdEEEEE10hipError_tPvRmT0_T1_jT2_SS_T4_T3_P12ihipStream_tbEUlT_E_NS1_11comp_targetILNS1_3genE0ELNS1_11target_archE4294967295ELNS1_3gpuE0ELNS1_3repE0EEENS1_30default_config_static_selectorELNS0_4arch9wavefront6targetE1EEEvSR_.has_indirect_call, 0
	.section	.AMDGPU.csdata,"",@progbits
; Kernel info:
; codeLenInByte = 0
; TotalNumSgprs: 4
; NumVgprs: 0
; ScratchSize: 0
; MemoryBound: 0
; FloatMode: 240
; IeeeMode: 1
; LDSByteSize: 0 bytes/workgroup (compile time only)
; SGPRBlocks: 0
; VGPRBlocks: 0
; NumSGPRsForWavesPerEU: 4
; NumVGPRsForWavesPerEU: 1
; Occupancy: 10
; WaveLimiterHint : 0
; COMPUTE_PGM_RSRC2:SCRATCH_EN: 0
; COMPUTE_PGM_RSRC2:USER_SGPR: 6
; COMPUTE_PGM_RSRC2:TRAP_HANDLER: 0
; COMPUTE_PGM_RSRC2:TGID_X_EN: 1
; COMPUTE_PGM_RSRC2:TGID_Y_EN: 0
; COMPUTE_PGM_RSRC2:TGID_Z_EN: 0
; COMPUTE_PGM_RSRC2:TIDIG_COMP_CNT: 0
	.section	.text._ZN7rocprim17ROCPRIM_400000_NS6detail17trampoline_kernelINS0_14default_configENS1_32segmented_reduce_config_selectorIN3c104HalfEEEZNS1_21segmented_reduce_implIS3_PKS6_PS6_PKlS6_N6hipcub16HIPCUB_304000_NS6detail27convert_result_type_wrapperISA_SB_N2at6native12_GLOBAL__N_110CustomProdEEEEE10hipError_tPvRmT0_T1_jT2_SS_T4_T3_P12ihipStream_tbEUlT_E_NS1_11comp_targetILNS1_3genE5ELNS1_11target_archE942ELNS1_3gpuE9ELNS1_3repE0EEENS1_30default_config_static_selectorELNS0_4arch9wavefront6targetE1EEEvSR_,"axG",@progbits,_ZN7rocprim17ROCPRIM_400000_NS6detail17trampoline_kernelINS0_14default_configENS1_32segmented_reduce_config_selectorIN3c104HalfEEEZNS1_21segmented_reduce_implIS3_PKS6_PS6_PKlS6_N6hipcub16HIPCUB_304000_NS6detail27convert_result_type_wrapperISA_SB_N2at6native12_GLOBAL__N_110CustomProdEEEEE10hipError_tPvRmT0_T1_jT2_SS_T4_T3_P12ihipStream_tbEUlT_E_NS1_11comp_targetILNS1_3genE5ELNS1_11target_archE942ELNS1_3gpuE9ELNS1_3repE0EEENS1_30default_config_static_selectorELNS0_4arch9wavefront6targetE1EEEvSR_,comdat
	.globl	_ZN7rocprim17ROCPRIM_400000_NS6detail17trampoline_kernelINS0_14default_configENS1_32segmented_reduce_config_selectorIN3c104HalfEEEZNS1_21segmented_reduce_implIS3_PKS6_PS6_PKlS6_N6hipcub16HIPCUB_304000_NS6detail27convert_result_type_wrapperISA_SB_N2at6native12_GLOBAL__N_110CustomProdEEEEE10hipError_tPvRmT0_T1_jT2_SS_T4_T3_P12ihipStream_tbEUlT_E_NS1_11comp_targetILNS1_3genE5ELNS1_11target_archE942ELNS1_3gpuE9ELNS1_3repE0EEENS1_30default_config_static_selectorELNS0_4arch9wavefront6targetE1EEEvSR_ ; -- Begin function _ZN7rocprim17ROCPRIM_400000_NS6detail17trampoline_kernelINS0_14default_configENS1_32segmented_reduce_config_selectorIN3c104HalfEEEZNS1_21segmented_reduce_implIS3_PKS6_PS6_PKlS6_N6hipcub16HIPCUB_304000_NS6detail27convert_result_type_wrapperISA_SB_N2at6native12_GLOBAL__N_110CustomProdEEEEE10hipError_tPvRmT0_T1_jT2_SS_T4_T3_P12ihipStream_tbEUlT_E_NS1_11comp_targetILNS1_3genE5ELNS1_11target_archE942ELNS1_3gpuE9ELNS1_3repE0EEENS1_30default_config_static_selectorELNS0_4arch9wavefront6targetE1EEEvSR_
	.p2align	8
	.type	_ZN7rocprim17ROCPRIM_400000_NS6detail17trampoline_kernelINS0_14default_configENS1_32segmented_reduce_config_selectorIN3c104HalfEEEZNS1_21segmented_reduce_implIS3_PKS6_PS6_PKlS6_N6hipcub16HIPCUB_304000_NS6detail27convert_result_type_wrapperISA_SB_N2at6native12_GLOBAL__N_110CustomProdEEEEE10hipError_tPvRmT0_T1_jT2_SS_T4_T3_P12ihipStream_tbEUlT_E_NS1_11comp_targetILNS1_3genE5ELNS1_11target_archE942ELNS1_3gpuE9ELNS1_3repE0EEENS1_30default_config_static_selectorELNS0_4arch9wavefront6targetE1EEEvSR_,@function
_ZN7rocprim17ROCPRIM_400000_NS6detail17trampoline_kernelINS0_14default_configENS1_32segmented_reduce_config_selectorIN3c104HalfEEEZNS1_21segmented_reduce_implIS3_PKS6_PS6_PKlS6_N6hipcub16HIPCUB_304000_NS6detail27convert_result_type_wrapperISA_SB_N2at6native12_GLOBAL__N_110CustomProdEEEEE10hipError_tPvRmT0_T1_jT2_SS_T4_T3_P12ihipStream_tbEUlT_E_NS1_11comp_targetILNS1_3genE5ELNS1_11target_archE942ELNS1_3gpuE9ELNS1_3repE0EEENS1_30default_config_static_selectorELNS0_4arch9wavefront6targetE1EEEvSR_: ; @_ZN7rocprim17ROCPRIM_400000_NS6detail17trampoline_kernelINS0_14default_configENS1_32segmented_reduce_config_selectorIN3c104HalfEEEZNS1_21segmented_reduce_implIS3_PKS6_PS6_PKlS6_N6hipcub16HIPCUB_304000_NS6detail27convert_result_type_wrapperISA_SB_N2at6native12_GLOBAL__N_110CustomProdEEEEE10hipError_tPvRmT0_T1_jT2_SS_T4_T3_P12ihipStream_tbEUlT_E_NS1_11comp_targetILNS1_3genE5ELNS1_11target_archE942ELNS1_3gpuE9ELNS1_3repE0EEENS1_30default_config_static_selectorELNS0_4arch9wavefront6targetE1EEEvSR_
; %bb.0:
	.section	.rodata,"a",@progbits
	.p2align	6, 0x0
	.amdhsa_kernel _ZN7rocprim17ROCPRIM_400000_NS6detail17trampoline_kernelINS0_14default_configENS1_32segmented_reduce_config_selectorIN3c104HalfEEEZNS1_21segmented_reduce_implIS3_PKS6_PS6_PKlS6_N6hipcub16HIPCUB_304000_NS6detail27convert_result_type_wrapperISA_SB_N2at6native12_GLOBAL__N_110CustomProdEEEEE10hipError_tPvRmT0_T1_jT2_SS_T4_T3_P12ihipStream_tbEUlT_E_NS1_11comp_targetILNS1_3genE5ELNS1_11target_archE942ELNS1_3gpuE9ELNS1_3repE0EEENS1_30default_config_static_selectorELNS0_4arch9wavefront6targetE1EEEvSR_
		.amdhsa_group_segment_fixed_size 0
		.amdhsa_private_segment_fixed_size 0
		.amdhsa_kernarg_size 48
		.amdhsa_user_sgpr_count 6
		.amdhsa_user_sgpr_private_segment_buffer 1
		.amdhsa_user_sgpr_dispatch_ptr 0
		.amdhsa_user_sgpr_queue_ptr 0
		.amdhsa_user_sgpr_kernarg_segment_ptr 1
		.amdhsa_user_sgpr_dispatch_id 0
		.amdhsa_user_sgpr_flat_scratch_init 0
		.amdhsa_user_sgpr_private_segment_size 0
		.amdhsa_uses_dynamic_stack 0
		.amdhsa_system_sgpr_private_segment_wavefront_offset 0
		.amdhsa_system_sgpr_workgroup_id_x 1
		.amdhsa_system_sgpr_workgroup_id_y 0
		.amdhsa_system_sgpr_workgroup_id_z 0
		.amdhsa_system_sgpr_workgroup_info 0
		.amdhsa_system_vgpr_workitem_id 0
		.amdhsa_next_free_vgpr 1
		.amdhsa_next_free_sgpr 0
		.amdhsa_reserve_vcc 0
		.amdhsa_reserve_flat_scratch 0
		.amdhsa_float_round_mode_32 0
		.amdhsa_float_round_mode_16_64 0
		.amdhsa_float_denorm_mode_32 3
		.amdhsa_float_denorm_mode_16_64 3
		.amdhsa_dx10_clamp 1
		.amdhsa_ieee_mode 1
		.amdhsa_fp16_overflow 0
		.amdhsa_exception_fp_ieee_invalid_op 0
		.amdhsa_exception_fp_denorm_src 0
		.amdhsa_exception_fp_ieee_div_zero 0
		.amdhsa_exception_fp_ieee_overflow 0
		.amdhsa_exception_fp_ieee_underflow 0
		.amdhsa_exception_fp_ieee_inexact 0
		.amdhsa_exception_int_div_zero 0
	.end_amdhsa_kernel
	.section	.text._ZN7rocprim17ROCPRIM_400000_NS6detail17trampoline_kernelINS0_14default_configENS1_32segmented_reduce_config_selectorIN3c104HalfEEEZNS1_21segmented_reduce_implIS3_PKS6_PS6_PKlS6_N6hipcub16HIPCUB_304000_NS6detail27convert_result_type_wrapperISA_SB_N2at6native12_GLOBAL__N_110CustomProdEEEEE10hipError_tPvRmT0_T1_jT2_SS_T4_T3_P12ihipStream_tbEUlT_E_NS1_11comp_targetILNS1_3genE5ELNS1_11target_archE942ELNS1_3gpuE9ELNS1_3repE0EEENS1_30default_config_static_selectorELNS0_4arch9wavefront6targetE1EEEvSR_,"axG",@progbits,_ZN7rocprim17ROCPRIM_400000_NS6detail17trampoline_kernelINS0_14default_configENS1_32segmented_reduce_config_selectorIN3c104HalfEEEZNS1_21segmented_reduce_implIS3_PKS6_PS6_PKlS6_N6hipcub16HIPCUB_304000_NS6detail27convert_result_type_wrapperISA_SB_N2at6native12_GLOBAL__N_110CustomProdEEEEE10hipError_tPvRmT0_T1_jT2_SS_T4_T3_P12ihipStream_tbEUlT_E_NS1_11comp_targetILNS1_3genE5ELNS1_11target_archE942ELNS1_3gpuE9ELNS1_3repE0EEENS1_30default_config_static_selectorELNS0_4arch9wavefront6targetE1EEEvSR_,comdat
.Lfunc_end239:
	.size	_ZN7rocprim17ROCPRIM_400000_NS6detail17trampoline_kernelINS0_14default_configENS1_32segmented_reduce_config_selectorIN3c104HalfEEEZNS1_21segmented_reduce_implIS3_PKS6_PS6_PKlS6_N6hipcub16HIPCUB_304000_NS6detail27convert_result_type_wrapperISA_SB_N2at6native12_GLOBAL__N_110CustomProdEEEEE10hipError_tPvRmT0_T1_jT2_SS_T4_T3_P12ihipStream_tbEUlT_E_NS1_11comp_targetILNS1_3genE5ELNS1_11target_archE942ELNS1_3gpuE9ELNS1_3repE0EEENS1_30default_config_static_selectorELNS0_4arch9wavefront6targetE1EEEvSR_, .Lfunc_end239-_ZN7rocprim17ROCPRIM_400000_NS6detail17trampoline_kernelINS0_14default_configENS1_32segmented_reduce_config_selectorIN3c104HalfEEEZNS1_21segmented_reduce_implIS3_PKS6_PS6_PKlS6_N6hipcub16HIPCUB_304000_NS6detail27convert_result_type_wrapperISA_SB_N2at6native12_GLOBAL__N_110CustomProdEEEEE10hipError_tPvRmT0_T1_jT2_SS_T4_T3_P12ihipStream_tbEUlT_E_NS1_11comp_targetILNS1_3genE5ELNS1_11target_archE942ELNS1_3gpuE9ELNS1_3repE0EEENS1_30default_config_static_selectorELNS0_4arch9wavefront6targetE1EEEvSR_
                                        ; -- End function
	.set _ZN7rocprim17ROCPRIM_400000_NS6detail17trampoline_kernelINS0_14default_configENS1_32segmented_reduce_config_selectorIN3c104HalfEEEZNS1_21segmented_reduce_implIS3_PKS6_PS6_PKlS6_N6hipcub16HIPCUB_304000_NS6detail27convert_result_type_wrapperISA_SB_N2at6native12_GLOBAL__N_110CustomProdEEEEE10hipError_tPvRmT0_T1_jT2_SS_T4_T3_P12ihipStream_tbEUlT_E_NS1_11comp_targetILNS1_3genE5ELNS1_11target_archE942ELNS1_3gpuE9ELNS1_3repE0EEENS1_30default_config_static_selectorELNS0_4arch9wavefront6targetE1EEEvSR_.num_vgpr, 0
	.set _ZN7rocprim17ROCPRIM_400000_NS6detail17trampoline_kernelINS0_14default_configENS1_32segmented_reduce_config_selectorIN3c104HalfEEEZNS1_21segmented_reduce_implIS3_PKS6_PS6_PKlS6_N6hipcub16HIPCUB_304000_NS6detail27convert_result_type_wrapperISA_SB_N2at6native12_GLOBAL__N_110CustomProdEEEEE10hipError_tPvRmT0_T1_jT2_SS_T4_T3_P12ihipStream_tbEUlT_E_NS1_11comp_targetILNS1_3genE5ELNS1_11target_archE942ELNS1_3gpuE9ELNS1_3repE0EEENS1_30default_config_static_selectorELNS0_4arch9wavefront6targetE1EEEvSR_.num_agpr, 0
	.set _ZN7rocprim17ROCPRIM_400000_NS6detail17trampoline_kernelINS0_14default_configENS1_32segmented_reduce_config_selectorIN3c104HalfEEEZNS1_21segmented_reduce_implIS3_PKS6_PS6_PKlS6_N6hipcub16HIPCUB_304000_NS6detail27convert_result_type_wrapperISA_SB_N2at6native12_GLOBAL__N_110CustomProdEEEEE10hipError_tPvRmT0_T1_jT2_SS_T4_T3_P12ihipStream_tbEUlT_E_NS1_11comp_targetILNS1_3genE5ELNS1_11target_archE942ELNS1_3gpuE9ELNS1_3repE0EEENS1_30default_config_static_selectorELNS0_4arch9wavefront6targetE1EEEvSR_.numbered_sgpr, 0
	.set _ZN7rocprim17ROCPRIM_400000_NS6detail17trampoline_kernelINS0_14default_configENS1_32segmented_reduce_config_selectorIN3c104HalfEEEZNS1_21segmented_reduce_implIS3_PKS6_PS6_PKlS6_N6hipcub16HIPCUB_304000_NS6detail27convert_result_type_wrapperISA_SB_N2at6native12_GLOBAL__N_110CustomProdEEEEE10hipError_tPvRmT0_T1_jT2_SS_T4_T3_P12ihipStream_tbEUlT_E_NS1_11comp_targetILNS1_3genE5ELNS1_11target_archE942ELNS1_3gpuE9ELNS1_3repE0EEENS1_30default_config_static_selectorELNS0_4arch9wavefront6targetE1EEEvSR_.num_named_barrier, 0
	.set _ZN7rocprim17ROCPRIM_400000_NS6detail17trampoline_kernelINS0_14default_configENS1_32segmented_reduce_config_selectorIN3c104HalfEEEZNS1_21segmented_reduce_implIS3_PKS6_PS6_PKlS6_N6hipcub16HIPCUB_304000_NS6detail27convert_result_type_wrapperISA_SB_N2at6native12_GLOBAL__N_110CustomProdEEEEE10hipError_tPvRmT0_T1_jT2_SS_T4_T3_P12ihipStream_tbEUlT_E_NS1_11comp_targetILNS1_3genE5ELNS1_11target_archE942ELNS1_3gpuE9ELNS1_3repE0EEENS1_30default_config_static_selectorELNS0_4arch9wavefront6targetE1EEEvSR_.private_seg_size, 0
	.set _ZN7rocprim17ROCPRIM_400000_NS6detail17trampoline_kernelINS0_14default_configENS1_32segmented_reduce_config_selectorIN3c104HalfEEEZNS1_21segmented_reduce_implIS3_PKS6_PS6_PKlS6_N6hipcub16HIPCUB_304000_NS6detail27convert_result_type_wrapperISA_SB_N2at6native12_GLOBAL__N_110CustomProdEEEEE10hipError_tPvRmT0_T1_jT2_SS_T4_T3_P12ihipStream_tbEUlT_E_NS1_11comp_targetILNS1_3genE5ELNS1_11target_archE942ELNS1_3gpuE9ELNS1_3repE0EEENS1_30default_config_static_selectorELNS0_4arch9wavefront6targetE1EEEvSR_.uses_vcc, 0
	.set _ZN7rocprim17ROCPRIM_400000_NS6detail17trampoline_kernelINS0_14default_configENS1_32segmented_reduce_config_selectorIN3c104HalfEEEZNS1_21segmented_reduce_implIS3_PKS6_PS6_PKlS6_N6hipcub16HIPCUB_304000_NS6detail27convert_result_type_wrapperISA_SB_N2at6native12_GLOBAL__N_110CustomProdEEEEE10hipError_tPvRmT0_T1_jT2_SS_T4_T3_P12ihipStream_tbEUlT_E_NS1_11comp_targetILNS1_3genE5ELNS1_11target_archE942ELNS1_3gpuE9ELNS1_3repE0EEENS1_30default_config_static_selectorELNS0_4arch9wavefront6targetE1EEEvSR_.uses_flat_scratch, 0
	.set _ZN7rocprim17ROCPRIM_400000_NS6detail17trampoline_kernelINS0_14default_configENS1_32segmented_reduce_config_selectorIN3c104HalfEEEZNS1_21segmented_reduce_implIS3_PKS6_PS6_PKlS6_N6hipcub16HIPCUB_304000_NS6detail27convert_result_type_wrapperISA_SB_N2at6native12_GLOBAL__N_110CustomProdEEEEE10hipError_tPvRmT0_T1_jT2_SS_T4_T3_P12ihipStream_tbEUlT_E_NS1_11comp_targetILNS1_3genE5ELNS1_11target_archE942ELNS1_3gpuE9ELNS1_3repE0EEENS1_30default_config_static_selectorELNS0_4arch9wavefront6targetE1EEEvSR_.has_dyn_sized_stack, 0
	.set _ZN7rocprim17ROCPRIM_400000_NS6detail17trampoline_kernelINS0_14default_configENS1_32segmented_reduce_config_selectorIN3c104HalfEEEZNS1_21segmented_reduce_implIS3_PKS6_PS6_PKlS6_N6hipcub16HIPCUB_304000_NS6detail27convert_result_type_wrapperISA_SB_N2at6native12_GLOBAL__N_110CustomProdEEEEE10hipError_tPvRmT0_T1_jT2_SS_T4_T3_P12ihipStream_tbEUlT_E_NS1_11comp_targetILNS1_3genE5ELNS1_11target_archE942ELNS1_3gpuE9ELNS1_3repE0EEENS1_30default_config_static_selectorELNS0_4arch9wavefront6targetE1EEEvSR_.has_recursion, 0
	.set _ZN7rocprim17ROCPRIM_400000_NS6detail17trampoline_kernelINS0_14default_configENS1_32segmented_reduce_config_selectorIN3c104HalfEEEZNS1_21segmented_reduce_implIS3_PKS6_PS6_PKlS6_N6hipcub16HIPCUB_304000_NS6detail27convert_result_type_wrapperISA_SB_N2at6native12_GLOBAL__N_110CustomProdEEEEE10hipError_tPvRmT0_T1_jT2_SS_T4_T3_P12ihipStream_tbEUlT_E_NS1_11comp_targetILNS1_3genE5ELNS1_11target_archE942ELNS1_3gpuE9ELNS1_3repE0EEENS1_30default_config_static_selectorELNS0_4arch9wavefront6targetE1EEEvSR_.has_indirect_call, 0
	.section	.AMDGPU.csdata,"",@progbits
; Kernel info:
; codeLenInByte = 0
; TotalNumSgprs: 4
; NumVgprs: 0
; ScratchSize: 0
; MemoryBound: 0
; FloatMode: 240
; IeeeMode: 1
; LDSByteSize: 0 bytes/workgroup (compile time only)
; SGPRBlocks: 0
; VGPRBlocks: 0
; NumSGPRsForWavesPerEU: 4
; NumVGPRsForWavesPerEU: 1
; Occupancy: 10
; WaveLimiterHint : 0
; COMPUTE_PGM_RSRC2:SCRATCH_EN: 0
; COMPUTE_PGM_RSRC2:USER_SGPR: 6
; COMPUTE_PGM_RSRC2:TRAP_HANDLER: 0
; COMPUTE_PGM_RSRC2:TGID_X_EN: 1
; COMPUTE_PGM_RSRC2:TGID_Y_EN: 0
; COMPUTE_PGM_RSRC2:TGID_Z_EN: 0
; COMPUTE_PGM_RSRC2:TIDIG_COMP_CNT: 0
	.section	.text._ZN7rocprim17ROCPRIM_400000_NS6detail17trampoline_kernelINS0_14default_configENS1_32segmented_reduce_config_selectorIN3c104HalfEEEZNS1_21segmented_reduce_implIS3_PKS6_PS6_PKlS6_N6hipcub16HIPCUB_304000_NS6detail27convert_result_type_wrapperISA_SB_N2at6native12_GLOBAL__N_110CustomProdEEEEE10hipError_tPvRmT0_T1_jT2_SS_T4_T3_P12ihipStream_tbEUlT_E_NS1_11comp_targetILNS1_3genE10ELNS1_11target_archE1201ELNS1_3gpuE5ELNS1_3repE0EEENS1_30default_config_static_selectorELNS0_4arch9wavefront6targetE1EEEvSR_,"axG",@progbits,_ZN7rocprim17ROCPRIM_400000_NS6detail17trampoline_kernelINS0_14default_configENS1_32segmented_reduce_config_selectorIN3c104HalfEEEZNS1_21segmented_reduce_implIS3_PKS6_PS6_PKlS6_N6hipcub16HIPCUB_304000_NS6detail27convert_result_type_wrapperISA_SB_N2at6native12_GLOBAL__N_110CustomProdEEEEE10hipError_tPvRmT0_T1_jT2_SS_T4_T3_P12ihipStream_tbEUlT_E_NS1_11comp_targetILNS1_3genE10ELNS1_11target_archE1201ELNS1_3gpuE5ELNS1_3repE0EEENS1_30default_config_static_selectorELNS0_4arch9wavefront6targetE1EEEvSR_,comdat
	.globl	_ZN7rocprim17ROCPRIM_400000_NS6detail17trampoline_kernelINS0_14default_configENS1_32segmented_reduce_config_selectorIN3c104HalfEEEZNS1_21segmented_reduce_implIS3_PKS6_PS6_PKlS6_N6hipcub16HIPCUB_304000_NS6detail27convert_result_type_wrapperISA_SB_N2at6native12_GLOBAL__N_110CustomProdEEEEE10hipError_tPvRmT0_T1_jT2_SS_T4_T3_P12ihipStream_tbEUlT_E_NS1_11comp_targetILNS1_3genE10ELNS1_11target_archE1201ELNS1_3gpuE5ELNS1_3repE0EEENS1_30default_config_static_selectorELNS0_4arch9wavefront6targetE1EEEvSR_ ; -- Begin function _ZN7rocprim17ROCPRIM_400000_NS6detail17trampoline_kernelINS0_14default_configENS1_32segmented_reduce_config_selectorIN3c104HalfEEEZNS1_21segmented_reduce_implIS3_PKS6_PS6_PKlS6_N6hipcub16HIPCUB_304000_NS6detail27convert_result_type_wrapperISA_SB_N2at6native12_GLOBAL__N_110CustomProdEEEEE10hipError_tPvRmT0_T1_jT2_SS_T4_T3_P12ihipStream_tbEUlT_E_NS1_11comp_targetILNS1_3genE10ELNS1_11target_archE1201ELNS1_3gpuE5ELNS1_3repE0EEENS1_30default_config_static_selectorELNS0_4arch9wavefront6targetE1EEEvSR_
	.p2align	8
	.type	_ZN7rocprim17ROCPRIM_400000_NS6detail17trampoline_kernelINS0_14default_configENS1_32segmented_reduce_config_selectorIN3c104HalfEEEZNS1_21segmented_reduce_implIS3_PKS6_PS6_PKlS6_N6hipcub16HIPCUB_304000_NS6detail27convert_result_type_wrapperISA_SB_N2at6native12_GLOBAL__N_110CustomProdEEEEE10hipError_tPvRmT0_T1_jT2_SS_T4_T3_P12ihipStream_tbEUlT_E_NS1_11comp_targetILNS1_3genE10ELNS1_11target_archE1201ELNS1_3gpuE5ELNS1_3repE0EEENS1_30default_config_static_selectorELNS0_4arch9wavefront6targetE1EEEvSR_,@function
_ZN7rocprim17ROCPRIM_400000_NS6detail17trampoline_kernelINS0_14default_configENS1_32segmented_reduce_config_selectorIN3c104HalfEEEZNS1_21segmented_reduce_implIS3_PKS6_PS6_PKlS6_N6hipcub16HIPCUB_304000_NS6detail27convert_result_type_wrapperISA_SB_N2at6native12_GLOBAL__N_110CustomProdEEEEE10hipError_tPvRmT0_T1_jT2_SS_T4_T3_P12ihipStream_tbEUlT_E_NS1_11comp_targetILNS1_3genE10ELNS1_11target_archE1201ELNS1_3gpuE5ELNS1_3repE0EEENS1_30default_config_static_selectorELNS0_4arch9wavefront6targetE1EEEvSR_: ; @_ZN7rocprim17ROCPRIM_400000_NS6detail17trampoline_kernelINS0_14default_configENS1_32segmented_reduce_config_selectorIN3c104HalfEEEZNS1_21segmented_reduce_implIS3_PKS6_PS6_PKlS6_N6hipcub16HIPCUB_304000_NS6detail27convert_result_type_wrapperISA_SB_N2at6native12_GLOBAL__N_110CustomProdEEEEE10hipError_tPvRmT0_T1_jT2_SS_T4_T3_P12ihipStream_tbEUlT_E_NS1_11comp_targetILNS1_3genE10ELNS1_11target_archE1201ELNS1_3gpuE5ELNS1_3repE0EEENS1_30default_config_static_selectorELNS0_4arch9wavefront6targetE1EEEvSR_
; %bb.0:
	.section	.rodata,"a",@progbits
	.p2align	6, 0x0
	.amdhsa_kernel _ZN7rocprim17ROCPRIM_400000_NS6detail17trampoline_kernelINS0_14default_configENS1_32segmented_reduce_config_selectorIN3c104HalfEEEZNS1_21segmented_reduce_implIS3_PKS6_PS6_PKlS6_N6hipcub16HIPCUB_304000_NS6detail27convert_result_type_wrapperISA_SB_N2at6native12_GLOBAL__N_110CustomProdEEEEE10hipError_tPvRmT0_T1_jT2_SS_T4_T3_P12ihipStream_tbEUlT_E_NS1_11comp_targetILNS1_3genE10ELNS1_11target_archE1201ELNS1_3gpuE5ELNS1_3repE0EEENS1_30default_config_static_selectorELNS0_4arch9wavefront6targetE1EEEvSR_
		.amdhsa_group_segment_fixed_size 0
		.amdhsa_private_segment_fixed_size 0
		.amdhsa_kernarg_size 48
		.amdhsa_user_sgpr_count 6
		.amdhsa_user_sgpr_private_segment_buffer 1
		.amdhsa_user_sgpr_dispatch_ptr 0
		.amdhsa_user_sgpr_queue_ptr 0
		.amdhsa_user_sgpr_kernarg_segment_ptr 1
		.amdhsa_user_sgpr_dispatch_id 0
		.amdhsa_user_sgpr_flat_scratch_init 0
		.amdhsa_user_sgpr_private_segment_size 0
		.amdhsa_uses_dynamic_stack 0
		.amdhsa_system_sgpr_private_segment_wavefront_offset 0
		.amdhsa_system_sgpr_workgroup_id_x 1
		.amdhsa_system_sgpr_workgroup_id_y 0
		.amdhsa_system_sgpr_workgroup_id_z 0
		.amdhsa_system_sgpr_workgroup_info 0
		.amdhsa_system_vgpr_workitem_id 0
		.amdhsa_next_free_vgpr 1
		.amdhsa_next_free_sgpr 0
		.amdhsa_reserve_vcc 0
		.amdhsa_reserve_flat_scratch 0
		.amdhsa_float_round_mode_32 0
		.amdhsa_float_round_mode_16_64 0
		.amdhsa_float_denorm_mode_32 3
		.amdhsa_float_denorm_mode_16_64 3
		.amdhsa_dx10_clamp 1
		.amdhsa_ieee_mode 1
		.amdhsa_fp16_overflow 0
		.amdhsa_exception_fp_ieee_invalid_op 0
		.amdhsa_exception_fp_denorm_src 0
		.amdhsa_exception_fp_ieee_div_zero 0
		.amdhsa_exception_fp_ieee_overflow 0
		.amdhsa_exception_fp_ieee_underflow 0
		.amdhsa_exception_fp_ieee_inexact 0
		.amdhsa_exception_int_div_zero 0
	.end_amdhsa_kernel
	.section	.text._ZN7rocprim17ROCPRIM_400000_NS6detail17trampoline_kernelINS0_14default_configENS1_32segmented_reduce_config_selectorIN3c104HalfEEEZNS1_21segmented_reduce_implIS3_PKS6_PS6_PKlS6_N6hipcub16HIPCUB_304000_NS6detail27convert_result_type_wrapperISA_SB_N2at6native12_GLOBAL__N_110CustomProdEEEEE10hipError_tPvRmT0_T1_jT2_SS_T4_T3_P12ihipStream_tbEUlT_E_NS1_11comp_targetILNS1_3genE10ELNS1_11target_archE1201ELNS1_3gpuE5ELNS1_3repE0EEENS1_30default_config_static_selectorELNS0_4arch9wavefront6targetE1EEEvSR_,"axG",@progbits,_ZN7rocprim17ROCPRIM_400000_NS6detail17trampoline_kernelINS0_14default_configENS1_32segmented_reduce_config_selectorIN3c104HalfEEEZNS1_21segmented_reduce_implIS3_PKS6_PS6_PKlS6_N6hipcub16HIPCUB_304000_NS6detail27convert_result_type_wrapperISA_SB_N2at6native12_GLOBAL__N_110CustomProdEEEEE10hipError_tPvRmT0_T1_jT2_SS_T4_T3_P12ihipStream_tbEUlT_E_NS1_11comp_targetILNS1_3genE10ELNS1_11target_archE1201ELNS1_3gpuE5ELNS1_3repE0EEENS1_30default_config_static_selectorELNS0_4arch9wavefront6targetE1EEEvSR_,comdat
.Lfunc_end240:
	.size	_ZN7rocprim17ROCPRIM_400000_NS6detail17trampoline_kernelINS0_14default_configENS1_32segmented_reduce_config_selectorIN3c104HalfEEEZNS1_21segmented_reduce_implIS3_PKS6_PS6_PKlS6_N6hipcub16HIPCUB_304000_NS6detail27convert_result_type_wrapperISA_SB_N2at6native12_GLOBAL__N_110CustomProdEEEEE10hipError_tPvRmT0_T1_jT2_SS_T4_T3_P12ihipStream_tbEUlT_E_NS1_11comp_targetILNS1_3genE10ELNS1_11target_archE1201ELNS1_3gpuE5ELNS1_3repE0EEENS1_30default_config_static_selectorELNS0_4arch9wavefront6targetE1EEEvSR_, .Lfunc_end240-_ZN7rocprim17ROCPRIM_400000_NS6detail17trampoline_kernelINS0_14default_configENS1_32segmented_reduce_config_selectorIN3c104HalfEEEZNS1_21segmented_reduce_implIS3_PKS6_PS6_PKlS6_N6hipcub16HIPCUB_304000_NS6detail27convert_result_type_wrapperISA_SB_N2at6native12_GLOBAL__N_110CustomProdEEEEE10hipError_tPvRmT0_T1_jT2_SS_T4_T3_P12ihipStream_tbEUlT_E_NS1_11comp_targetILNS1_3genE10ELNS1_11target_archE1201ELNS1_3gpuE5ELNS1_3repE0EEENS1_30default_config_static_selectorELNS0_4arch9wavefront6targetE1EEEvSR_
                                        ; -- End function
	.set _ZN7rocprim17ROCPRIM_400000_NS6detail17trampoline_kernelINS0_14default_configENS1_32segmented_reduce_config_selectorIN3c104HalfEEEZNS1_21segmented_reduce_implIS3_PKS6_PS6_PKlS6_N6hipcub16HIPCUB_304000_NS6detail27convert_result_type_wrapperISA_SB_N2at6native12_GLOBAL__N_110CustomProdEEEEE10hipError_tPvRmT0_T1_jT2_SS_T4_T3_P12ihipStream_tbEUlT_E_NS1_11comp_targetILNS1_3genE10ELNS1_11target_archE1201ELNS1_3gpuE5ELNS1_3repE0EEENS1_30default_config_static_selectorELNS0_4arch9wavefront6targetE1EEEvSR_.num_vgpr, 0
	.set _ZN7rocprim17ROCPRIM_400000_NS6detail17trampoline_kernelINS0_14default_configENS1_32segmented_reduce_config_selectorIN3c104HalfEEEZNS1_21segmented_reduce_implIS3_PKS6_PS6_PKlS6_N6hipcub16HIPCUB_304000_NS6detail27convert_result_type_wrapperISA_SB_N2at6native12_GLOBAL__N_110CustomProdEEEEE10hipError_tPvRmT0_T1_jT2_SS_T4_T3_P12ihipStream_tbEUlT_E_NS1_11comp_targetILNS1_3genE10ELNS1_11target_archE1201ELNS1_3gpuE5ELNS1_3repE0EEENS1_30default_config_static_selectorELNS0_4arch9wavefront6targetE1EEEvSR_.num_agpr, 0
	.set _ZN7rocprim17ROCPRIM_400000_NS6detail17trampoline_kernelINS0_14default_configENS1_32segmented_reduce_config_selectorIN3c104HalfEEEZNS1_21segmented_reduce_implIS3_PKS6_PS6_PKlS6_N6hipcub16HIPCUB_304000_NS6detail27convert_result_type_wrapperISA_SB_N2at6native12_GLOBAL__N_110CustomProdEEEEE10hipError_tPvRmT0_T1_jT2_SS_T4_T3_P12ihipStream_tbEUlT_E_NS1_11comp_targetILNS1_3genE10ELNS1_11target_archE1201ELNS1_3gpuE5ELNS1_3repE0EEENS1_30default_config_static_selectorELNS0_4arch9wavefront6targetE1EEEvSR_.numbered_sgpr, 0
	.set _ZN7rocprim17ROCPRIM_400000_NS6detail17trampoline_kernelINS0_14default_configENS1_32segmented_reduce_config_selectorIN3c104HalfEEEZNS1_21segmented_reduce_implIS3_PKS6_PS6_PKlS6_N6hipcub16HIPCUB_304000_NS6detail27convert_result_type_wrapperISA_SB_N2at6native12_GLOBAL__N_110CustomProdEEEEE10hipError_tPvRmT0_T1_jT2_SS_T4_T3_P12ihipStream_tbEUlT_E_NS1_11comp_targetILNS1_3genE10ELNS1_11target_archE1201ELNS1_3gpuE5ELNS1_3repE0EEENS1_30default_config_static_selectorELNS0_4arch9wavefront6targetE1EEEvSR_.num_named_barrier, 0
	.set _ZN7rocprim17ROCPRIM_400000_NS6detail17trampoline_kernelINS0_14default_configENS1_32segmented_reduce_config_selectorIN3c104HalfEEEZNS1_21segmented_reduce_implIS3_PKS6_PS6_PKlS6_N6hipcub16HIPCUB_304000_NS6detail27convert_result_type_wrapperISA_SB_N2at6native12_GLOBAL__N_110CustomProdEEEEE10hipError_tPvRmT0_T1_jT2_SS_T4_T3_P12ihipStream_tbEUlT_E_NS1_11comp_targetILNS1_3genE10ELNS1_11target_archE1201ELNS1_3gpuE5ELNS1_3repE0EEENS1_30default_config_static_selectorELNS0_4arch9wavefront6targetE1EEEvSR_.private_seg_size, 0
	.set _ZN7rocprim17ROCPRIM_400000_NS6detail17trampoline_kernelINS0_14default_configENS1_32segmented_reduce_config_selectorIN3c104HalfEEEZNS1_21segmented_reduce_implIS3_PKS6_PS6_PKlS6_N6hipcub16HIPCUB_304000_NS6detail27convert_result_type_wrapperISA_SB_N2at6native12_GLOBAL__N_110CustomProdEEEEE10hipError_tPvRmT0_T1_jT2_SS_T4_T3_P12ihipStream_tbEUlT_E_NS1_11comp_targetILNS1_3genE10ELNS1_11target_archE1201ELNS1_3gpuE5ELNS1_3repE0EEENS1_30default_config_static_selectorELNS0_4arch9wavefront6targetE1EEEvSR_.uses_vcc, 0
	.set _ZN7rocprim17ROCPRIM_400000_NS6detail17trampoline_kernelINS0_14default_configENS1_32segmented_reduce_config_selectorIN3c104HalfEEEZNS1_21segmented_reduce_implIS3_PKS6_PS6_PKlS6_N6hipcub16HIPCUB_304000_NS6detail27convert_result_type_wrapperISA_SB_N2at6native12_GLOBAL__N_110CustomProdEEEEE10hipError_tPvRmT0_T1_jT2_SS_T4_T3_P12ihipStream_tbEUlT_E_NS1_11comp_targetILNS1_3genE10ELNS1_11target_archE1201ELNS1_3gpuE5ELNS1_3repE0EEENS1_30default_config_static_selectorELNS0_4arch9wavefront6targetE1EEEvSR_.uses_flat_scratch, 0
	.set _ZN7rocprim17ROCPRIM_400000_NS6detail17trampoline_kernelINS0_14default_configENS1_32segmented_reduce_config_selectorIN3c104HalfEEEZNS1_21segmented_reduce_implIS3_PKS6_PS6_PKlS6_N6hipcub16HIPCUB_304000_NS6detail27convert_result_type_wrapperISA_SB_N2at6native12_GLOBAL__N_110CustomProdEEEEE10hipError_tPvRmT0_T1_jT2_SS_T4_T3_P12ihipStream_tbEUlT_E_NS1_11comp_targetILNS1_3genE10ELNS1_11target_archE1201ELNS1_3gpuE5ELNS1_3repE0EEENS1_30default_config_static_selectorELNS0_4arch9wavefront6targetE1EEEvSR_.has_dyn_sized_stack, 0
	.set _ZN7rocprim17ROCPRIM_400000_NS6detail17trampoline_kernelINS0_14default_configENS1_32segmented_reduce_config_selectorIN3c104HalfEEEZNS1_21segmented_reduce_implIS3_PKS6_PS6_PKlS6_N6hipcub16HIPCUB_304000_NS6detail27convert_result_type_wrapperISA_SB_N2at6native12_GLOBAL__N_110CustomProdEEEEE10hipError_tPvRmT0_T1_jT2_SS_T4_T3_P12ihipStream_tbEUlT_E_NS1_11comp_targetILNS1_3genE10ELNS1_11target_archE1201ELNS1_3gpuE5ELNS1_3repE0EEENS1_30default_config_static_selectorELNS0_4arch9wavefront6targetE1EEEvSR_.has_recursion, 0
	.set _ZN7rocprim17ROCPRIM_400000_NS6detail17trampoline_kernelINS0_14default_configENS1_32segmented_reduce_config_selectorIN3c104HalfEEEZNS1_21segmented_reduce_implIS3_PKS6_PS6_PKlS6_N6hipcub16HIPCUB_304000_NS6detail27convert_result_type_wrapperISA_SB_N2at6native12_GLOBAL__N_110CustomProdEEEEE10hipError_tPvRmT0_T1_jT2_SS_T4_T3_P12ihipStream_tbEUlT_E_NS1_11comp_targetILNS1_3genE10ELNS1_11target_archE1201ELNS1_3gpuE5ELNS1_3repE0EEENS1_30default_config_static_selectorELNS0_4arch9wavefront6targetE1EEEvSR_.has_indirect_call, 0
	.section	.AMDGPU.csdata,"",@progbits
; Kernel info:
; codeLenInByte = 0
; TotalNumSgprs: 4
; NumVgprs: 0
; ScratchSize: 0
; MemoryBound: 0
; FloatMode: 240
; IeeeMode: 1
; LDSByteSize: 0 bytes/workgroup (compile time only)
; SGPRBlocks: 0
; VGPRBlocks: 0
; NumSGPRsForWavesPerEU: 4
; NumVGPRsForWavesPerEU: 1
; Occupancy: 10
; WaveLimiterHint : 0
; COMPUTE_PGM_RSRC2:SCRATCH_EN: 0
; COMPUTE_PGM_RSRC2:USER_SGPR: 6
; COMPUTE_PGM_RSRC2:TRAP_HANDLER: 0
; COMPUTE_PGM_RSRC2:TGID_X_EN: 1
; COMPUTE_PGM_RSRC2:TGID_Y_EN: 0
; COMPUTE_PGM_RSRC2:TGID_Z_EN: 0
; COMPUTE_PGM_RSRC2:TIDIG_COMP_CNT: 0
	.section	.text._ZN7rocprim17ROCPRIM_400000_NS6detail17trampoline_kernelINS0_14default_configENS1_32segmented_reduce_config_selectorIN3c104HalfEEEZNS1_21segmented_reduce_implIS3_PKS6_PS6_PKlS6_N6hipcub16HIPCUB_304000_NS6detail27convert_result_type_wrapperISA_SB_N2at6native12_GLOBAL__N_110CustomProdEEEEE10hipError_tPvRmT0_T1_jT2_SS_T4_T3_P12ihipStream_tbEUlT_E_NS1_11comp_targetILNS1_3genE4ELNS1_11target_archE910ELNS1_3gpuE8ELNS1_3repE0EEENS1_30default_config_static_selectorELNS0_4arch9wavefront6targetE1EEEvSR_,"axG",@progbits,_ZN7rocprim17ROCPRIM_400000_NS6detail17trampoline_kernelINS0_14default_configENS1_32segmented_reduce_config_selectorIN3c104HalfEEEZNS1_21segmented_reduce_implIS3_PKS6_PS6_PKlS6_N6hipcub16HIPCUB_304000_NS6detail27convert_result_type_wrapperISA_SB_N2at6native12_GLOBAL__N_110CustomProdEEEEE10hipError_tPvRmT0_T1_jT2_SS_T4_T3_P12ihipStream_tbEUlT_E_NS1_11comp_targetILNS1_3genE4ELNS1_11target_archE910ELNS1_3gpuE8ELNS1_3repE0EEENS1_30default_config_static_selectorELNS0_4arch9wavefront6targetE1EEEvSR_,comdat
	.globl	_ZN7rocprim17ROCPRIM_400000_NS6detail17trampoline_kernelINS0_14default_configENS1_32segmented_reduce_config_selectorIN3c104HalfEEEZNS1_21segmented_reduce_implIS3_PKS6_PS6_PKlS6_N6hipcub16HIPCUB_304000_NS6detail27convert_result_type_wrapperISA_SB_N2at6native12_GLOBAL__N_110CustomProdEEEEE10hipError_tPvRmT0_T1_jT2_SS_T4_T3_P12ihipStream_tbEUlT_E_NS1_11comp_targetILNS1_3genE4ELNS1_11target_archE910ELNS1_3gpuE8ELNS1_3repE0EEENS1_30default_config_static_selectorELNS0_4arch9wavefront6targetE1EEEvSR_ ; -- Begin function _ZN7rocprim17ROCPRIM_400000_NS6detail17trampoline_kernelINS0_14default_configENS1_32segmented_reduce_config_selectorIN3c104HalfEEEZNS1_21segmented_reduce_implIS3_PKS6_PS6_PKlS6_N6hipcub16HIPCUB_304000_NS6detail27convert_result_type_wrapperISA_SB_N2at6native12_GLOBAL__N_110CustomProdEEEEE10hipError_tPvRmT0_T1_jT2_SS_T4_T3_P12ihipStream_tbEUlT_E_NS1_11comp_targetILNS1_3genE4ELNS1_11target_archE910ELNS1_3gpuE8ELNS1_3repE0EEENS1_30default_config_static_selectorELNS0_4arch9wavefront6targetE1EEEvSR_
	.p2align	8
	.type	_ZN7rocprim17ROCPRIM_400000_NS6detail17trampoline_kernelINS0_14default_configENS1_32segmented_reduce_config_selectorIN3c104HalfEEEZNS1_21segmented_reduce_implIS3_PKS6_PS6_PKlS6_N6hipcub16HIPCUB_304000_NS6detail27convert_result_type_wrapperISA_SB_N2at6native12_GLOBAL__N_110CustomProdEEEEE10hipError_tPvRmT0_T1_jT2_SS_T4_T3_P12ihipStream_tbEUlT_E_NS1_11comp_targetILNS1_3genE4ELNS1_11target_archE910ELNS1_3gpuE8ELNS1_3repE0EEENS1_30default_config_static_selectorELNS0_4arch9wavefront6targetE1EEEvSR_,@function
_ZN7rocprim17ROCPRIM_400000_NS6detail17trampoline_kernelINS0_14default_configENS1_32segmented_reduce_config_selectorIN3c104HalfEEEZNS1_21segmented_reduce_implIS3_PKS6_PS6_PKlS6_N6hipcub16HIPCUB_304000_NS6detail27convert_result_type_wrapperISA_SB_N2at6native12_GLOBAL__N_110CustomProdEEEEE10hipError_tPvRmT0_T1_jT2_SS_T4_T3_P12ihipStream_tbEUlT_E_NS1_11comp_targetILNS1_3genE4ELNS1_11target_archE910ELNS1_3gpuE8ELNS1_3repE0EEENS1_30default_config_static_selectorELNS0_4arch9wavefront6targetE1EEEvSR_: ; @_ZN7rocprim17ROCPRIM_400000_NS6detail17trampoline_kernelINS0_14default_configENS1_32segmented_reduce_config_selectorIN3c104HalfEEEZNS1_21segmented_reduce_implIS3_PKS6_PS6_PKlS6_N6hipcub16HIPCUB_304000_NS6detail27convert_result_type_wrapperISA_SB_N2at6native12_GLOBAL__N_110CustomProdEEEEE10hipError_tPvRmT0_T1_jT2_SS_T4_T3_P12ihipStream_tbEUlT_E_NS1_11comp_targetILNS1_3genE4ELNS1_11target_archE910ELNS1_3gpuE8ELNS1_3repE0EEENS1_30default_config_static_selectorELNS0_4arch9wavefront6targetE1EEEvSR_
; %bb.0:
	.section	.rodata,"a",@progbits
	.p2align	6, 0x0
	.amdhsa_kernel _ZN7rocprim17ROCPRIM_400000_NS6detail17trampoline_kernelINS0_14default_configENS1_32segmented_reduce_config_selectorIN3c104HalfEEEZNS1_21segmented_reduce_implIS3_PKS6_PS6_PKlS6_N6hipcub16HIPCUB_304000_NS6detail27convert_result_type_wrapperISA_SB_N2at6native12_GLOBAL__N_110CustomProdEEEEE10hipError_tPvRmT0_T1_jT2_SS_T4_T3_P12ihipStream_tbEUlT_E_NS1_11comp_targetILNS1_3genE4ELNS1_11target_archE910ELNS1_3gpuE8ELNS1_3repE0EEENS1_30default_config_static_selectorELNS0_4arch9wavefront6targetE1EEEvSR_
		.amdhsa_group_segment_fixed_size 0
		.amdhsa_private_segment_fixed_size 0
		.amdhsa_kernarg_size 48
		.amdhsa_user_sgpr_count 6
		.amdhsa_user_sgpr_private_segment_buffer 1
		.amdhsa_user_sgpr_dispatch_ptr 0
		.amdhsa_user_sgpr_queue_ptr 0
		.amdhsa_user_sgpr_kernarg_segment_ptr 1
		.amdhsa_user_sgpr_dispatch_id 0
		.amdhsa_user_sgpr_flat_scratch_init 0
		.amdhsa_user_sgpr_private_segment_size 0
		.amdhsa_uses_dynamic_stack 0
		.amdhsa_system_sgpr_private_segment_wavefront_offset 0
		.amdhsa_system_sgpr_workgroup_id_x 1
		.amdhsa_system_sgpr_workgroup_id_y 0
		.amdhsa_system_sgpr_workgroup_id_z 0
		.amdhsa_system_sgpr_workgroup_info 0
		.amdhsa_system_vgpr_workitem_id 0
		.amdhsa_next_free_vgpr 1
		.amdhsa_next_free_sgpr 0
		.amdhsa_reserve_vcc 0
		.amdhsa_reserve_flat_scratch 0
		.amdhsa_float_round_mode_32 0
		.amdhsa_float_round_mode_16_64 0
		.amdhsa_float_denorm_mode_32 3
		.amdhsa_float_denorm_mode_16_64 3
		.amdhsa_dx10_clamp 1
		.amdhsa_ieee_mode 1
		.amdhsa_fp16_overflow 0
		.amdhsa_exception_fp_ieee_invalid_op 0
		.amdhsa_exception_fp_denorm_src 0
		.amdhsa_exception_fp_ieee_div_zero 0
		.amdhsa_exception_fp_ieee_overflow 0
		.amdhsa_exception_fp_ieee_underflow 0
		.amdhsa_exception_fp_ieee_inexact 0
		.amdhsa_exception_int_div_zero 0
	.end_amdhsa_kernel
	.section	.text._ZN7rocprim17ROCPRIM_400000_NS6detail17trampoline_kernelINS0_14default_configENS1_32segmented_reduce_config_selectorIN3c104HalfEEEZNS1_21segmented_reduce_implIS3_PKS6_PS6_PKlS6_N6hipcub16HIPCUB_304000_NS6detail27convert_result_type_wrapperISA_SB_N2at6native12_GLOBAL__N_110CustomProdEEEEE10hipError_tPvRmT0_T1_jT2_SS_T4_T3_P12ihipStream_tbEUlT_E_NS1_11comp_targetILNS1_3genE4ELNS1_11target_archE910ELNS1_3gpuE8ELNS1_3repE0EEENS1_30default_config_static_selectorELNS0_4arch9wavefront6targetE1EEEvSR_,"axG",@progbits,_ZN7rocprim17ROCPRIM_400000_NS6detail17trampoline_kernelINS0_14default_configENS1_32segmented_reduce_config_selectorIN3c104HalfEEEZNS1_21segmented_reduce_implIS3_PKS6_PS6_PKlS6_N6hipcub16HIPCUB_304000_NS6detail27convert_result_type_wrapperISA_SB_N2at6native12_GLOBAL__N_110CustomProdEEEEE10hipError_tPvRmT0_T1_jT2_SS_T4_T3_P12ihipStream_tbEUlT_E_NS1_11comp_targetILNS1_3genE4ELNS1_11target_archE910ELNS1_3gpuE8ELNS1_3repE0EEENS1_30default_config_static_selectorELNS0_4arch9wavefront6targetE1EEEvSR_,comdat
.Lfunc_end241:
	.size	_ZN7rocprim17ROCPRIM_400000_NS6detail17trampoline_kernelINS0_14default_configENS1_32segmented_reduce_config_selectorIN3c104HalfEEEZNS1_21segmented_reduce_implIS3_PKS6_PS6_PKlS6_N6hipcub16HIPCUB_304000_NS6detail27convert_result_type_wrapperISA_SB_N2at6native12_GLOBAL__N_110CustomProdEEEEE10hipError_tPvRmT0_T1_jT2_SS_T4_T3_P12ihipStream_tbEUlT_E_NS1_11comp_targetILNS1_3genE4ELNS1_11target_archE910ELNS1_3gpuE8ELNS1_3repE0EEENS1_30default_config_static_selectorELNS0_4arch9wavefront6targetE1EEEvSR_, .Lfunc_end241-_ZN7rocprim17ROCPRIM_400000_NS6detail17trampoline_kernelINS0_14default_configENS1_32segmented_reduce_config_selectorIN3c104HalfEEEZNS1_21segmented_reduce_implIS3_PKS6_PS6_PKlS6_N6hipcub16HIPCUB_304000_NS6detail27convert_result_type_wrapperISA_SB_N2at6native12_GLOBAL__N_110CustomProdEEEEE10hipError_tPvRmT0_T1_jT2_SS_T4_T3_P12ihipStream_tbEUlT_E_NS1_11comp_targetILNS1_3genE4ELNS1_11target_archE910ELNS1_3gpuE8ELNS1_3repE0EEENS1_30default_config_static_selectorELNS0_4arch9wavefront6targetE1EEEvSR_
                                        ; -- End function
	.set _ZN7rocprim17ROCPRIM_400000_NS6detail17trampoline_kernelINS0_14default_configENS1_32segmented_reduce_config_selectorIN3c104HalfEEEZNS1_21segmented_reduce_implIS3_PKS6_PS6_PKlS6_N6hipcub16HIPCUB_304000_NS6detail27convert_result_type_wrapperISA_SB_N2at6native12_GLOBAL__N_110CustomProdEEEEE10hipError_tPvRmT0_T1_jT2_SS_T4_T3_P12ihipStream_tbEUlT_E_NS1_11comp_targetILNS1_3genE4ELNS1_11target_archE910ELNS1_3gpuE8ELNS1_3repE0EEENS1_30default_config_static_selectorELNS0_4arch9wavefront6targetE1EEEvSR_.num_vgpr, 0
	.set _ZN7rocprim17ROCPRIM_400000_NS6detail17trampoline_kernelINS0_14default_configENS1_32segmented_reduce_config_selectorIN3c104HalfEEEZNS1_21segmented_reduce_implIS3_PKS6_PS6_PKlS6_N6hipcub16HIPCUB_304000_NS6detail27convert_result_type_wrapperISA_SB_N2at6native12_GLOBAL__N_110CustomProdEEEEE10hipError_tPvRmT0_T1_jT2_SS_T4_T3_P12ihipStream_tbEUlT_E_NS1_11comp_targetILNS1_3genE4ELNS1_11target_archE910ELNS1_3gpuE8ELNS1_3repE0EEENS1_30default_config_static_selectorELNS0_4arch9wavefront6targetE1EEEvSR_.num_agpr, 0
	.set _ZN7rocprim17ROCPRIM_400000_NS6detail17trampoline_kernelINS0_14default_configENS1_32segmented_reduce_config_selectorIN3c104HalfEEEZNS1_21segmented_reduce_implIS3_PKS6_PS6_PKlS6_N6hipcub16HIPCUB_304000_NS6detail27convert_result_type_wrapperISA_SB_N2at6native12_GLOBAL__N_110CustomProdEEEEE10hipError_tPvRmT0_T1_jT2_SS_T4_T3_P12ihipStream_tbEUlT_E_NS1_11comp_targetILNS1_3genE4ELNS1_11target_archE910ELNS1_3gpuE8ELNS1_3repE0EEENS1_30default_config_static_selectorELNS0_4arch9wavefront6targetE1EEEvSR_.numbered_sgpr, 0
	.set _ZN7rocprim17ROCPRIM_400000_NS6detail17trampoline_kernelINS0_14default_configENS1_32segmented_reduce_config_selectorIN3c104HalfEEEZNS1_21segmented_reduce_implIS3_PKS6_PS6_PKlS6_N6hipcub16HIPCUB_304000_NS6detail27convert_result_type_wrapperISA_SB_N2at6native12_GLOBAL__N_110CustomProdEEEEE10hipError_tPvRmT0_T1_jT2_SS_T4_T3_P12ihipStream_tbEUlT_E_NS1_11comp_targetILNS1_3genE4ELNS1_11target_archE910ELNS1_3gpuE8ELNS1_3repE0EEENS1_30default_config_static_selectorELNS0_4arch9wavefront6targetE1EEEvSR_.num_named_barrier, 0
	.set _ZN7rocprim17ROCPRIM_400000_NS6detail17trampoline_kernelINS0_14default_configENS1_32segmented_reduce_config_selectorIN3c104HalfEEEZNS1_21segmented_reduce_implIS3_PKS6_PS6_PKlS6_N6hipcub16HIPCUB_304000_NS6detail27convert_result_type_wrapperISA_SB_N2at6native12_GLOBAL__N_110CustomProdEEEEE10hipError_tPvRmT0_T1_jT2_SS_T4_T3_P12ihipStream_tbEUlT_E_NS1_11comp_targetILNS1_3genE4ELNS1_11target_archE910ELNS1_3gpuE8ELNS1_3repE0EEENS1_30default_config_static_selectorELNS0_4arch9wavefront6targetE1EEEvSR_.private_seg_size, 0
	.set _ZN7rocprim17ROCPRIM_400000_NS6detail17trampoline_kernelINS0_14default_configENS1_32segmented_reduce_config_selectorIN3c104HalfEEEZNS1_21segmented_reduce_implIS3_PKS6_PS6_PKlS6_N6hipcub16HIPCUB_304000_NS6detail27convert_result_type_wrapperISA_SB_N2at6native12_GLOBAL__N_110CustomProdEEEEE10hipError_tPvRmT0_T1_jT2_SS_T4_T3_P12ihipStream_tbEUlT_E_NS1_11comp_targetILNS1_3genE4ELNS1_11target_archE910ELNS1_3gpuE8ELNS1_3repE0EEENS1_30default_config_static_selectorELNS0_4arch9wavefront6targetE1EEEvSR_.uses_vcc, 0
	.set _ZN7rocprim17ROCPRIM_400000_NS6detail17trampoline_kernelINS0_14default_configENS1_32segmented_reduce_config_selectorIN3c104HalfEEEZNS1_21segmented_reduce_implIS3_PKS6_PS6_PKlS6_N6hipcub16HIPCUB_304000_NS6detail27convert_result_type_wrapperISA_SB_N2at6native12_GLOBAL__N_110CustomProdEEEEE10hipError_tPvRmT0_T1_jT2_SS_T4_T3_P12ihipStream_tbEUlT_E_NS1_11comp_targetILNS1_3genE4ELNS1_11target_archE910ELNS1_3gpuE8ELNS1_3repE0EEENS1_30default_config_static_selectorELNS0_4arch9wavefront6targetE1EEEvSR_.uses_flat_scratch, 0
	.set _ZN7rocprim17ROCPRIM_400000_NS6detail17trampoline_kernelINS0_14default_configENS1_32segmented_reduce_config_selectorIN3c104HalfEEEZNS1_21segmented_reduce_implIS3_PKS6_PS6_PKlS6_N6hipcub16HIPCUB_304000_NS6detail27convert_result_type_wrapperISA_SB_N2at6native12_GLOBAL__N_110CustomProdEEEEE10hipError_tPvRmT0_T1_jT2_SS_T4_T3_P12ihipStream_tbEUlT_E_NS1_11comp_targetILNS1_3genE4ELNS1_11target_archE910ELNS1_3gpuE8ELNS1_3repE0EEENS1_30default_config_static_selectorELNS0_4arch9wavefront6targetE1EEEvSR_.has_dyn_sized_stack, 0
	.set _ZN7rocprim17ROCPRIM_400000_NS6detail17trampoline_kernelINS0_14default_configENS1_32segmented_reduce_config_selectorIN3c104HalfEEEZNS1_21segmented_reduce_implIS3_PKS6_PS6_PKlS6_N6hipcub16HIPCUB_304000_NS6detail27convert_result_type_wrapperISA_SB_N2at6native12_GLOBAL__N_110CustomProdEEEEE10hipError_tPvRmT0_T1_jT2_SS_T4_T3_P12ihipStream_tbEUlT_E_NS1_11comp_targetILNS1_3genE4ELNS1_11target_archE910ELNS1_3gpuE8ELNS1_3repE0EEENS1_30default_config_static_selectorELNS0_4arch9wavefront6targetE1EEEvSR_.has_recursion, 0
	.set _ZN7rocprim17ROCPRIM_400000_NS6detail17trampoline_kernelINS0_14default_configENS1_32segmented_reduce_config_selectorIN3c104HalfEEEZNS1_21segmented_reduce_implIS3_PKS6_PS6_PKlS6_N6hipcub16HIPCUB_304000_NS6detail27convert_result_type_wrapperISA_SB_N2at6native12_GLOBAL__N_110CustomProdEEEEE10hipError_tPvRmT0_T1_jT2_SS_T4_T3_P12ihipStream_tbEUlT_E_NS1_11comp_targetILNS1_3genE4ELNS1_11target_archE910ELNS1_3gpuE8ELNS1_3repE0EEENS1_30default_config_static_selectorELNS0_4arch9wavefront6targetE1EEEvSR_.has_indirect_call, 0
	.section	.AMDGPU.csdata,"",@progbits
; Kernel info:
; codeLenInByte = 0
; TotalNumSgprs: 4
; NumVgprs: 0
; ScratchSize: 0
; MemoryBound: 0
; FloatMode: 240
; IeeeMode: 1
; LDSByteSize: 0 bytes/workgroup (compile time only)
; SGPRBlocks: 0
; VGPRBlocks: 0
; NumSGPRsForWavesPerEU: 4
; NumVGPRsForWavesPerEU: 1
; Occupancy: 10
; WaveLimiterHint : 0
; COMPUTE_PGM_RSRC2:SCRATCH_EN: 0
; COMPUTE_PGM_RSRC2:USER_SGPR: 6
; COMPUTE_PGM_RSRC2:TRAP_HANDLER: 0
; COMPUTE_PGM_RSRC2:TGID_X_EN: 1
; COMPUTE_PGM_RSRC2:TGID_Y_EN: 0
; COMPUTE_PGM_RSRC2:TGID_Z_EN: 0
; COMPUTE_PGM_RSRC2:TIDIG_COMP_CNT: 0
	.section	.text._ZN7rocprim17ROCPRIM_400000_NS6detail17trampoline_kernelINS0_14default_configENS1_32segmented_reduce_config_selectorIN3c104HalfEEEZNS1_21segmented_reduce_implIS3_PKS6_PS6_PKlS6_N6hipcub16HIPCUB_304000_NS6detail27convert_result_type_wrapperISA_SB_N2at6native12_GLOBAL__N_110CustomProdEEEEE10hipError_tPvRmT0_T1_jT2_SS_T4_T3_P12ihipStream_tbEUlT_E_NS1_11comp_targetILNS1_3genE3ELNS1_11target_archE908ELNS1_3gpuE7ELNS1_3repE0EEENS1_30default_config_static_selectorELNS0_4arch9wavefront6targetE1EEEvSR_,"axG",@progbits,_ZN7rocprim17ROCPRIM_400000_NS6detail17trampoline_kernelINS0_14default_configENS1_32segmented_reduce_config_selectorIN3c104HalfEEEZNS1_21segmented_reduce_implIS3_PKS6_PS6_PKlS6_N6hipcub16HIPCUB_304000_NS6detail27convert_result_type_wrapperISA_SB_N2at6native12_GLOBAL__N_110CustomProdEEEEE10hipError_tPvRmT0_T1_jT2_SS_T4_T3_P12ihipStream_tbEUlT_E_NS1_11comp_targetILNS1_3genE3ELNS1_11target_archE908ELNS1_3gpuE7ELNS1_3repE0EEENS1_30default_config_static_selectorELNS0_4arch9wavefront6targetE1EEEvSR_,comdat
	.globl	_ZN7rocprim17ROCPRIM_400000_NS6detail17trampoline_kernelINS0_14default_configENS1_32segmented_reduce_config_selectorIN3c104HalfEEEZNS1_21segmented_reduce_implIS3_PKS6_PS6_PKlS6_N6hipcub16HIPCUB_304000_NS6detail27convert_result_type_wrapperISA_SB_N2at6native12_GLOBAL__N_110CustomProdEEEEE10hipError_tPvRmT0_T1_jT2_SS_T4_T3_P12ihipStream_tbEUlT_E_NS1_11comp_targetILNS1_3genE3ELNS1_11target_archE908ELNS1_3gpuE7ELNS1_3repE0EEENS1_30default_config_static_selectorELNS0_4arch9wavefront6targetE1EEEvSR_ ; -- Begin function _ZN7rocprim17ROCPRIM_400000_NS6detail17trampoline_kernelINS0_14default_configENS1_32segmented_reduce_config_selectorIN3c104HalfEEEZNS1_21segmented_reduce_implIS3_PKS6_PS6_PKlS6_N6hipcub16HIPCUB_304000_NS6detail27convert_result_type_wrapperISA_SB_N2at6native12_GLOBAL__N_110CustomProdEEEEE10hipError_tPvRmT0_T1_jT2_SS_T4_T3_P12ihipStream_tbEUlT_E_NS1_11comp_targetILNS1_3genE3ELNS1_11target_archE908ELNS1_3gpuE7ELNS1_3repE0EEENS1_30default_config_static_selectorELNS0_4arch9wavefront6targetE1EEEvSR_
	.p2align	8
	.type	_ZN7rocprim17ROCPRIM_400000_NS6detail17trampoline_kernelINS0_14default_configENS1_32segmented_reduce_config_selectorIN3c104HalfEEEZNS1_21segmented_reduce_implIS3_PKS6_PS6_PKlS6_N6hipcub16HIPCUB_304000_NS6detail27convert_result_type_wrapperISA_SB_N2at6native12_GLOBAL__N_110CustomProdEEEEE10hipError_tPvRmT0_T1_jT2_SS_T4_T3_P12ihipStream_tbEUlT_E_NS1_11comp_targetILNS1_3genE3ELNS1_11target_archE908ELNS1_3gpuE7ELNS1_3repE0EEENS1_30default_config_static_selectorELNS0_4arch9wavefront6targetE1EEEvSR_,@function
_ZN7rocprim17ROCPRIM_400000_NS6detail17trampoline_kernelINS0_14default_configENS1_32segmented_reduce_config_selectorIN3c104HalfEEEZNS1_21segmented_reduce_implIS3_PKS6_PS6_PKlS6_N6hipcub16HIPCUB_304000_NS6detail27convert_result_type_wrapperISA_SB_N2at6native12_GLOBAL__N_110CustomProdEEEEE10hipError_tPvRmT0_T1_jT2_SS_T4_T3_P12ihipStream_tbEUlT_E_NS1_11comp_targetILNS1_3genE3ELNS1_11target_archE908ELNS1_3gpuE7ELNS1_3repE0EEENS1_30default_config_static_selectorELNS0_4arch9wavefront6targetE1EEEvSR_: ; @_ZN7rocprim17ROCPRIM_400000_NS6detail17trampoline_kernelINS0_14default_configENS1_32segmented_reduce_config_selectorIN3c104HalfEEEZNS1_21segmented_reduce_implIS3_PKS6_PS6_PKlS6_N6hipcub16HIPCUB_304000_NS6detail27convert_result_type_wrapperISA_SB_N2at6native12_GLOBAL__N_110CustomProdEEEEE10hipError_tPvRmT0_T1_jT2_SS_T4_T3_P12ihipStream_tbEUlT_E_NS1_11comp_targetILNS1_3genE3ELNS1_11target_archE908ELNS1_3gpuE7ELNS1_3repE0EEENS1_30default_config_static_selectorELNS0_4arch9wavefront6targetE1EEEvSR_
; %bb.0:
	.section	.rodata,"a",@progbits
	.p2align	6, 0x0
	.amdhsa_kernel _ZN7rocprim17ROCPRIM_400000_NS6detail17trampoline_kernelINS0_14default_configENS1_32segmented_reduce_config_selectorIN3c104HalfEEEZNS1_21segmented_reduce_implIS3_PKS6_PS6_PKlS6_N6hipcub16HIPCUB_304000_NS6detail27convert_result_type_wrapperISA_SB_N2at6native12_GLOBAL__N_110CustomProdEEEEE10hipError_tPvRmT0_T1_jT2_SS_T4_T3_P12ihipStream_tbEUlT_E_NS1_11comp_targetILNS1_3genE3ELNS1_11target_archE908ELNS1_3gpuE7ELNS1_3repE0EEENS1_30default_config_static_selectorELNS0_4arch9wavefront6targetE1EEEvSR_
		.amdhsa_group_segment_fixed_size 0
		.amdhsa_private_segment_fixed_size 0
		.amdhsa_kernarg_size 48
		.amdhsa_user_sgpr_count 6
		.amdhsa_user_sgpr_private_segment_buffer 1
		.amdhsa_user_sgpr_dispatch_ptr 0
		.amdhsa_user_sgpr_queue_ptr 0
		.amdhsa_user_sgpr_kernarg_segment_ptr 1
		.amdhsa_user_sgpr_dispatch_id 0
		.amdhsa_user_sgpr_flat_scratch_init 0
		.amdhsa_user_sgpr_private_segment_size 0
		.amdhsa_uses_dynamic_stack 0
		.amdhsa_system_sgpr_private_segment_wavefront_offset 0
		.amdhsa_system_sgpr_workgroup_id_x 1
		.amdhsa_system_sgpr_workgroup_id_y 0
		.amdhsa_system_sgpr_workgroup_id_z 0
		.amdhsa_system_sgpr_workgroup_info 0
		.amdhsa_system_vgpr_workitem_id 0
		.amdhsa_next_free_vgpr 1
		.amdhsa_next_free_sgpr 0
		.amdhsa_reserve_vcc 0
		.amdhsa_reserve_flat_scratch 0
		.amdhsa_float_round_mode_32 0
		.amdhsa_float_round_mode_16_64 0
		.amdhsa_float_denorm_mode_32 3
		.amdhsa_float_denorm_mode_16_64 3
		.amdhsa_dx10_clamp 1
		.amdhsa_ieee_mode 1
		.amdhsa_fp16_overflow 0
		.amdhsa_exception_fp_ieee_invalid_op 0
		.amdhsa_exception_fp_denorm_src 0
		.amdhsa_exception_fp_ieee_div_zero 0
		.amdhsa_exception_fp_ieee_overflow 0
		.amdhsa_exception_fp_ieee_underflow 0
		.amdhsa_exception_fp_ieee_inexact 0
		.amdhsa_exception_int_div_zero 0
	.end_amdhsa_kernel
	.section	.text._ZN7rocprim17ROCPRIM_400000_NS6detail17trampoline_kernelINS0_14default_configENS1_32segmented_reduce_config_selectorIN3c104HalfEEEZNS1_21segmented_reduce_implIS3_PKS6_PS6_PKlS6_N6hipcub16HIPCUB_304000_NS6detail27convert_result_type_wrapperISA_SB_N2at6native12_GLOBAL__N_110CustomProdEEEEE10hipError_tPvRmT0_T1_jT2_SS_T4_T3_P12ihipStream_tbEUlT_E_NS1_11comp_targetILNS1_3genE3ELNS1_11target_archE908ELNS1_3gpuE7ELNS1_3repE0EEENS1_30default_config_static_selectorELNS0_4arch9wavefront6targetE1EEEvSR_,"axG",@progbits,_ZN7rocprim17ROCPRIM_400000_NS6detail17trampoline_kernelINS0_14default_configENS1_32segmented_reduce_config_selectorIN3c104HalfEEEZNS1_21segmented_reduce_implIS3_PKS6_PS6_PKlS6_N6hipcub16HIPCUB_304000_NS6detail27convert_result_type_wrapperISA_SB_N2at6native12_GLOBAL__N_110CustomProdEEEEE10hipError_tPvRmT0_T1_jT2_SS_T4_T3_P12ihipStream_tbEUlT_E_NS1_11comp_targetILNS1_3genE3ELNS1_11target_archE908ELNS1_3gpuE7ELNS1_3repE0EEENS1_30default_config_static_selectorELNS0_4arch9wavefront6targetE1EEEvSR_,comdat
.Lfunc_end242:
	.size	_ZN7rocprim17ROCPRIM_400000_NS6detail17trampoline_kernelINS0_14default_configENS1_32segmented_reduce_config_selectorIN3c104HalfEEEZNS1_21segmented_reduce_implIS3_PKS6_PS6_PKlS6_N6hipcub16HIPCUB_304000_NS6detail27convert_result_type_wrapperISA_SB_N2at6native12_GLOBAL__N_110CustomProdEEEEE10hipError_tPvRmT0_T1_jT2_SS_T4_T3_P12ihipStream_tbEUlT_E_NS1_11comp_targetILNS1_3genE3ELNS1_11target_archE908ELNS1_3gpuE7ELNS1_3repE0EEENS1_30default_config_static_selectorELNS0_4arch9wavefront6targetE1EEEvSR_, .Lfunc_end242-_ZN7rocprim17ROCPRIM_400000_NS6detail17trampoline_kernelINS0_14default_configENS1_32segmented_reduce_config_selectorIN3c104HalfEEEZNS1_21segmented_reduce_implIS3_PKS6_PS6_PKlS6_N6hipcub16HIPCUB_304000_NS6detail27convert_result_type_wrapperISA_SB_N2at6native12_GLOBAL__N_110CustomProdEEEEE10hipError_tPvRmT0_T1_jT2_SS_T4_T3_P12ihipStream_tbEUlT_E_NS1_11comp_targetILNS1_3genE3ELNS1_11target_archE908ELNS1_3gpuE7ELNS1_3repE0EEENS1_30default_config_static_selectorELNS0_4arch9wavefront6targetE1EEEvSR_
                                        ; -- End function
	.set _ZN7rocprim17ROCPRIM_400000_NS6detail17trampoline_kernelINS0_14default_configENS1_32segmented_reduce_config_selectorIN3c104HalfEEEZNS1_21segmented_reduce_implIS3_PKS6_PS6_PKlS6_N6hipcub16HIPCUB_304000_NS6detail27convert_result_type_wrapperISA_SB_N2at6native12_GLOBAL__N_110CustomProdEEEEE10hipError_tPvRmT0_T1_jT2_SS_T4_T3_P12ihipStream_tbEUlT_E_NS1_11comp_targetILNS1_3genE3ELNS1_11target_archE908ELNS1_3gpuE7ELNS1_3repE0EEENS1_30default_config_static_selectorELNS0_4arch9wavefront6targetE1EEEvSR_.num_vgpr, 0
	.set _ZN7rocprim17ROCPRIM_400000_NS6detail17trampoline_kernelINS0_14default_configENS1_32segmented_reduce_config_selectorIN3c104HalfEEEZNS1_21segmented_reduce_implIS3_PKS6_PS6_PKlS6_N6hipcub16HIPCUB_304000_NS6detail27convert_result_type_wrapperISA_SB_N2at6native12_GLOBAL__N_110CustomProdEEEEE10hipError_tPvRmT0_T1_jT2_SS_T4_T3_P12ihipStream_tbEUlT_E_NS1_11comp_targetILNS1_3genE3ELNS1_11target_archE908ELNS1_3gpuE7ELNS1_3repE0EEENS1_30default_config_static_selectorELNS0_4arch9wavefront6targetE1EEEvSR_.num_agpr, 0
	.set _ZN7rocprim17ROCPRIM_400000_NS6detail17trampoline_kernelINS0_14default_configENS1_32segmented_reduce_config_selectorIN3c104HalfEEEZNS1_21segmented_reduce_implIS3_PKS6_PS6_PKlS6_N6hipcub16HIPCUB_304000_NS6detail27convert_result_type_wrapperISA_SB_N2at6native12_GLOBAL__N_110CustomProdEEEEE10hipError_tPvRmT0_T1_jT2_SS_T4_T3_P12ihipStream_tbEUlT_E_NS1_11comp_targetILNS1_3genE3ELNS1_11target_archE908ELNS1_3gpuE7ELNS1_3repE0EEENS1_30default_config_static_selectorELNS0_4arch9wavefront6targetE1EEEvSR_.numbered_sgpr, 0
	.set _ZN7rocprim17ROCPRIM_400000_NS6detail17trampoline_kernelINS0_14default_configENS1_32segmented_reduce_config_selectorIN3c104HalfEEEZNS1_21segmented_reduce_implIS3_PKS6_PS6_PKlS6_N6hipcub16HIPCUB_304000_NS6detail27convert_result_type_wrapperISA_SB_N2at6native12_GLOBAL__N_110CustomProdEEEEE10hipError_tPvRmT0_T1_jT2_SS_T4_T3_P12ihipStream_tbEUlT_E_NS1_11comp_targetILNS1_3genE3ELNS1_11target_archE908ELNS1_3gpuE7ELNS1_3repE0EEENS1_30default_config_static_selectorELNS0_4arch9wavefront6targetE1EEEvSR_.num_named_barrier, 0
	.set _ZN7rocprim17ROCPRIM_400000_NS6detail17trampoline_kernelINS0_14default_configENS1_32segmented_reduce_config_selectorIN3c104HalfEEEZNS1_21segmented_reduce_implIS3_PKS6_PS6_PKlS6_N6hipcub16HIPCUB_304000_NS6detail27convert_result_type_wrapperISA_SB_N2at6native12_GLOBAL__N_110CustomProdEEEEE10hipError_tPvRmT0_T1_jT2_SS_T4_T3_P12ihipStream_tbEUlT_E_NS1_11comp_targetILNS1_3genE3ELNS1_11target_archE908ELNS1_3gpuE7ELNS1_3repE0EEENS1_30default_config_static_selectorELNS0_4arch9wavefront6targetE1EEEvSR_.private_seg_size, 0
	.set _ZN7rocprim17ROCPRIM_400000_NS6detail17trampoline_kernelINS0_14default_configENS1_32segmented_reduce_config_selectorIN3c104HalfEEEZNS1_21segmented_reduce_implIS3_PKS6_PS6_PKlS6_N6hipcub16HIPCUB_304000_NS6detail27convert_result_type_wrapperISA_SB_N2at6native12_GLOBAL__N_110CustomProdEEEEE10hipError_tPvRmT0_T1_jT2_SS_T4_T3_P12ihipStream_tbEUlT_E_NS1_11comp_targetILNS1_3genE3ELNS1_11target_archE908ELNS1_3gpuE7ELNS1_3repE0EEENS1_30default_config_static_selectorELNS0_4arch9wavefront6targetE1EEEvSR_.uses_vcc, 0
	.set _ZN7rocprim17ROCPRIM_400000_NS6detail17trampoline_kernelINS0_14default_configENS1_32segmented_reduce_config_selectorIN3c104HalfEEEZNS1_21segmented_reduce_implIS3_PKS6_PS6_PKlS6_N6hipcub16HIPCUB_304000_NS6detail27convert_result_type_wrapperISA_SB_N2at6native12_GLOBAL__N_110CustomProdEEEEE10hipError_tPvRmT0_T1_jT2_SS_T4_T3_P12ihipStream_tbEUlT_E_NS1_11comp_targetILNS1_3genE3ELNS1_11target_archE908ELNS1_3gpuE7ELNS1_3repE0EEENS1_30default_config_static_selectorELNS0_4arch9wavefront6targetE1EEEvSR_.uses_flat_scratch, 0
	.set _ZN7rocprim17ROCPRIM_400000_NS6detail17trampoline_kernelINS0_14default_configENS1_32segmented_reduce_config_selectorIN3c104HalfEEEZNS1_21segmented_reduce_implIS3_PKS6_PS6_PKlS6_N6hipcub16HIPCUB_304000_NS6detail27convert_result_type_wrapperISA_SB_N2at6native12_GLOBAL__N_110CustomProdEEEEE10hipError_tPvRmT0_T1_jT2_SS_T4_T3_P12ihipStream_tbEUlT_E_NS1_11comp_targetILNS1_3genE3ELNS1_11target_archE908ELNS1_3gpuE7ELNS1_3repE0EEENS1_30default_config_static_selectorELNS0_4arch9wavefront6targetE1EEEvSR_.has_dyn_sized_stack, 0
	.set _ZN7rocprim17ROCPRIM_400000_NS6detail17trampoline_kernelINS0_14default_configENS1_32segmented_reduce_config_selectorIN3c104HalfEEEZNS1_21segmented_reduce_implIS3_PKS6_PS6_PKlS6_N6hipcub16HIPCUB_304000_NS6detail27convert_result_type_wrapperISA_SB_N2at6native12_GLOBAL__N_110CustomProdEEEEE10hipError_tPvRmT0_T1_jT2_SS_T4_T3_P12ihipStream_tbEUlT_E_NS1_11comp_targetILNS1_3genE3ELNS1_11target_archE908ELNS1_3gpuE7ELNS1_3repE0EEENS1_30default_config_static_selectorELNS0_4arch9wavefront6targetE1EEEvSR_.has_recursion, 0
	.set _ZN7rocprim17ROCPRIM_400000_NS6detail17trampoline_kernelINS0_14default_configENS1_32segmented_reduce_config_selectorIN3c104HalfEEEZNS1_21segmented_reduce_implIS3_PKS6_PS6_PKlS6_N6hipcub16HIPCUB_304000_NS6detail27convert_result_type_wrapperISA_SB_N2at6native12_GLOBAL__N_110CustomProdEEEEE10hipError_tPvRmT0_T1_jT2_SS_T4_T3_P12ihipStream_tbEUlT_E_NS1_11comp_targetILNS1_3genE3ELNS1_11target_archE908ELNS1_3gpuE7ELNS1_3repE0EEENS1_30default_config_static_selectorELNS0_4arch9wavefront6targetE1EEEvSR_.has_indirect_call, 0
	.section	.AMDGPU.csdata,"",@progbits
; Kernel info:
; codeLenInByte = 0
; TotalNumSgprs: 4
; NumVgprs: 0
; ScratchSize: 0
; MemoryBound: 0
; FloatMode: 240
; IeeeMode: 1
; LDSByteSize: 0 bytes/workgroup (compile time only)
; SGPRBlocks: 0
; VGPRBlocks: 0
; NumSGPRsForWavesPerEU: 4
; NumVGPRsForWavesPerEU: 1
; Occupancy: 10
; WaveLimiterHint : 0
; COMPUTE_PGM_RSRC2:SCRATCH_EN: 0
; COMPUTE_PGM_RSRC2:USER_SGPR: 6
; COMPUTE_PGM_RSRC2:TRAP_HANDLER: 0
; COMPUTE_PGM_RSRC2:TGID_X_EN: 1
; COMPUTE_PGM_RSRC2:TGID_Y_EN: 0
; COMPUTE_PGM_RSRC2:TGID_Z_EN: 0
; COMPUTE_PGM_RSRC2:TIDIG_COMP_CNT: 0
	.section	.text._ZN7rocprim17ROCPRIM_400000_NS6detail17trampoline_kernelINS0_14default_configENS1_32segmented_reduce_config_selectorIN3c104HalfEEEZNS1_21segmented_reduce_implIS3_PKS6_PS6_PKlS6_N6hipcub16HIPCUB_304000_NS6detail27convert_result_type_wrapperISA_SB_N2at6native12_GLOBAL__N_110CustomProdEEEEE10hipError_tPvRmT0_T1_jT2_SS_T4_T3_P12ihipStream_tbEUlT_E_NS1_11comp_targetILNS1_3genE2ELNS1_11target_archE906ELNS1_3gpuE6ELNS1_3repE0EEENS1_30default_config_static_selectorELNS0_4arch9wavefront6targetE1EEEvSR_,"axG",@progbits,_ZN7rocprim17ROCPRIM_400000_NS6detail17trampoline_kernelINS0_14default_configENS1_32segmented_reduce_config_selectorIN3c104HalfEEEZNS1_21segmented_reduce_implIS3_PKS6_PS6_PKlS6_N6hipcub16HIPCUB_304000_NS6detail27convert_result_type_wrapperISA_SB_N2at6native12_GLOBAL__N_110CustomProdEEEEE10hipError_tPvRmT0_T1_jT2_SS_T4_T3_P12ihipStream_tbEUlT_E_NS1_11comp_targetILNS1_3genE2ELNS1_11target_archE906ELNS1_3gpuE6ELNS1_3repE0EEENS1_30default_config_static_selectorELNS0_4arch9wavefront6targetE1EEEvSR_,comdat
	.globl	_ZN7rocprim17ROCPRIM_400000_NS6detail17trampoline_kernelINS0_14default_configENS1_32segmented_reduce_config_selectorIN3c104HalfEEEZNS1_21segmented_reduce_implIS3_PKS6_PS6_PKlS6_N6hipcub16HIPCUB_304000_NS6detail27convert_result_type_wrapperISA_SB_N2at6native12_GLOBAL__N_110CustomProdEEEEE10hipError_tPvRmT0_T1_jT2_SS_T4_T3_P12ihipStream_tbEUlT_E_NS1_11comp_targetILNS1_3genE2ELNS1_11target_archE906ELNS1_3gpuE6ELNS1_3repE0EEENS1_30default_config_static_selectorELNS0_4arch9wavefront6targetE1EEEvSR_ ; -- Begin function _ZN7rocprim17ROCPRIM_400000_NS6detail17trampoline_kernelINS0_14default_configENS1_32segmented_reduce_config_selectorIN3c104HalfEEEZNS1_21segmented_reduce_implIS3_PKS6_PS6_PKlS6_N6hipcub16HIPCUB_304000_NS6detail27convert_result_type_wrapperISA_SB_N2at6native12_GLOBAL__N_110CustomProdEEEEE10hipError_tPvRmT0_T1_jT2_SS_T4_T3_P12ihipStream_tbEUlT_E_NS1_11comp_targetILNS1_3genE2ELNS1_11target_archE906ELNS1_3gpuE6ELNS1_3repE0EEENS1_30default_config_static_selectorELNS0_4arch9wavefront6targetE1EEEvSR_
	.p2align	8
	.type	_ZN7rocprim17ROCPRIM_400000_NS6detail17trampoline_kernelINS0_14default_configENS1_32segmented_reduce_config_selectorIN3c104HalfEEEZNS1_21segmented_reduce_implIS3_PKS6_PS6_PKlS6_N6hipcub16HIPCUB_304000_NS6detail27convert_result_type_wrapperISA_SB_N2at6native12_GLOBAL__N_110CustomProdEEEEE10hipError_tPvRmT0_T1_jT2_SS_T4_T3_P12ihipStream_tbEUlT_E_NS1_11comp_targetILNS1_3genE2ELNS1_11target_archE906ELNS1_3gpuE6ELNS1_3repE0EEENS1_30default_config_static_selectorELNS0_4arch9wavefront6targetE1EEEvSR_,@function
_ZN7rocprim17ROCPRIM_400000_NS6detail17trampoline_kernelINS0_14default_configENS1_32segmented_reduce_config_selectorIN3c104HalfEEEZNS1_21segmented_reduce_implIS3_PKS6_PS6_PKlS6_N6hipcub16HIPCUB_304000_NS6detail27convert_result_type_wrapperISA_SB_N2at6native12_GLOBAL__N_110CustomProdEEEEE10hipError_tPvRmT0_T1_jT2_SS_T4_T3_P12ihipStream_tbEUlT_E_NS1_11comp_targetILNS1_3genE2ELNS1_11target_archE906ELNS1_3gpuE6ELNS1_3repE0EEENS1_30default_config_static_selectorELNS0_4arch9wavefront6targetE1EEEvSR_: ; @_ZN7rocprim17ROCPRIM_400000_NS6detail17trampoline_kernelINS0_14default_configENS1_32segmented_reduce_config_selectorIN3c104HalfEEEZNS1_21segmented_reduce_implIS3_PKS6_PS6_PKlS6_N6hipcub16HIPCUB_304000_NS6detail27convert_result_type_wrapperISA_SB_N2at6native12_GLOBAL__N_110CustomProdEEEEE10hipError_tPvRmT0_T1_jT2_SS_T4_T3_P12ihipStream_tbEUlT_E_NS1_11comp_targetILNS1_3genE2ELNS1_11target_archE906ELNS1_3gpuE6ELNS1_3repE0EEENS1_30default_config_static_selectorELNS0_4arch9wavefront6targetE1EEEvSR_
; %bb.0:
	s_load_dword s2, s[4:5], 0x28
	s_load_dwordx8 s[36:43], s[4:5], 0x0
	s_load_dwordx2 s[0:1], s[4:5], 0x20
	s_mov_b32 s7, 0
	s_waitcnt lgkmcnt(0)
	s_lshr_b32 s33, s2, 16
	s_lshl_b64 s[2:3], s[40:41], 1
	s_add_u32 s44, s38, s2
	s_addc_u32 s45, s39, s3
	s_lshl_b64 s[2:3], s[40:41], 3
	s_add_u32 s4, s42, s2
	s_addc_u32 s5, s43, s3
	s_add_u32 s8, s0, s2
	s_addc_u32 s9, s1, s3
	s_lshl_b64 s[0:1], s[6:7], 3
	s_add_u32 s2, s4, s0
	s_addc_u32 s3, s5, s1
	s_load_dwordx2 s[38:39], s[2:3], 0x0
	s_add_u32 s0, s8, s0
	s_addc_u32 s1, s9, s1
	s_load_dwordx2 s[34:35], s[0:1], 0x0
	s_mov_b64 s[2:3], -1
	s_waitcnt lgkmcnt(0)
	v_mov_b32_e32 v1, s38
	v_mov_b32_e32 v2, s39
	v_cmp_eq_u32_e64 s[0:1], 0, v0
	v_cmp_gt_i64_e32 vcc, s[34:35], v[1:2]
	s_cbranch_vccnz .LBB243_4
; %bb.1:
	s_and_saveexec_b64 s[2:3], s[0:1]
	s_cbranch_execz .LBB243_3
; %bb.2:
	s_lshl_b64 s[0:1], s[6:7], 1
	s_add_u32 s0, s44, s0
	s_addc_u32 s1, s45, s1
	v_mov_b32_e32 v1, 0
	v_mov_b32_e32 v2, s33
	global_store_short v1, v2, s[0:1]
.LBB243_3:
	s_or_b64 exec, exec, s[2:3]
	s_mov_b64 s[2:3], 0
.LBB243_4:
	s_andn2_b64 vcc, exec, s[2:3]
	s_cbranch_vccnz .LBB243_69
; %bb.5:
	s_add_u32 s2, s38, 0x1000
	v_mov_b32_e32 v1, s34
	s_addc_u32 s3, s39, 0
	v_mov_b32_e32 v2, s35
	v_cmp_le_i64_e32 vcc, s[2:3], v[1:2]
	s_cbranch_vccz .LBB243_46
; %bb.6:
	s_lshl_b64 s[0:1], s[38:39], 1
	s_add_u32 s4, s36, s0
	s_addc_u32 s5, s37, s1
	v_lshlrev_b32_e32 v20, 1, v0
	global_load_ushort v3, v20, s[4:5]
	global_load_ushort v4, v20, s[4:5] offset:512
	global_load_ushort v5, v20, s[4:5] offset:1024
	;; [unrolled: 1-line block ×7, first 2 shown]
	v_mov_b32_e32 v1, s5
	v_add_co_u32_e32 v2, vcc, s4, v20
	v_addc_co_u32_e32 v11, vcc, 0, v1, vcc
	s_movk_i32 s4, 0x1000
	v_add_co_u32_e32 v1, vcc, s4, v2
	v_addc_co_u32_e32 v2, vcc, 0, v11, vcc
	global_load_ushort v12, v[1:2], off
	global_load_ushort v13, v[1:2], off offset:512
	global_load_ushort v14, v[1:2], off offset:1024
	;; [unrolled: 1-line block ×7, first 2 shown]
	v_mov_b32_e32 v1, s34
	s_add_u32 s4, s38, 0x2000
	v_mov_b32_e32 v2, s35
	s_addc_u32 s5, s39, 0
	v_cmp_ge_i64_e32 vcc, s[4:5], v[1:2]
	s_and_b64 vcc, exec, vcc
	s_waitcnt vmcnt(14)
	v_mul_f16_e32 v1, v3, v4
	s_waitcnt vmcnt(13)
	v_mul_f16_e32 v1, v1, v5
	;; [unrolled: 2-line block ×15, first 2 shown]
	s_cbranch_vccnz .LBB243_9
; %bb.7:
	s_add_u32 s0, s36, s0
	s_addc_u32 s1, s37, s1
	v_mov_b32_e32 v1, s1
	v_add_co_u32_e32 v2, vcc, s0, v20
	v_addc_co_u32_e32 v3, vcc, 0, v1, vcc
	v_add_co_u32_e32 v1, vcc, 0x2000, v2
	v_addc_co_u32_e32 v2, vcc, 0, v3, vcc
.LBB243_8:                              ; =>This Inner Loop Header: Depth=1
	global_load_ushort v3, v[1:2], off
	global_load_ushort v4, v[1:2], off offset:512
	global_load_ushort v5, v[1:2], off offset:1024
	;; [unrolled: 1-line block ×7, first 2 shown]
	s_mov_b64 s[0:1], s[2:3]
	v_add_co_u32_e32 v21, vcc, 0x1000, v1
	v_addc_co_u32_e32 v22, vcc, 0, v2, vcc
	s_add_u32 s2, s0, 0x1000
	global_load_ushort v12, v[21:22], off
	global_load_ushort v13, v[21:22], off offset:512
	global_load_ushort v14, v[21:22], off offset:1024
	;; [unrolled: 1-line block ×4, first 2 shown]
	s_addc_u32 s3, s1, 0
	v_mov_b32_e32 v17, s34
	s_add_u32 s0, s0, 0x2000
	v_mov_b32_e32 v18, s35
	s_addc_u32 s1, s1, 0
	v_cmp_lt_i64_e64 s[0:1], s[0:1], v[17:18]
	global_load_ushort v17, v[21:22], off offset:2560
	global_load_ushort v18, v[21:22], off offset:3072
	;; [unrolled: 1-line block ×3, first 2 shown]
	v_add_co_u32_e32 v1, vcc, 0x2000, v1
	v_addc_co_u32_e32 v2, vcc, 0, v2, vcc
	s_and_b64 vcc, exec, s[0:1]
	s_waitcnt vmcnt(15)
	v_mul_f16_e32 v11, v11, v3
	s_waitcnt vmcnt(14)
	v_mul_f16_e32 v11, v11, v4
	;; [unrolled: 2-line block ×16, first 2 shown]
	s_cbranch_vccnz .LBB243_8
.LBB243_9:
	s_sub_i32 s42, s34, s2
	s_lshl_b64 s[0:1], s[2:3], 1
	s_add_u32 s40, s36, s0
	s_addc_u32 s41, s37, s1
	v_cmp_gt_u32_e32 vcc, s42, v0
	s_and_saveexec_b64 s[0:1], vcc
	s_cbranch_execz .LBB243_11
; %bb.10:
	global_load_ushort v3, v20, s[40:41]
.LBB243_11:
	s_or_b64 exec, exec, s[0:1]
	v_or_b32_e32 v1, 0x100, v0
	v_cmp_gt_u32_e64 s[0:1], s42, v1
	s_and_saveexec_b64 s[2:3], s[0:1]
	s_cbranch_execz .LBB243_13
; %bb.12:
	global_load_ushort v4, v20, s[40:41] offset:512
.LBB243_13:
	s_or_b64 exec, exec, s[2:3]
	v_or_b32_e32 v1, 0x200, v0
	v_cmp_gt_u32_e64 s[2:3], s42, v1
	s_and_saveexec_b64 s[4:5], s[2:3]
	s_cbranch_execz .LBB243_15
; %bb.14:
	global_load_ushort v5, v20, s[40:41] offset:1024
.LBB243_15:
	;; [unrolled: 8-line block ×7, first 2 shown]
	s_or_b64 exec, exec, s[16:17]
	v_or_b32_e32 v1, 0x800, v0
	v_cmp_gt_u32_e64 s[16:17], s42, v1
	s_and_saveexec_b64 s[18:19], s[16:17]
	s_cbranch_execz .LBB243_27
; %bb.26:
	v_lshlrev_b32_e32 v1, 1, v1
	global_load_ushort v12, v1, s[40:41]
.LBB243_27:
	s_or_b64 exec, exec, s[18:19]
	v_or_b32_e32 v1, 0x900, v0
	v_cmp_gt_u32_e64 s[18:19], s42, v1
	s_and_saveexec_b64 s[20:21], s[18:19]
	s_cbranch_execz .LBB243_29
; %bb.28:
	v_lshlrev_b32_e32 v1, 1, v1
	global_load_ushort v13, v1, s[40:41]
.LBB243_29:
	;; [unrolled: 9-line block ×8, first 2 shown]
	s_or_b64 exec, exec, s[42:43]
	s_waitcnt vmcnt(0)
	v_mul_f16_e32 v1, v11, v3
	v_cndmask_b32_e32 v1, v11, v1, vcc
	v_mul_f16_e32 v2, v1, v4
	v_cndmask_b32_e64 v1, v1, v2, s[0:1]
	v_mul_f16_e32 v2, v1, v5
	v_cndmask_b32_e64 v1, v1, v2, s[2:3]
	;; [unrolled: 2-line block ×15, first 2 shown]
	v_and_b32_e32 v3, 0xffff, v2
	v_mbcnt_lo_u32_b32 v1, -1, 0
	v_mbcnt_hi_u32_b32 v1, -1, v1
	v_mul_f16_dpp v2, v3, v2 quad_perm:[1,0,3,2] row_mask:0xf bank_mask:0xf bound_ctrl:1
	v_lshlrev_b32_e32 v3, 2, v1
	v_or_b32_e32 v4, 0xfc, v3
	v_mul_f16_dpp v2, v2, v2 quad_perm:[2,3,0,1] row_mask:0xf bank_mask:0xf bound_ctrl:1
	v_cmp_eq_u32_e32 vcc, 0, v1
	s_nop 0
	v_mul_f16_dpp v2, v2, v2 row_ror:4 row_mask:0xf bank_mask:0xf bound_ctrl:1
	s_nop 1
	v_mul_f16_dpp v2, v2, v2 row_ror:8 row_mask:0xf bank_mask:0xf bound_ctrl:1
	s_nop 1
	v_mul_f16_dpp v2, v2, v2 row_bcast:15 row_mask:0xf bank_mask:0xf bound_ctrl:1
	s_nop 1
	v_mul_f16_dpp v2, v2, v2 row_bcast:31 row_mask:0xf bank_mask:0xf bound_ctrl:1
	ds_bpermute_b32 v2, v4, v2
	s_and_saveexec_b64 s[0:1], vcc
	s_cbranch_execz .LBB243_43
; %bb.42:
	v_lshrrev_b32_e32 v4, 5, v0
	v_and_b32_e32 v4, 6, v4
	s_waitcnt lgkmcnt(0)
	ds_write_b16 v4, v2
.LBB243_43:
	s_or_b64 exec, exec, s[0:1]
	v_cmp_gt_u32_e32 vcc, 64, v0
	s_waitcnt lgkmcnt(0)
	s_barrier
	s_and_saveexec_b64 s[0:1], vcc
	s_cbranch_execz .LBB243_45
; %bb.44:
	v_and_b32_e32 v2, 3, v1
	v_lshlrev_b32_e32 v4, 1, v2
	ds_read_u16 v4, v4
	v_cmp_ne_u32_e32 vcc, 3, v2
	v_addc_co_u32_e32 v1, vcc, 0, v1, vcc
	v_lshlrev_b32_e32 v1, 2, v1
	s_waitcnt lgkmcnt(0)
	v_and_b32_e32 v2, 0xffff, v4
	ds_bpermute_b32 v1, v1, v2
	v_or_b32_e32 v2, 8, v3
	s_waitcnt lgkmcnt(0)
	v_mul_f16_e32 v1, v4, v1
	ds_bpermute_b32 v2, v2, v1
	s_waitcnt lgkmcnt(0)
	v_mul_f16_e32 v2, v1, v2
.LBB243_45:
	s_or_b64 exec, exec, s[0:1]
	s_branch .LBB243_67
.LBB243_46:
                                        ; implicit-def: $vgpr2
	s_cbranch_execz .LBB243_67
; %bb.47:
	s_sub_i32 s12, s34, s38
	v_cmp_gt_u32_e32 vcc, s12, v0
                                        ; implicit-def: $vgpr5
	s_and_saveexec_b64 s[2:3], vcc
	s_cbranch_execz .LBB243_53
; %bb.48:
	v_mov_b32_e32 v1, s39
	v_add_co_u32_e32 v6, vcc, s38, v0
	v_addc_co_u32_e32 v7, vcc, 0, v1, vcc
	v_lshlrev_b64 v[2:3], 1, v[6:7]
	v_mov_b32_e32 v1, s37
	v_add_co_u32_e64 v4, s[0:1], s36, v2
	v_addc_co_u32_e64 v5, vcc, v1, v3, s[0:1]
	global_load_ushort v5, v[4:5], off
	v_add_co_u32_e32 v1, vcc, 0x100, v6
	v_addc_co_u32_e32 v2, vcc, 0, v7, vcc
	v_cmp_gt_i64_e32 vcc, s[34:35], v[1:2]
	s_and_saveexec_b64 s[4:5], vcc
	s_cbranch_execz .LBB243_52
; %bb.49:
	v_mov_b32_e32 v6, s37
	v_addc_co_u32_e64 v6, vcc, v6, v3, s[0:1]
	v_add_co_u32_e32 v3, vcc, 0x200, v4
	v_addc_co_u32_e32 v4, vcc, 0, v6, vcc
	s_mov_b64 s[8:9], 0
.LBB243_50:                             ; =>This Inner Loop Header: Depth=1
	global_load_ushort v6, v[3:4], off
	v_add_co_u32_e32 v1, vcc, 0x100, v1
	v_addc_co_u32_e32 v2, vcc, 0, v2, vcc
	v_cmp_le_i64_e64 s[0:1], s[34:35], v[1:2]
	v_add_co_u32_e32 v3, vcc, 0x200, v3
	v_addc_co_u32_e32 v4, vcc, 0, v4, vcc
	s_or_b64 s[8:9], s[0:1], s[8:9]
	s_waitcnt vmcnt(0)
	v_mul_f16_e32 v5, v5, v6
	s_andn2_b64 exec, exec, s[8:9]
	s_cbranch_execnz .LBB243_50
; %bb.51:
	s_or_b64 exec, exec, s[8:9]
.LBB243_52:
	s_or_b64 exec, exec, s[4:5]
.LBB243_53:
	s_or_b64 exec, exec, s[2:3]
	s_cmpk_lt_u32 s12, 0x100
	v_mbcnt_lo_u32_b32 v1, -1, 0
	s_cbranch_scc0 .LBB243_61
; %bb.54:
	v_mbcnt_hi_u32_b32 v3, -1, v1
	v_and_b32_e32 v6, 63, v3
	v_cmp_ne_u32_e32 vcc, 63, v6
	v_addc_co_u32_e32 v2, vcc, 0, v3, vcc
	v_lshlrev_b32_e32 v2, 2, v2
	s_waitcnt vmcnt(0)
	v_and_b32_e32 v7, 0xffff, v5
	ds_bpermute_b32 v2, v2, v7
	v_and_b32_e32 v4, 0xc0, v0
	v_sub_u32_e64 v4, s12, v4 clamp
	v_add_u32_e32 v9, 1, v6
	v_cmp_lt_u32_e64 s[8:9], v9, v4
	s_waitcnt lgkmcnt(0)
	v_mul_f16_e32 v8, v5, v2
	v_cmp_gt_u32_e32 vcc, 62, v6
	v_cndmask_b32_e64 v2, v7, v8, s[8:9]
	v_cndmask_b32_e64 v7, 0, 2, vcc
	v_add_lshl_u32 v7, v7, v3, 2
	ds_bpermute_b32 v7, v7, v2
	v_add_u32_e32 v10, 2, v6
	v_cndmask_b32_e64 v11, v5, v8, s[8:9]
	v_cmp_gt_u32_e64 s[0:1], 60, v6
	v_cmp_lt_u32_e32 vcc, v10, v4
	s_waitcnt lgkmcnt(0)
	v_mul_f16_e32 v9, v11, v7
	v_cndmask_b32_e64 v7, 0, 4, s[0:1]
	v_cndmask_b32_e32 v2, v2, v9, vcc
	v_add_lshl_u32 v7, v7, v3, 2
	ds_bpermute_b32 v7, v7, v2
	v_add_u32_e32 v12, 4, v6
	v_cndmask_b32_e32 v11, v11, v9, vcc
	v_cmp_gt_u32_e64 s[2:3], 56, v6
	v_cmp_lt_u32_e64 s[0:1], v12, v4
	s_waitcnt lgkmcnt(0)
	v_mul_f16_e32 v10, v11, v7
	v_cndmask_b32_e64 v7, 0, 8, s[2:3]
	v_cndmask_b32_e64 v2, v2, v10, s[0:1]
	v_add_lshl_u32 v7, v7, v3, 2
	ds_bpermute_b32 v7, v7, v2
	v_add_u32_e32 v12, 8, v6
	v_cndmask_b32_e64 v13, v11, v10, s[0:1]
	v_cmp_gt_u32_e64 s[4:5], 48, v6
	v_cmp_lt_u32_e64 s[2:3], v12, v4
	s_waitcnt lgkmcnt(0)
	v_mul_f16_e32 v11, v13, v7
	v_cndmask_b32_e64 v7, 0, 16, s[4:5]
	v_cndmask_b32_e64 v2, v2, v11, s[2:3]
	v_add_lshl_u32 v7, v7, v3, 2
	ds_bpermute_b32 v7, v7, v2
	v_add_u32_e32 v14, 16, v6
	v_cndmask_b32_e64 v13, v13, v11, s[2:3]
	v_cmp_lt_u32_e64 s[4:5], v14, v4
	s_waitcnt lgkmcnt(0)
	v_mul_f16_e32 v12, v13, v7
	v_lshlrev_b32_e32 v7, 2, v3
	v_cndmask_b32_e64 v2, v2, v12, s[4:5]
	v_or_b32_e32 v14, 0x80, v7
	ds_bpermute_b32 v14, v14, v2
	v_mov_b32_e32 v2, v5
	s_and_saveexec_b64 s[10:11], s[8:9]
	s_cbranch_execz .LBB243_56
; %bb.55:
	v_cndmask_b32_e32 v8, v8, v9, vcc
	v_cndmask_b32_e64 v8, v8, v10, s[0:1]
	v_add_u32_e32 v2, 32, v6
	v_cndmask_b32_e64 v6, v13, v12, s[4:5]
	v_cndmask_b32_e64 v8, v8, v11, s[2:3]
	s_waitcnt lgkmcnt(0)
	v_mul_f16_e32 v6, v6, v14
	v_cndmask_b32_e64 v8, v8, v12, s[4:5]
	v_cmp_lt_u32_e32 vcc, v2, v4
	v_cndmask_b32_e32 v2, v8, v6, vcc
.LBB243_56:
	s_or_b64 exec, exec, s[10:11]
	v_cmp_eq_u32_e32 vcc, 0, v3
	s_and_saveexec_b64 s[0:1], vcc
; %bb.57:
	v_lshrrev_b32_e32 v4, 5, v0
	v_and_b32_e32 v4, 6, v4
	ds_write_b16 v4, v2
; %bb.58:
	s_or_b64 exec, exec, s[0:1]
	v_cmp_gt_u32_e32 vcc, 4, v0
	s_waitcnt lgkmcnt(0)
	s_barrier
	s_and_saveexec_b64 s[2:3], vcc
	s_cbranch_execz .LBB243_60
; %bb.59:
	v_lshlrev_b32_e32 v2, 1, v3
	ds_read_u16 v2, v2
	v_and_b32_e32 v4, 3, v3
	v_cmp_ne_u32_e32 vcc, 3, v4
	v_addc_co_u32_e32 v3, vcc, 0, v3, vcc
	v_lshlrev_b32_e32 v3, 2, v3
	s_waitcnt lgkmcnt(0)
	v_and_b32_e32 v6, 0xffff, v2
	ds_bpermute_b32 v3, v3, v6
	s_add_i32 s12, s12, 63
	s_lshr_b32 s0, s12, 6
	v_add_u32_e32 v8, 1, v4
	v_cmp_gt_u32_e32 vcc, s0, v8
	s_waitcnt lgkmcnt(0)
	v_mul_f16_e32 v3, v2, v3
	v_cndmask_b32_e32 v6, v6, v3, vcc
	v_or_b32_e32 v7, 8, v7
	ds_bpermute_b32 v6, v7, v6
	v_add_u32_e32 v4, 2, v4
	v_cmp_gt_u32_e64 s[0:1], s0, v4
	s_waitcnt lgkmcnt(0)
	v_mul_f16_e32 v6, v3, v6
	v_cndmask_b32_e64 v3, v3, v6, s[0:1]
	v_cndmask_b32_e32 v2, v2, v3, vcc
.LBB243_60:
	s_or_b64 exec, exec, s[2:3]
	s_branch .LBB243_67
.LBB243_61:
                                        ; implicit-def: $vgpr2
	s_cbranch_execz .LBB243_67
; %bb.62:
	s_waitcnt vmcnt(0)
	v_and_b32_e32 v2, 0xffff, v5
	v_mbcnt_hi_u32_b32 v1, -1, v1
	v_lshlrev_b32_e32 v3, 2, v1
	v_mul_f16_dpp v2, v2, v5 quad_perm:[1,0,3,2] row_mask:0xf bank_mask:0xf bound_ctrl:1
	v_or_b32_e32 v4, 0xfc, v3
	v_cmp_eq_u32_e32 vcc, 0, v1
	v_mul_f16_dpp v2, v2, v2 quad_perm:[2,3,0,1] row_mask:0xf bank_mask:0xf bound_ctrl:1
	s_nop 1
	v_mul_f16_dpp v2, v2, v2 row_ror:4 row_mask:0xf bank_mask:0xf bound_ctrl:1
	s_nop 1
	v_mul_f16_dpp v2, v2, v2 row_ror:8 row_mask:0xf bank_mask:0xf bound_ctrl:1
	s_nop 1
	v_mul_f16_dpp v2, v2, v2 row_bcast:15 row_mask:0xf bank_mask:0xf bound_ctrl:1
	s_nop 1
	v_mul_f16_dpp v2, v2, v2 row_bcast:31 row_mask:0xf bank_mask:0xf bound_ctrl:1
	ds_bpermute_b32 v2, v4, v2
	s_and_saveexec_b64 s[0:1], vcc
	s_cbranch_execz .LBB243_64
; %bb.63:
	v_lshrrev_b32_e32 v4, 5, v0
	v_and_b32_e32 v4, 6, v4
	s_waitcnt lgkmcnt(0)
	ds_write_b16 v4, v2
.LBB243_64:
	s_or_b64 exec, exec, s[0:1]
	v_cmp_gt_u32_e32 vcc, 64, v0
	s_waitcnt lgkmcnt(0)
	s_barrier
	s_and_saveexec_b64 s[0:1], vcc
	s_cbranch_execz .LBB243_66
; %bb.65:
	v_and_b32_e32 v2, 3, v1
	v_lshlrev_b32_e32 v4, 1, v2
	ds_read_u16 v4, v4
	v_cmp_ne_u32_e32 vcc, 3, v2
	v_addc_co_u32_e32 v1, vcc, 0, v1, vcc
	v_lshlrev_b32_e32 v1, 2, v1
	s_waitcnt lgkmcnt(0)
	v_and_b32_e32 v2, 0xffff, v4
	ds_bpermute_b32 v1, v1, v2
	v_or_b32_e32 v2, 8, v3
	s_waitcnt lgkmcnt(0)
	v_mul_f16_e32 v1, v4, v1
	ds_bpermute_b32 v2, v2, v1
	s_waitcnt lgkmcnt(0)
	v_mul_f16_e32 v2, v1, v2
.LBB243_66:
	s_or_b64 exec, exec, s[0:1]
.LBB243_67:
	v_cmp_eq_u32_e32 vcc, 0, v0
	s_and_saveexec_b64 s[0:1], vcc
	s_cbranch_execz .LBB243_69
; %bb.68:
	s_lshl_b64 s[0:1], s[6:7], 1
	s_add_u32 s0, s44, s0
	s_addc_u32 s1, s45, s1
	v_mov_b32_e32 v0, 0
	v_mul_f16_e32 v1, s33, v2
	global_store_short v0, v1, s[0:1]
.LBB243_69:
	s_endpgm
	.section	.rodata,"a",@progbits
	.p2align	6, 0x0
	.amdhsa_kernel _ZN7rocprim17ROCPRIM_400000_NS6detail17trampoline_kernelINS0_14default_configENS1_32segmented_reduce_config_selectorIN3c104HalfEEEZNS1_21segmented_reduce_implIS3_PKS6_PS6_PKlS6_N6hipcub16HIPCUB_304000_NS6detail27convert_result_type_wrapperISA_SB_N2at6native12_GLOBAL__N_110CustomProdEEEEE10hipError_tPvRmT0_T1_jT2_SS_T4_T3_P12ihipStream_tbEUlT_E_NS1_11comp_targetILNS1_3genE2ELNS1_11target_archE906ELNS1_3gpuE6ELNS1_3repE0EEENS1_30default_config_static_selectorELNS0_4arch9wavefront6targetE1EEEvSR_
		.amdhsa_group_segment_fixed_size 8
		.amdhsa_private_segment_fixed_size 0
		.amdhsa_kernarg_size 48
		.amdhsa_user_sgpr_count 6
		.amdhsa_user_sgpr_private_segment_buffer 1
		.amdhsa_user_sgpr_dispatch_ptr 0
		.amdhsa_user_sgpr_queue_ptr 0
		.amdhsa_user_sgpr_kernarg_segment_ptr 1
		.amdhsa_user_sgpr_dispatch_id 0
		.amdhsa_user_sgpr_flat_scratch_init 0
		.amdhsa_user_sgpr_private_segment_size 0
		.amdhsa_uses_dynamic_stack 0
		.amdhsa_system_sgpr_private_segment_wavefront_offset 0
		.amdhsa_system_sgpr_workgroup_id_x 1
		.amdhsa_system_sgpr_workgroup_id_y 0
		.amdhsa_system_sgpr_workgroup_id_z 0
		.amdhsa_system_sgpr_workgroup_info 0
		.amdhsa_system_vgpr_workitem_id 0
		.amdhsa_next_free_vgpr 23
		.amdhsa_next_free_sgpr 46
		.amdhsa_reserve_vcc 1
		.amdhsa_reserve_flat_scratch 0
		.amdhsa_float_round_mode_32 0
		.amdhsa_float_round_mode_16_64 0
		.amdhsa_float_denorm_mode_32 3
		.amdhsa_float_denorm_mode_16_64 3
		.amdhsa_dx10_clamp 1
		.amdhsa_ieee_mode 1
		.amdhsa_fp16_overflow 0
		.amdhsa_exception_fp_ieee_invalid_op 0
		.amdhsa_exception_fp_denorm_src 0
		.amdhsa_exception_fp_ieee_div_zero 0
		.amdhsa_exception_fp_ieee_overflow 0
		.amdhsa_exception_fp_ieee_underflow 0
		.amdhsa_exception_fp_ieee_inexact 0
		.amdhsa_exception_int_div_zero 0
	.end_amdhsa_kernel
	.section	.text._ZN7rocprim17ROCPRIM_400000_NS6detail17trampoline_kernelINS0_14default_configENS1_32segmented_reduce_config_selectorIN3c104HalfEEEZNS1_21segmented_reduce_implIS3_PKS6_PS6_PKlS6_N6hipcub16HIPCUB_304000_NS6detail27convert_result_type_wrapperISA_SB_N2at6native12_GLOBAL__N_110CustomProdEEEEE10hipError_tPvRmT0_T1_jT2_SS_T4_T3_P12ihipStream_tbEUlT_E_NS1_11comp_targetILNS1_3genE2ELNS1_11target_archE906ELNS1_3gpuE6ELNS1_3repE0EEENS1_30default_config_static_selectorELNS0_4arch9wavefront6targetE1EEEvSR_,"axG",@progbits,_ZN7rocprim17ROCPRIM_400000_NS6detail17trampoline_kernelINS0_14default_configENS1_32segmented_reduce_config_selectorIN3c104HalfEEEZNS1_21segmented_reduce_implIS3_PKS6_PS6_PKlS6_N6hipcub16HIPCUB_304000_NS6detail27convert_result_type_wrapperISA_SB_N2at6native12_GLOBAL__N_110CustomProdEEEEE10hipError_tPvRmT0_T1_jT2_SS_T4_T3_P12ihipStream_tbEUlT_E_NS1_11comp_targetILNS1_3genE2ELNS1_11target_archE906ELNS1_3gpuE6ELNS1_3repE0EEENS1_30default_config_static_selectorELNS0_4arch9wavefront6targetE1EEEvSR_,comdat
.Lfunc_end243:
	.size	_ZN7rocprim17ROCPRIM_400000_NS6detail17trampoline_kernelINS0_14default_configENS1_32segmented_reduce_config_selectorIN3c104HalfEEEZNS1_21segmented_reduce_implIS3_PKS6_PS6_PKlS6_N6hipcub16HIPCUB_304000_NS6detail27convert_result_type_wrapperISA_SB_N2at6native12_GLOBAL__N_110CustomProdEEEEE10hipError_tPvRmT0_T1_jT2_SS_T4_T3_P12ihipStream_tbEUlT_E_NS1_11comp_targetILNS1_3genE2ELNS1_11target_archE906ELNS1_3gpuE6ELNS1_3repE0EEENS1_30default_config_static_selectorELNS0_4arch9wavefront6targetE1EEEvSR_, .Lfunc_end243-_ZN7rocprim17ROCPRIM_400000_NS6detail17trampoline_kernelINS0_14default_configENS1_32segmented_reduce_config_selectorIN3c104HalfEEEZNS1_21segmented_reduce_implIS3_PKS6_PS6_PKlS6_N6hipcub16HIPCUB_304000_NS6detail27convert_result_type_wrapperISA_SB_N2at6native12_GLOBAL__N_110CustomProdEEEEE10hipError_tPvRmT0_T1_jT2_SS_T4_T3_P12ihipStream_tbEUlT_E_NS1_11comp_targetILNS1_3genE2ELNS1_11target_archE906ELNS1_3gpuE6ELNS1_3repE0EEENS1_30default_config_static_selectorELNS0_4arch9wavefront6targetE1EEEvSR_
                                        ; -- End function
	.set _ZN7rocprim17ROCPRIM_400000_NS6detail17trampoline_kernelINS0_14default_configENS1_32segmented_reduce_config_selectorIN3c104HalfEEEZNS1_21segmented_reduce_implIS3_PKS6_PS6_PKlS6_N6hipcub16HIPCUB_304000_NS6detail27convert_result_type_wrapperISA_SB_N2at6native12_GLOBAL__N_110CustomProdEEEEE10hipError_tPvRmT0_T1_jT2_SS_T4_T3_P12ihipStream_tbEUlT_E_NS1_11comp_targetILNS1_3genE2ELNS1_11target_archE906ELNS1_3gpuE6ELNS1_3repE0EEENS1_30default_config_static_selectorELNS0_4arch9wavefront6targetE1EEEvSR_.num_vgpr, 23
	.set _ZN7rocprim17ROCPRIM_400000_NS6detail17trampoline_kernelINS0_14default_configENS1_32segmented_reduce_config_selectorIN3c104HalfEEEZNS1_21segmented_reduce_implIS3_PKS6_PS6_PKlS6_N6hipcub16HIPCUB_304000_NS6detail27convert_result_type_wrapperISA_SB_N2at6native12_GLOBAL__N_110CustomProdEEEEE10hipError_tPvRmT0_T1_jT2_SS_T4_T3_P12ihipStream_tbEUlT_E_NS1_11comp_targetILNS1_3genE2ELNS1_11target_archE906ELNS1_3gpuE6ELNS1_3repE0EEENS1_30default_config_static_selectorELNS0_4arch9wavefront6targetE1EEEvSR_.num_agpr, 0
	.set _ZN7rocprim17ROCPRIM_400000_NS6detail17trampoline_kernelINS0_14default_configENS1_32segmented_reduce_config_selectorIN3c104HalfEEEZNS1_21segmented_reduce_implIS3_PKS6_PS6_PKlS6_N6hipcub16HIPCUB_304000_NS6detail27convert_result_type_wrapperISA_SB_N2at6native12_GLOBAL__N_110CustomProdEEEEE10hipError_tPvRmT0_T1_jT2_SS_T4_T3_P12ihipStream_tbEUlT_E_NS1_11comp_targetILNS1_3genE2ELNS1_11target_archE906ELNS1_3gpuE6ELNS1_3repE0EEENS1_30default_config_static_selectorELNS0_4arch9wavefront6targetE1EEEvSR_.numbered_sgpr, 46
	.set _ZN7rocprim17ROCPRIM_400000_NS6detail17trampoline_kernelINS0_14default_configENS1_32segmented_reduce_config_selectorIN3c104HalfEEEZNS1_21segmented_reduce_implIS3_PKS6_PS6_PKlS6_N6hipcub16HIPCUB_304000_NS6detail27convert_result_type_wrapperISA_SB_N2at6native12_GLOBAL__N_110CustomProdEEEEE10hipError_tPvRmT0_T1_jT2_SS_T4_T3_P12ihipStream_tbEUlT_E_NS1_11comp_targetILNS1_3genE2ELNS1_11target_archE906ELNS1_3gpuE6ELNS1_3repE0EEENS1_30default_config_static_selectorELNS0_4arch9wavefront6targetE1EEEvSR_.num_named_barrier, 0
	.set _ZN7rocprim17ROCPRIM_400000_NS6detail17trampoline_kernelINS0_14default_configENS1_32segmented_reduce_config_selectorIN3c104HalfEEEZNS1_21segmented_reduce_implIS3_PKS6_PS6_PKlS6_N6hipcub16HIPCUB_304000_NS6detail27convert_result_type_wrapperISA_SB_N2at6native12_GLOBAL__N_110CustomProdEEEEE10hipError_tPvRmT0_T1_jT2_SS_T4_T3_P12ihipStream_tbEUlT_E_NS1_11comp_targetILNS1_3genE2ELNS1_11target_archE906ELNS1_3gpuE6ELNS1_3repE0EEENS1_30default_config_static_selectorELNS0_4arch9wavefront6targetE1EEEvSR_.private_seg_size, 0
	.set _ZN7rocprim17ROCPRIM_400000_NS6detail17trampoline_kernelINS0_14default_configENS1_32segmented_reduce_config_selectorIN3c104HalfEEEZNS1_21segmented_reduce_implIS3_PKS6_PS6_PKlS6_N6hipcub16HIPCUB_304000_NS6detail27convert_result_type_wrapperISA_SB_N2at6native12_GLOBAL__N_110CustomProdEEEEE10hipError_tPvRmT0_T1_jT2_SS_T4_T3_P12ihipStream_tbEUlT_E_NS1_11comp_targetILNS1_3genE2ELNS1_11target_archE906ELNS1_3gpuE6ELNS1_3repE0EEENS1_30default_config_static_selectorELNS0_4arch9wavefront6targetE1EEEvSR_.uses_vcc, 1
	.set _ZN7rocprim17ROCPRIM_400000_NS6detail17trampoline_kernelINS0_14default_configENS1_32segmented_reduce_config_selectorIN3c104HalfEEEZNS1_21segmented_reduce_implIS3_PKS6_PS6_PKlS6_N6hipcub16HIPCUB_304000_NS6detail27convert_result_type_wrapperISA_SB_N2at6native12_GLOBAL__N_110CustomProdEEEEE10hipError_tPvRmT0_T1_jT2_SS_T4_T3_P12ihipStream_tbEUlT_E_NS1_11comp_targetILNS1_3genE2ELNS1_11target_archE906ELNS1_3gpuE6ELNS1_3repE0EEENS1_30default_config_static_selectorELNS0_4arch9wavefront6targetE1EEEvSR_.uses_flat_scratch, 0
	.set _ZN7rocprim17ROCPRIM_400000_NS6detail17trampoline_kernelINS0_14default_configENS1_32segmented_reduce_config_selectorIN3c104HalfEEEZNS1_21segmented_reduce_implIS3_PKS6_PS6_PKlS6_N6hipcub16HIPCUB_304000_NS6detail27convert_result_type_wrapperISA_SB_N2at6native12_GLOBAL__N_110CustomProdEEEEE10hipError_tPvRmT0_T1_jT2_SS_T4_T3_P12ihipStream_tbEUlT_E_NS1_11comp_targetILNS1_3genE2ELNS1_11target_archE906ELNS1_3gpuE6ELNS1_3repE0EEENS1_30default_config_static_selectorELNS0_4arch9wavefront6targetE1EEEvSR_.has_dyn_sized_stack, 0
	.set _ZN7rocprim17ROCPRIM_400000_NS6detail17trampoline_kernelINS0_14default_configENS1_32segmented_reduce_config_selectorIN3c104HalfEEEZNS1_21segmented_reduce_implIS3_PKS6_PS6_PKlS6_N6hipcub16HIPCUB_304000_NS6detail27convert_result_type_wrapperISA_SB_N2at6native12_GLOBAL__N_110CustomProdEEEEE10hipError_tPvRmT0_T1_jT2_SS_T4_T3_P12ihipStream_tbEUlT_E_NS1_11comp_targetILNS1_3genE2ELNS1_11target_archE906ELNS1_3gpuE6ELNS1_3repE0EEENS1_30default_config_static_selectorELNS0_4arch9wavefront6targetE1EEEvSR_.has_recursion, 0
	.set _ZN7rocprim17ROCPRIM_400000_NS6detail17trampoline_kernelINS0_14default_configENS1_32segmented_reduce_config_selectorIN3c104HalfEEEZNS1_21segmented_reduce_implIS3_PKS6_PS6_PKlS6_N6hipcub16HIPCUB_304000_NS6detail27convert_result_type_wrapperISA_SB_N2at6native12_GLOBAL__N_110CustomProdEEEEE10hipError_tPvRmT0_T1_jT2_SS_T4_T3_P12ihipStream_tbEUlT_E_NS1_11comp_targetILNS1_3genE2ELNS1_11target_archE906ELNS1_3gpuE6ELNS1_3repE0EEENS1_30default_config_static_selectorELNS0_4arch9wavefront6targetE1EEEvSR_.has_indirect_call, 0
	.section	.AMDGPU.csdata,"",@progbits
; Kernel info:
; codeLenInByte = 3060
; TotalNumSgprs: 50
; NumVgprs: 23
; ScratchSize: 0
; MemoryBound: 0
; FloatMode: 240
; IeeeMode: 1
; LDSByteSize: 8 bytes/workgroup (compile time only)
; SGPRBlocks: 6
; VGPRBlocks: 5
; NumSGPRsForWavesPerEU: 50
; NumVGPRsForWavesPerEU: 23
; Occupancy: 10
; WaveLimiterHint : 1
; COMPUTE_PGM_RSRC2:SCRATCH_EN: 0
; COMPUTE_PGM_RSRC2:USER_SGPR: 6
; COMPUTE_PGM_RSRC2:TRAP_HANDLER: 0
; COMPUTE_PGM_RSRC2:TGID_X_EN: 1
; COMPUTE_PGM_RSRC2:TGID_Y_EN: 0
; COMPUTE_PGM_RSRC2:TGID_Z_EN: 0
; COMPUTE_PGM_RSRC2:TIDIG_COMP_CNT: 0
	.section	.text._ZN7rocprim17ROCPRIM_400000_NS6detail17trampoline_kernelINS0_14default_configENS1_32segmented_reduce_config_selectorIN3c104HalfEEEZNS1_21segmented_reduce_implIS3_PKS6_PS6_PKlS6_N6hipcub16HIPCUB_304000_NS6detail27convert_result_type_wrapperISA_SB_N2at6native12_GLOBAL__N_110CustomProdEEEEE10hipError_tPvRmT0_T1_jT2_SS_T4_T3_P12ihipStream_tbEUlT_E_NS1_11comp_targetILNS1_3genE9ELNS1_11target_archE1100ELNS1_3gpuE3ELNS1_3repE0EEENS1_30default_config_static_selectorELNS0_4arch9wavefront6targetE1EEEvSR_,"axG",@progbits,_ZN7rocprim17ROCPRIM_400000_NS6detail17trampoline_kernelINS0_14default_configENS1_32segmented_reduce_config_selectorIN3c104HalfEEEZNS1_21segmented_reduce_implIS3_PKS6_PS6_PKlS6_N6hipcub16HIPCUB_304000_NS6detail27convert_result_type_wrapperISA_SB_N2at6native12_GLOBAL__N_110CustomProdEEEEE10hipError_tPvRmT0_T1_jT2_SS_T4_T3_P12ihipStream_tbEUlT_E_NS1_11comp_targetILNS1_3genE9ELNS1_11target_archE1100ELNS1_3gpuE3ELNS1_3repE0EEENS1_30default_config_static_selectorELNS0_4arch9wavefront6targetE1EEEvSR_,comdat
	.globl	_ZN7rocprim17ROCPRIM_400000_NS6detail17trampoline_kernelINS0_14default_configENS1_32segmented_reduce_config_selectorIN3c104HalfEEEZNS1_21segmented_reduce_implIS3_PKS6_PS6_PKlS6_N6hipcub16HIPCUB_304000_NS6detail27convert_result_type_wrapperISA_SB_N2at6native12_GLOBAL__N_110CustomProdEEEEE10hipError_tPvRmT0_T1_jT2_SS_T4_T3_P12ihipStream_tbEUlT_E_NS1_11comp_targetILNS1_3genE9ELNS1_11target_archE1100ELNS1_3gpuE3ELNS1_3repE0EEENS1_30default_config_static_selectorELNS0_4arch9wavefront6targetE1EEEvSR_ ; -- Begin function _ZN7rocprim17ROCPRIM_400000_NS6detail17trampoline_kernelINS0_14default_configENS1_32segmented_reduce_config_selectorIN3c104HalfEEEZNS1_21segmented_reduce_implIS3_PKS6_PS6_PKlS6_N6hipcub16HIPCUB_304000_NS6detail27convert_result_type_wrapperISA_SB_N2at6native12_GLOBAL__N_110CustomProdEEEEE10hipError_tPvRmT0_T1_jT2_SS_T4_T3_P12ihipStream_tbEUlT_E_NS1_11comp_targetILNS1_3genE9ELNS1_11target_archE1100ELNS1_3gpuE3ELNS1_3repE0EEENS1_30default_config_static_selectorELNS0_4arch9wavefront6targetE1EEEvSR_
	.p2align	8
	.type	_ZN7rocprim17ROCPRIM_400000_NS6detail17trampoline_kernelINS0_14default_configENS1_32segmented_reduce_config_selectorIN3c104HalfEEEZNS1_21segmented_reduce_implIS3_PKS6_PS6_PKlS6_N6hipcub16HIPCUB_304000_NS6detail27convert_result_type_wrapperISA_SB_N2at6native12_GLOBAL__N_110CustomProdEEEEE10hipError_tPvRmT0_T1_jT2_SS_T4_T3_P12ihipStream_tbEUlT_E_NS1_11comp_targetILNS1_3genE9ELNS1_11target_archE1100ELNS1_3gpuE3ELNS1_3repE0EEENS1_30default_config_static_selectorELNS0_4arch9wavefront6targetE1EEEvSR_,@function
_ZN7rocprim17ROCPRIM_400000_NS6detail17trampoline_kernelINS0_14default_configENS1_32segmented_reduce_config_selectorIN3c104HalfEEEZNS1_21segmented_reduce_implIS3_PKS6_PS6_PKlS6_N6hipcub16HIPCUB_304000_NS6detail27convert_result_type_wrapperISA_SB_N2at6native12_GLOBAL__N_110CustomProdEEEEE10hipError_tPvRmT0_T1_jT2_SS_T4_T3_P12ihipStream_tbEUlT_E_NS1_11comp_targetILNS1_3genE9ELNS1_11target_archE1100ELNS1_3gpuE3ELNS1_3repE0EEENS1_30default_config_static_selectorELNS0_4arch9wavefront6targetE1EEEvSR_: ; @_ZN7rocprim17ROCPRIM_400000_NS6detail17trampoline_kernelINS0_14default_configENS1_32segmented_reduce_config_selectorIN3c104HalfEEEZNS1_21segmented_reduce_implIS3_PKS6_PS6_PKlS6_N6hipcub16HIPCUB_304000_NS6detail27convert_result_type_wrapperISA_SB_N2at6native12_GLOBAL__N_110CustomProdEEEEE10hipError_tPvRmT0_T1_jT2_SS_T4_T3_P12ihipStream_tbEUlT_E_NS1_11comp_targetILNS1_3genE9ELNS1_11target_archE1100ELNS1_3gpuE3ELNS1_3repE0EEENS1_30default_config_static_selectorELNS0_4arch9wavefront6targetE1EEEvSR_
; %bb.0:
	.section	.rodata,"a",@progbits
	.p2align	6, 0x0
	.amdhsa_kernel _ZN7rocprim17ROCPRIM_400000_NS6detail17trampoline_kernelINS0_14default_configENS1_32segmented_reduce_config_selectorIN3c104HalfEEEZNS1_21segmented_reduce_implIS3_PKS6_PS6_PKlS6_N6hipcub16HIPCUB_304000_NS6detail27convert_result_type_wrapperISA_SB_N2at6native12_GLOBAL__N_110CustomProdEEEEE10hipError_tPvRmT0_T1_jT2_SS_T4_T3_P12ihipStream_tbEUlT_E_NS1_11comp_targetILNS1_3genE9ELNS1_11target_archE1100ELNS1_3gpuE3ELNS1_3repE0EEENS1_30default_config_static_selectorELNS0_4arch9wavefront6targetE1EEEvSR_
		.amdhsa_group_segment_fixed_size 0
		.amdhsa_private_segment_fixed_size 0
		.amdhsa_kernarg_size 48
		.amdhsa_user_sgpr_count 6
		.amdhsa_user_sgpr_private_segment_buffer 1
		.amdhsa_user_sgpr_dispatch_ptr 0
		.amdhsa_user_sgpr_queue_ptr 0
		.amdhsa_user_sgpr_kernarg_segment_ptr 1
		.amdhsa_user_sgpr_dispatch_id 0
		.amdhsa_user_sgpr_flat_scratch_init 0
		.amdhsa_user_sgpr_private_segment_size 0
		.amdhsa_uses_dynamic_stack 0
		.amdhsa_system_sgpr_private_segment_wavefront_offset 0
		.amdhsa_system_sgpr_workgroup_id_x 1
		.amdhsa_system_sgpr_workgroup_id_y 0
		.amdhsa_system_sgpr_workgroup_id_z 0
		.amdhsa_system_sgpr_workgroup_info 0
		.amdhsa_system_vgpr_workitem_id 0
		.amdhsa_next_free_vgpr 1
		.amdhsa_next_free_sgpr 0
		.amdhsa_reserve_vcc 0
		.amdhsa_reserve_flat_scratch 0
		.amdhsa_float_round_mode_32 0
		.amdhsa_float_round_mode_16_64 0
		.amdhsa_float_denorm_mode_32 3
		.amdhsa_float_denorm_mode_16_64 3
		.amdhsa_dx10_clamp 1
		.amdhsa_ieee_mode 1
		.amdhsa_fp16_overflow 0
		.amdhsa_exception_fp_ieee_invalid_op 0
		.amdhsa_exception_fp_denorm_src 0
		.amdhsa_exception_fp_ieee_div_zero 0
		.amdhsa_exception_fp_ieee_overflow 0
		.amdhsa_exception_fp_ieee_underflow 0
		.amdhsa_exception_fp_ieee_inexact 0
		.amdhsa_exception_int_div_zero 0
	.end_amdhsa_kernel
	.section	.text._ZN7rocprim17ROCPRIM_400000_NS6detail17trampoline_kernelINS0_14default_configENS1_32segmented_reduce_config_selectorIN3c104HalfEEEZNS1_21segmented_reduce_implIS3_PKS6_PS6_PKlS6_N6hipcub16HIPCUB_304000_NS6detail27convert_result_type_wrapperISA_SB_N2at6native12_GLOBAL__N_110CustomProdEEEEE10hipError_tPvRmT0_T1_jT2_SS_T4_T3_P12ihipStream_tbEUlT_E_NS1_11comp_targetILNS1_3genE9ELNS1_11target_archE1100ELNS1_3gpuE3ELNS1_3repE0EEENS1_30default_config_static_selectorELNS0_4arch9wavefront6targetE1EEEvSR_,"axG",@progbits,_ZN7rocprim17ROCPRIM_400000_NS6detail17trampoline_kernelINS0_14default_configENS1_32segmented_reduce_config_selectorIN3c104HalfEEEZNS1_21segmented_reduce_implIS3_PKS6_PS6_PKlS6_N6hipcub16HIPCUB_304000_NS6detail27convert_result_type_wrapperISA_SB_N2at6native12_GLOBAL__N_110CustomProdEEEEE10hipError_tPvRmT0_T1_jT2_SS_T4_T3_P12ihipStream_tbEUlT_E_NS1_11comp_targetILNS1_3genE9ELNS1_11target_archE1100ELNS1_3gpuE3ELNS1_3repE0EEENS1_30default_config_static_selectorELNS0_4arch9wavefront6targetE1EEEvSR_,comdat
.Lfunc_end244:
	.size	_ZN7rocprim17ROCPRIM_400000_NS6detail17trampoline_kernelINS0_14default_configENS1_32segmented_reduce_config_selectorIN3c104HalfEEEZNS1_21segmented_reduce_implIS3_PKS6_PS6_PKlS6_N6hipcub16HIPCUB_304000_NS6detail27convert_result_type_wrapperISA_SB_N2at6native12_GLOBAL__N_110CustomProdEEEEE10hipError_tPvRmT0_T1_jT2_SS_T4_T3_P12ihipStream_tbEUlT_E_NS1_11comp_targetILNS1_3genE9ELNS1_11target_archE1100ELNS1_3gpuE3ELNS1_3repE0EEENS1_30default_config_static_selectorELNS0_4arch9wavefront6targetE1EEEvSR_, .Lfunc_end244-_ZN7rocprim17ROCPRIM_400000_NS6detail17trampoline_kernelINS0_14default_configENS1_32segmented_reduce_config_selectorIN3c104HalfEEEZNS1_21segmented_reduce_implIS3_PKS6_PS6_PKlS6_N6hipcub16HIPCUB_304000_NS6detail27convert_result_type_wrapperISA_SB_N2at6native12_GLOBAL__N_110CustomProdEEEEE10hipError_tPvRmT0_T1_jT2_SS_T4_T3_P12ihipStream_tbEUlT_E_NS1_11comp_targetILNS1_3genE9ELNS1_11target_archE1100ELNS1_3gpuE3ELNS1_3repE0EEENS1_30default_config_static_selectorELNS0_4arch9wavefront6targetE1EEEvSR_
                                        ; -- End function
	.set _ZN7rocprim17ROCPRIM_400000_NS6detail17trampoline_kernelINS0_14default_configENS1_32segmented_reduce_config_selectorIN3c104HalfEEEZNS1_21segmented_reduce_implIS3_PKS6_PS6_PKlS6_N6hipcub16HIPCUB_304000_NS6detail27convert_result_type_wrapperISA_SB_N2at6native12_GLOBAL__N_110CustomProdEEEEE10hipError_tPvRmT0_T1_jT2_SS_T4_T3_P12ihipStream_tbEUlT_E_NS1_11comp_targetILNS1_3genE9ELNS1_11target_archE1100ELNS1_3gpuE3ELNS1_3repE0EEENS1_30default_config_static_selectorELNS0_4arch9wavefront6targetE1EEEvSR_.num_vgpr, 0
	.set _ZN7rocprim17ROCPRIM_400000_NS6detail17trampoline_kernelINS0_14default_configENS1_32segmented_reduce_config_selectorIN3c104HalfEEEZNS1_21segmented_reduce_implIS3_PKS6_PS6_PKlS6_N6hipcub16HIPCUB_304000_NS6detail27convert_result_type_wrapperISA_SB_N2at6native12_GLOBAL__N_110CustomProdEEEEE10hipError_tPvRmT0_T1_jT2_SS_T4_T3_P12ihipStream_tbEUlT_E_NS1_11comp_targetILNS1_3genE9ELNS1_11target_archE1100ELNS1_3gpuE3ELNS1_3repE0EEENS1_30default_config_static_selectorELNS0_4arch9wavefront6targetE1EEEvSR_.num_agpr, 0
	.set _ZN7rocprim17ROCPRIM_400000_NS6detail17trampoline_kernelINS0_14default_configENS1_32segmented_reduce_config_selectorIN3c104HalfEEEZNS1_21segmented_reduce_implIS3_PKS6_PS6_PKlS6_N6hipcub16HIPCUB_304000_NS6detail27convert_result_type_wrapperISA_SB_N2at6native12_GLOBAL__N_110CustomProdEEEEE10hipError_tPvRmT0_T1_jT2_SS_T4_T3_P12ihipStream_tbEUlT_E_NS1_11comp_targetILNS1_3genE9ELNS1_11target_archE1100ELNS1_3gpuE3ELNS1_3repE0EEENS1_30default_config_static_selectorELNS0_4arch9wavefront6targetE1EEEvSR_.numbered_sgpr, 0
	.set _ZN7rocprim17ROCPRIM_400000_NS6detail17trampoline_kernelINS0_14default_configENS1_32segmented_reduce_config_selectorIN3c104HalfEEEZNS1_21segmented_reduce_implIS3_PKS6_PS6_PKlS6_N6hipcub16HIPCUB_304000_NS6detail27convert_result_type_wrapperISA_SB_N2at6native12_GLOBAL__N_110CustomProdEEEEE10hipError_tPvRmT0_T1_jT2_SS_T4_T3_P12ihipStream_tbEUlT_E_NS1_11comp_targetILNS1_3genE9ELNS1_11target_archE1100ELNS1_3gpuE3ELNS1_3repE0EEENS1_30default_config_static_selectorELNS0_4arch9wavefront6targetE1EEEvSR_.num_named_barrier, 0
	.set _ZN7rocprim17ROCPRIM_400000_NS6detail17trampoline_kernelINS0_14default_configENS1_32segmented_reduce_config_selectorIN3c104HalfEEEZNS1_21segmented_reduce_implIS3_PKS6_PS6_PKlS6_N6hipcub16HIPCUB_304000_NS6detail27convert_result_type_wrapperISA_SB_N2at6native12_GLOBAL__N_110CustomProdEEEEE10hipError_tPvRmT0_T1_jT2_SS_T4_T3_P12ihipStream_tbEUlT_E_NS1_11comp_targetILNS1_3genE9ELNS1_11target_archE1100ELNS1_3gpuE3ELNS1_3repE0EEENS1_30default_config_static_selectorELNS0_4arch9wavefront6targetE1EEEvSR_.private_seg_size, 0
	.set _ZN7rocprim17ROCPRIM_400000_NS6detail17trampoline_kernelINS0_14default_configENS1_32segmented_reduce_config_selectorIN3c104HalfEEEZNS1_21segmented_reduce_implIS3_PKS6_PS6_PKlS6_N6hipcub16HIPCUB_304000_NS6detail27convert_result_type_wrapperISA_SB_N2at6native12_GLOBAL__N_110CustomProdEEEEE10hipError_tPvRmT0_T1_jT2_SS_T4_T3_P12ihipStream_tbEUlT_E_NS1_11comp_targetILNS1_3genE9ELNS1_11target_archE1100ELNS1_3gpuE3ELNS1_3repE0EEENS1_30default_config_static_selectorELNS0_4arch9wavefront6targetE1EEEvSR_.uses_vcc, 0
	.set _ZN7rocprim17ROCPRIM_400000_NS6detail17trampoline_kernelINS0_14default_configENS1_32segmented_reduce_config_selectorIN3c104HalfEEEZNS1_21segmented_reduce_implIS3_PKS6_PS6_PKlS6_N6hipcub16HIPCUB_304000_NS6detail27convert_result_type_wrapperISA_SB_N2at6native12_GLOBAL__N_110CustomProdEEEEE10hipError_tPvRmT0_T1_jT2_SS_T4_T3_P12ihipStream_tbEUlT_E_NS1_11comp_targetILNS1_3genE9ELNS1_11target_archE1100ELNS1_3gpuE3ELNS1_3repE0EEENS1_30default_config_static_selectorELNS0_4arch9wavefront6targetE1EEEvSR_.uses_flat_scratch, 0
	.set _ZN7rocprim17ROCPRIM_400000_NS6detail17trampoline_kernelINS0_14default_configENS1_32segmented_reduce_config_selectorIN3c104HalfEEEZNS1_21segmented_reduce_implIS3_PKS6_PS6_PKlS6_N6hipcub16HIPCUB_304000_NS6detail27convert_result_type_wrapperISA_SB_N2at6native12_GLOBAL__N_110CustomProdEEEEE10hipError_tPvRmT0_T1_jT2_SS_T4_T3_P12ihipStream_tbEUlT_E_NS1_11comp_targetILNS1_3genE9ELNS1_11target_archE1100ELNS1_3gpuE3ELNS1_3repE0EEENS1_30default_config_static_selectorELNS0_4arch9wavefront6targetE1EEEvSR_.has_dyn_sized_stack, 0
	.set _ZN7rocprim17ROCPRIM_400000_NS6detail17trampoline_kernelINS0_14default_configENS1_32segmented_reduce_config_selectorIN3c104HalfEEEZNS1_21segmented_reduce_implIS3_PKS6_PS6_PKlS6_N6hipcub16HIPCUB_304000_NS6detail27convert_result_type_wrapperISA_SB_N2at6native12_GLOBAL__N_110CustomProdEEEEE10hipError_tPvRmT0_T1_jT2_SS_T4_T3_P12ihipStream_tbEUlT_E_NS1_11comp_targetILNS1_3genE9ELNS1_11target_archE1100ELNS1_3gpuE3ELNS1_3repE0EEENS1_30default_config_static_selectorELNS0_4arch9wavefront6targetE1EEEvSR_.has_recursion, 0
	.set _ZN7rocprim17ROCPRIM_400000_NS6detail17trampoline_kernelINS0_14default_configENS1_32segmented_reduce_config_selectorIN3c104HalfEEEZNS1_21segmented_reduce_implIS3_PKS6_PS6_PKlS6_N6hipcub16HIPCUB_304000_NS6detail27convert_result_type_wrapperISA_SB_N2at6native12_GLOBAL__N_110CustomProdEEEEE10hipError_tPvRmT0_T1_jT2_SS_T4_T3_P12ihipStream_tbEUlT_E_NS1_11comp_targetILNS1_3genE9ELNS1_11target_archE1100ELNS1_3gpuE3ELNS1_3repE0EEENS1_30default_config_static_selectorELNS0_4arch9wavefront6targetE1EEEvSR_.has_indirect_call, 0
	.section	.AMDGPU.csdata,"",@progbits
; Kernel info:
; codeLenInByte = 0
; TotalNumSgprs: 4
; NumVgprs: 0
; ScratchSize: 0
; MemoryBound: 0
; FloatMode: 240
; IeeeMode: 1
; LDSByteSize: 0 bytes/workgroup (compile time only)
; SGPRBlocks: 0
; VGPRBlocks: 0
; NumSGPRsForWavesPerEU: 4
; NumVGPRsForWavesPerEU: 1
; Occupancy: 10
; WaveLimiterHint : 0
; COMPUTE_PGM_RSRC2:SCRATCH_EN: 0
; COMPUTE_PGM_RSRC2:USER_SGPR: 6
; COMPUTE_PGM_RSRC2:TRAP_HANDLER: 0
; COMPUTE_PGM_RSRC2:TGID_X_EN: 1
; COMPUTE_PGM_RSRC2:TGID_Y_EN: 0
; COMPUTE_PGM_RSRC2:TGID_Z_EN: 0
; COMPUTE_PGM_RSRC2:TIDIG_COMP_CNT: 0
	.section	.text._ZN7rocprim17ROCPRIM_400000_NS6detail17trampoline_kernelINS0_14default_configENS1_32segmented_reduce_config_selectorIN3c104HalfEEEZNS1_21segmented_reduce_implIS3_PKS6_PS6_PKlS6_N6hipcub16HIPCUB_304000_NS6detail27convert_result_type_wrapperISA_SB_N2at6native12_GLOBAL__N_110CustomProdEEEEE10hipError_tPvRmT0_T1_jT2_SS_T4_T3_P12ihipStream_tbEUlT_E_NS1_11comp_targetILNS1_3genE8ELNS1_11target_archE1030ELNS1_3gpuE2ELNS1_3repE0EEENS1_30default_config_static_selectorELNS0_4arch9wavefront6targetE1EEEvSR_,"axG",@progbits,_ZN7rocprim17ROCPRIM_400000_NS6detail17trampoline_kernelINS0_14default_configENS1_32segmented_reduce_config_selectorIN3c104HalfEEEZNS1_21segmented_reduce_implIS3_PKS6_PS6_PKlS6_N6hipcub16HIPCUB_304000_NS6detail27convert_result_type_wrapperISA_SB_N2at6native12_GLOBAL__N_110CustomProdEEEEE10hipError_tPvRmT0_T1_jT2_SS_T4_T3_P12ihipStream_tbEUlT_E_NS1_11comp_targetILNS1_3genE8ELNS1_11target_archE1030ELNS1_3gpuE2ELNS1_3repE0EEENS1_30default_config_static_selectorELNS0_4arch9wavefront6targetE1EEEvSR_,comdat
	.globl	_ZN7rocprim17ROCPRIM_400000_NS6detail17trampoline_kernelINS0_14default_configENS1_32segmented_reduce_config_selectorIN3c104HalfEEEZNS1_21segmented_reduce_implIS3_PKS6_PS6_PKlS6_N6hipcub16HIPCUB_304000_NS6detail27convert_result_type_wrapperISA_SB_N2at6native12_GLOBAL__N_110CustomProdEEEEE10hipError_tPvRmT0_T1_jT2_SS_T4_T3_P12ihipStream_tbEUlT_E_NS1_11comp_targetILNS1_3genE8ELNS1_11target_archE1030ELNS1_3gpuE2ELNS1_3repE0EEENS1_30default_config_static_selectorELNS0_4arch9wavefront6targetE1EEEvSR_ ; -- Begin function _ZN7rocprim17ROCPRIM_400000_NS6detail17trampoline_kernelINS0_14default_configENS1_32segmented_reduce_config_selectorIN3c104HalfEEEZNS1_21segmented_reduce_implIS3_PKS6_PS6_PKlS6_N6hipcub16HIPCUB_304000_NS6detail27convert_result_type_wrapperISA_SB_N2at6native12_GLOBAL__N_110CustomProdEEEEE10hipError_tPvRmT0_T1_jT2_SS_T4_T3_P12ihipStream_tbEUlT_E_NS1_11comp_targetILNS1_3genE8ELNS1_11target_archE1030ELNS1_3gpuE2ELNS1_3repE0EEENS1_30default_config_static_selectorELNS0_4arch9wavefront6targetE1EEEvSR_
	.p2align	8
	.type	_ZN7rocprim17ROCPRIM_400000_NS6detail17trampoline_kernelINS0_14default_configENS1_32segmented_reduce_config_selectorIN3c104HalfEEEZNS1_21segmented_reduce_implIS3_PKS6_PS6_PKlS6_N6hipcub16HIPCUB_304000_NS6detail27convert_result_type_wrapperISA_SB_N2at6native12_GLOBAL__N_110CustomProdEEEEE10hipError_tPvRmT0_T1_jT2_SS_T4_T3_P12ihipStream_tbEUlT_E_NS1_11comp_targetILNS1_3genE8ELNS1_11target_archE1030ELNS1_3gpuE2ELNS1_3repE0EEENS1_30default_config_static_selectorELNS0_4arch9wavefront6targetE1EEEvSR_,@function
_ZN7rocprim17ROCPRIM_400000_NS6detail17trampoline_kernelINS0_14default_configENS1_32segmented_reduce_config_selectorIN3c104HalfEEEZNS1_21segmented_reduce_implIS3_PKS6_PS6_PKlS6_N6hipcub16HIPCUB_304000_NS6detail27convert_result_type_wrapperISA_SB_N2at6native12_GLOBAL__N_110CustomProdEEEEE10hipError_tPvRmT0_T1_jT2_SS_T4_T3_P12ihipStream_tbEUlT_E_NS1_11comp_targetILNS1_3genE8ELNS1_11target_archE1030ELNS1_3gpuE2ELNS1_3repE0EEENS1_30default_config_static_selectorELNS0_4arch9wavefront6targetE1EEEvSR_: ; @_ZN7rocprim17ROCPRIM_400000_NS6detail17trampoline_kernelINS0_14default_configENS1_32segmented_reduce_config_selectorIN3c104HalfEEEZNS1_21segmented_reduce_implIS3_PKS6_PS6_PKlS6_N6hipcub16HIPCUB_304000_NS6detail27convert_result_type_wrapperISA_SB_N2at6native12_GLOBAL__N_110CustomProdEEEEE10hipError_tPvRmT0_T1_jT2_SS_T4_T3_P12ihipStream_tbEUlT_E_NS1_11comp_targetILNS1_3genE8ELNS1_11target_archE1030ELNS1_3gpuE2ELNS1_3repE0EEENS1_30default_config_static_selectorELNS0_4arch9wavefront6targetE1EEEvSR_
; %bb.0:
	.section	.rodata,"a",@progbits
	.p2align	6, 0x0
	.amdhsa_kernel _ZN7rocprim17ROCPRIM_400000_NS6detail17trampoline_kernelINS0_14default_configENS1_32segmented_reduce_config_selectorIN3c104HalfEEEZNS1_21segmented_reduce_implIS3_PKS6_PS6_PKlS6_N6hipcub16HIPCUB_304000_NS6detail27convert_result_type_wrapperISA_SB_N2at6native12_GLOBAL__N_110CustomProdEEEEE10hipError_tPvRmT0_T1_jT2_SS_T4_T3_P12ihipStream_tbEUlT_E_NS1_11comp_targetILNS1_3genE8ELNS1_11target_archE1030ELNS1_3gpuE2ELNS1_3repE0EEENS1_30default_config_static_selectorELNS0_4arch9wavefront6targetE1EEEvSR_
		.amdhsa_group_segment_fixed_size 0
		.amdhsa_private_segment_fixed_size 0
		.amdhsa_kernarg_size 48
		.amdhsa_user_sgpr_count 6
		.amdhsa_user_sgpr_private_segment_buffer 1
		.amdhsa_user_sgpr_dispatch_ptr 0
		.amdhsa_user_sgpr_queue_ptr 0
		.amdhsa_user_sgpr_kernarg_segment_ptr 1
		.amdhsa_user_sgpr_dispatch_id 0
		.amdhsa_user_sgpr_flat_scratch_init 0
		.amdhsa_user_sgpr_private_segment_size 0
		.amdhsa_uses_dynamic_stack 0
		.amdhsa_system_sgpr_private_segment_wavefront_offset 0
		.amdhsa_system_sgpr_workgroup_id_x 1
		.amdhsa_system_sgpr_workgroup_id_y 0
		.amdhsa_system_sgpr_workgroup_id_z 0
		.amdhsa_system_sgpr_workgroup_info 0
		.amdhsa_system_vgpr_workitem_id 0
		.amdhsa_next_free_vgpr 1
		.amdhsa_next_free_sgpr 0
		.amdhsa_reserve_vcc 0
		.amdhsa_reserve_flat_scratch 0
		.amdhsa_float_round_mode_32 0
		.amdhsa_float_round_mode_16_64 0
		.amdhsa_float_denorm_mode_32 3
		.amdhsa_float_denorm_mode_16_64 3
		.amdhsa_dx10_clamp 1
		.amdhsa_ieee_mode 1
		.amdhsa_fp16_overflow 0
		.amdhsa_exception_fp_ieee_invalid_op 0
		.amdhsa_exception_fp_denorm_src 0
		.amdhsa_exception_fp_ieee_div_zero 0
		.amdhsa_exception_fp_ieee_overflow 0
		.amdhsa_exception_fp_ieee_underflow 0
		.amdhsa_exception_fp_ieee_inexact 0
		.amdhsa_exception_int_div_zero 0
	.end_amdhsa_kernel
	.section	.text._ZN7rocprim17ROCPRIM_400000_NS6detail17trampoline_kernelINS0_14default_configENS1_32segmented_reduce_config_selectorIN3c104HalfEEEZNS1_21segmented_reduce_implIS3_PKS6_PS6_PKlS6_N6hipcub16HIPCUB_304000_NS6detail27convert_result_type_wrapperISA_SB_N2at6native12_GLOBAL__N_110CustomProdEEEEE10hipError_tPvRmT0_T1_jT2_SS_T4_T3_P12ihipStream_tbEUlT_E_NS1_11comp_targetILNS1_3genE8ELNS1_11target_archE1030ELNS1_3gpuE2ELNS1_3repE0EEENS1_30default_config_static_selectorELNS0_4arch9wavefront6targetE1EEEvSR_,"axG",@progbits,_ZN7rocprim17ROCPRIM_400000_NS6detail17trampoline_kernelINS0_14default_configENS1_32segmented_reduce_config_selectorIN3c104HalfEEEZNS1_21segmented_reduce_implIS3_PKS6_PS6_PKlS6_N6hipcub16HIPCUB_304000_NS6detail27convert_result_type_wrapperISA_SB_N2at6native12_GLOBAL__N_110CustomProdEEEEE10hipError_tPvRmT0_T1_jT2_SS_T4_T3_P12ihipStream_tbEUlT_E_NS1_11comp_targetILNS1_3genE8ELNS1_11target_archE1030ELNS1_3gpuE2ELNS1_3repE0EEENS1_30default_config_static_selectorELNS0_4arch9wavefront6targetE1EEEvSR_,comdat
.Lfunc_end245:
	.size	_ZN7rocprim17ROCPRIM_400000_NS6detail17trampoline_kernelINS0_14default_configENS1_32segmented_reduce_config_selectorIN3c104HalfEEEZNS1_21segmented_reduce_implIS3_PKS6_PS6_PKlS6_N6hipcub16HIPCUB_304000_NS6detail27convert_result_type_wrapperISA_SB_N2at6native12_GLOBAL__N_110CustomProdEEEEE10hipError_tPvRmT0_T1_jT2_SS_T4_T3_P12ihipStream_tbEUlT_E_NS1_11comp_targetILNS1_3genE8ELNS1_11target_archE1030ELNS1_3gpuE2ELNS1_3repE0EEENS1_30default_config_static_selectorELNS0_4arch9wavefront6targetE1EEEvSR_, .Lfunc_end245-_ZN7rocprim17ROCPRIM_400000_NS6detail17trampoline_kernelINS0_14default_configENS1_32segmented_reduce_config_selectorIN3c104HalfEEEZNS1_21segmented_reduce_implIS3_PKS6_PS6_PKlS6_N6hipcub16HIPCUB_304000_NS6detail27convert_result_type_wrapperISA_SB_N2at6native12_GLOBAL__N_110CustomProdEEEEE10hipError_tPvRmT0_T1_jT2_SS_T4_T3_P12ihipStream_tbEUlT_E_NS1_11comp_targetILNS1_3genE8ELNS1_11target_archE1030ELNS1_3gpuE2ELNS1_3repE0EEENS1_30default_config_static_selectorELNS0_4arch9wavefront6targetE1EEEvSR_
                                        ; -- End function
	.set _ZN7rocprim17ROCPRIM_400000_NS6detail17trampoline_kernelINS0_14default_configENS1_32segmented_reduce_config_selectorIN3c104HalfEEEZNS1_21segmented_reduce_implIS3_PKS6_PS6_PKlS6_N6hipcub16HIPCUB_304000_NS6detail27convert_result_type_wrapperISA_SB_N2at6native12_GLOBAL__N_110CustomProdEEEEE10hipError_tPvRmT0_T1_jT2_SS_T4_T3_P12ihipStream_tbEUlT_E_NS1_11comp_targetILNS1_3genE8ELNS1_11target_archE1030ELNS1_3gpuE2ELNS1_3repE0EEENS1_30default_config_static_selectorELNS0_4arch9wavefront6targetE1EEEvSR_.num_vgpr, 0
	.set _ZN7rocprim17ROCPRIM_400000_NS6detail17trampoline_kernelINS0_14default_configENS1_32segmented_reduce_config_selectorIN3c104HalfEEEZNS1_21segmented_reduce_implIS3_PKS6_PS6_PKlS6_N6hipcub16HIPCUB_304000_NS6detail27convert_result_type_wrapperISA_SB_N2at6native12_GLOBAL__N_110CustomProdEEEEE10hipError_tPvRmT0_T1_jT2_SS_T4_T3_P12ihipStream_tbEUlT_E_NS1_11comp_targetILNS1_3genE8ELNS1_11target_archE1030ELNS1_3gpuE2ELNS1_3repE0EEENS1_30default_config_static_selectorELNS0_4arch9wavefront6targetE1EEEvSR_.num_agpr, 0
	.set _ZN7rocprim17ROCPRIM_400000_NS6detail17trampoline_kernelINS0_14default_configENS1_32segmented_reduce_config_selectorIN3c104HalfEEEZNS1_21segmented_reduce_implIS3_PKS6_PS6_PKlS6_N6hipcub16HIPCUB_304000_NS6detail27convert_result_type_wrapperISA_SB_N2at6native12_GLOBAL__N_110CustomProdEEEEE10hipError_tPvRmT0_T1_jT2_SS_T4_T3_P12ihipStream_tbEUlT_E_NS1_11comp_targetILNS1_3genE8ELNS1_11target_archE1030ELNS1_3gpuE2ELNS1_3repE0EEENS1_30default_config_static_selectorELNS0_4arch9wavefront6targetE1EEEvSR_.numbered_sgpr, 0
	.set _ZN7rocprim17ROCPRIM_400000_NS6detail17trampoline_kernelINS0_14default_configENS1_32segmented_reduce_config_selectorIN3c104HalfEEEZNS1_21segmented_reduce_implIS3_PKS6_PS6_PKlS6_N6hipcub16HIPCUB_304000_NS6detail27convert_result_type_wrapperISA_SB_N2at6native12_GLOBAL__N_110CustomProdEEEEE10hipError_tPvRmT0_T1_jT2_SS_T4_T3_P12ihipStream_tbEUlT_E_NS1_11comp_targetILNS1_3genE8ELNS1_11target_archE1030ELNS1_3gpuE2ELNS1_3repE0EEENS1_30default_config_static_selectorELNS0_4arch9wavefront6targetE1EEEvSR_.num_named_barrier, 0
	.set _ZN7rocprim17ROCPRIM_400000_NS6detail17trampoline_kernelINS0_14default_configENS1_32segmented_reduce_config_selectorIN3c104HalfEEEZNS1_21segmented_reduce_implIS3_PKS6_PS6_PKlS6_N6hipcub16HIPCUB_304000_NS6detail27convert_result_type_wrapperISA_SB_N2at6native12_GLOBAL__N_110CustomProdEEEEE10hipError_tPvRmT0_T1_jT2_SS_T4_T3_P12ihipStream_tbEUlT_E_NS1_11comp_targetILNS1_3genE8ELNS1_11target_archE1030ELNS1_3gpuE2ELNS1_3repE0EEENS1_30default_config_static_selectorELNS0_4arch9wavefront6targetE1EEEvSR_.private_seg_size, 0
	.set _ZN7rocprim17ROCPRIM_400000_NS6detail17trampoline_kernelINS0_14default_configENS1_32segmented_reduce_config_selectorIN3c104HalfEEEZNS1_21segmented_reduce_implIS3_PKS6_PS6_PKlS6_N6hipcub16HIPCUB_304000_NS6detail27convert_result_type_wrapperISA_SB_N2at6native12_GLOBAL__N_110CustomProdEEEEE10hipError_tPvRmT0_T1_jT2_SS_T4_T3_P12ihipStream_tbEUlT_E_NS1_11comp_targetILNS1_3genE8ELNS1_11target_archE1030ELNS1_3gpuE2ELNS1_3repE0EEENS1_30default_config_static_selectorELNS0_4arch9wavefront6targetE1EEEvSR_.uses_vcc, 0
	.set _ZN7rocprim17ROCPRIM_400000_NS6detail17trampoline_kernelINS0_14default_configENS1_32segmented_reduce_config_selectorIN3c104HalfEEEZNS1_21segmented_reduce_implIS3_PKS6_PS6_PKlS6_N6hipcub16HIPCUB_304000_NS6detail27convert_result_type_wrapperISA_SB_N2at6native12_GLOBAL__N_110CustomProdEEEEE10hipError_tPvRmT0_T1_jT2_SS_T4_T3_P12ihipStream_tbEUlT_E_NS1_11comp_targetILNS1_3genE8ELNS1_11target_archE1030ELNS1_3gpuE2ELNS1_3repE0EEENS1_30default_config_static_selectorELNS0_4arch9wavefront6targetE1EEEvSR_.uses_flat_scratch, 0
	.set _ZN7rocprim17ROCPRIM_400000_NS6detail17trampoline_kernelINS0_14default_configENS1_32segmented_reduce_config_selectorIN3c104HalfEEEZNS1_21segmented_reduce_implIS3_PKS6_PS6_PKlS6_N6hipcub16HIPCUB_304000_NS6detail27convert_result_type_wrapperISA_SB_N2at6native12_GLOBAL__N_110CustomProdEEEEE10hipError_tPvRmT0_T1_jT2_SS_T4_T3_P12ihipStream_tbEUlT_E_NS1_11comp_targetILNS1_3genE8ELNS1_11target_archE1030ELNS1_3gpuE2ELNS1_3repE0EEENS1_30default_config_static_selectorELNS0_4arch9wavefront6targetE1EEEvSR_.has_dyn_sized_stack, 0
	.set _ZN7rocprim17ROCPRIM_400000_NS6detail17trampoline_kernelINS0_14default_configENS1_32segmented_reduce_config_selectorIN3c104HalfEEEZNS1_21segmented_reduce_implIS3_PKS6_PS6_PKlS6_N6hipcub16HIPCUB_304000_NS6detail27convert_result_type_wrapperISA_SB_N2at6native12_GLOBAL__N_110CustomProdEEEEE10hipError_tPvRmT0_T1_jT2_SS_T4_T3_P12ihipStream_tbEUlT_E_NS1_11comp_targetILNS1_3genE8ELNS1_11target_archE1030ELNS1_3gpuE2ELNS1_3repE0EEENS1_30default_config_static_selectorELNS0_4arch9wavefront6targetE1EEEvSR_.has_recursion, 0
	.set _ZN7rocprim17ROCPRIM_400000_NS6detail17trampoline_kernelINS0_14default_configENS1_32segmented_reduce_config_selectorIN3c104HalfEEEZNS1_21segmented_reduce_implIS3_PKS6_PS6_PKlS6_N6hipcub16HIPCUB_304000_NS6detail27convert_result_type_wrapperISA_SB_N2at6native12_GLOBAL__N_110CustomProdEEEEE10hipError_tPvRmT0_T1_jT2_SS_T4_T3_P12ihipStream_tbEUlT_E_NS1_11comp_targetILNS1_3genE8ELNS1_11target_archE1030ELNS1_3gpuE2ELNS1_3repE0EEENS1_30default_config_static_selectorELNS0_4arch9wavefront6targetE1EEEvSR_.has_indirect_call, 0
	.section	.AMDGPU.csdata,"",@progbits
; Kernel info:
; codeLenInByte = 0
; TotalNumSgprs: 4
; NumVgprs: 0
; ScratchSize: 0
; MemoryBound: 0
; FloatMode: 240
; IeeeMode: 1
; LDSByteSize: 0 bytes/workgroup (compile time only)
; SGPRBlocks: 0
; VGPRBlocks: 0
; NumSGPRsForWavesPerEU: 4
; NumVGPRsForWavesPerEU: 1
; Occupancy: 10
; WaveLimiterHint : 0
; COMPUTE_PGM_RSRC2:SCRATCH_EN: 0
; COMPUTE_PGM_RSRC2:USER_SGPR: 6
; COMPUTE_PGM_RSRC2:TRAP_HANDLER: 0
; COMPUTE_PGM_RSRC2:TGID_X_EN: 1
; COMPUTE_PGM_RSRC2:TGID_Y_EN: 0
; COMPUTE_PGM_RSRC2:TGID_Z_EN: 0
; COMPUTE_PGM_RSRC2:TIDIG_COMP_CNT: 0
	.section	.text._ZN2at6native12_GLOBAL__N_129segment_reduce_forward_kernelIN3c108BFloat16ElEEvNS0_13ReductionTypeEPT_PKS6_PKT0_SC_llbS6_lllllll,"axG",@progbits,_ZN2at6native12_GLOBAL__N_129segment_reduce_forward_kernelIN3c108BFloat16ElEEvNS0_13ReductionTypeEPT_PKS6_PKT0_SC_llbS6_lllllll,comdat
	.globl	_ZN2at6native12_GLOBAL__N_129segment_reduce_forward_kernelIN3c108BFloat16ElEEvNS0_13ReductionTypeEPT_PKS6_PKT0_SC_llbS6_lllllll ; -- Begin function _ZN2at6native12_GLOBAL__N_129segment_reduce_forward_kernelIN3c108BFloat16ElEEvNS0_13ReductionTypeEPT_PKS6_PKT0_SC_llbS6_lllllll
	.p2align	8
	.type	_ZN2at6native12_GLOBAL__N_129segment_reduce_forward_kernelIN3c108BFloat16ElEEvNS0_13ReductionTypeEPT_PKS6_PKT0_SC_llbS6_lllllll,@function
_ZN2at6native12_GLOBAL__N_129segment_reduce_forward_kernelIN3c108BFloat16ElEEvNS0_13ReductionTypeEPT_PKS6_PKT0_SC_llbS6_lllllll: ; @_ZN2at6native12_GLOBAL__N_129segment_reduce_forward_kernelIN3c108BFloat16ElEEvNS0_13ReductionTypeEPT_PKS6_PKT0_SC_llbS6_lllllll
; %bb.0:
	s_load_dword s0, s[4:5], 0x84
	s_load_dwordx4 s[36:39], s[4:5], 0x28
	s_load_dwordx8 s[24:31], s[4:5], 0x40
	v_mov_b32_e32 v2, 0
	v_mov_b32_e32 v1, v2
	s_waitcnt lgkmcnt(0)
	s_and_b32 s0, s0, 0xffff
	v_mov_b32_e32 v3, s6
	v_mad_u64_u32 v[4:5], s[0:1], s0, v3, v[0:1]
	s_mul_i32 s0, s24, s37
	s_mul_hi_u32 s1, s24, s36
	s_add_i32 s0, s1, s0
	s_mul_i32 s1, s25, s36
	s_mul_i32 s2, s24, s36
	s_add_i32 s0, s0, s1
	s_mul_i32 s1, s2, s27
	s_mul_hi_u32 s3, s2, s26
	s_add_i32 s1, s3, s1
	s_mul_i32 s0, s0, s26
	s_add_i32 s1, s1, s0
	s_mul_i32 s0, s2, s26
	v_cmp_gt_i64_e32 vcc, s[0:1], v[4:5]
	s_and_saveexec_b64 s[0:1], vcc
	s_cbranch_execz .LBB246_37
; %bb.1:
	v_or_b32_e32 v3, s27, v5
	v_cmp_ne_u64_e32 vcc, 0, v[2:3]
                                        ; implicit-def: $vgpr10_vgpr11
	s_and_saveexec_b64 s[0:1], vcc
	s_xor_b64 s[2:3], exec, s[0:1]
	s_cbranch_execz .LBB246_3
; %bb.2:
	s_ashr_i32 s6, s27, 31
	s_add_u32 s0, s26, s6
	s_mov_b32 s7, s6
	s_addc_u32 s1, s27, s6
	s_xor_b64 s[8:9], s[0:1], s[6:7]
	v_cvt_f32_u32_e32 v0, s8
	v_cvt_f32_u32_e32 v1, s9
	s_sub_u32 s7, 0, s8
	s_subb_u32 s10, 0, s9
	v_ashrrev_i32_e32 v6, 31, v5
	v_madmk_f32 v0, v1, 0x4f800000, v0
	v_rcp_f32_e32 v0, v0
	v_mul_f32_e32 v0, 0x5f7ffffc, v0
	v_mul_f32_e32 v1, 0x2f800000, v0
	v_trunc_f32_e32 v1, v1
	v_madmk_f32 v0, v1, 0xcf800000, v0
	v_cvt_u32_f32_e32 v1, v1
	v_cvt_u32_f32_e32 v0, v0
	v_readfirstlane_b32 s11, v1
	v_readfirstlane_b32 s0, v0
	s_mul_i32 s1, s7, s11
	s_mul_hi_u32 s13, s7, s0
	s_mul_i32 s12, s10, s0
	s_add_i32 s1, s13, s1
	s_add_i32 s1, s1, s12
	s_mul_i32 s14, s7, s0
	s_mul_i32 s13, s0, s1
	s_mul_hi_u32 s15, s0, s14
	s_mul_hi_u32 s12, s0, s1
	s_add_u32 s13, s15, s13
	s_addc_u32 s12, 0, s12
	s_mul_hi_u32 s16, s11, s14
	s_mul_i32 s14, s11, s14
	s_add_u32 s13, s13, s14
	s_mul_hi_u32 s15, s11, s1
	s_addc_u32 s12, s12, s16
	s_addc_u32 s13, s15, 0
	s_mul_i32 s1, s11, s1
	s_add_u32 s1, s12, s1
	s_addc_u32 s12, 0, s13
	s_add_u32 s13, s0, s1
	s_cselect_b64 s[0:1], -1, 0
	s_cmp_lg_u64 s[0:1], 0
	s_addc_u32 s11, s11, s12
	s_mul_i32 s0, s7, s11
	s_mul_hi_u32 s1, s7, s13
	s_add_i32 s0, s1, s0
	s_mul_i32 s10, s10, s13
	s_add_i32 s0, s0, s10
	s_mul_i32 s7, s7, s13
	s_mul_hi_u32 s10, s11, s7
	s_mul_i32 s12, s11, s7
	s_mul_i32 s15, s13, s0
	s_mul_hi_u32 s7, s13, s7
	s_mul_hi_u32 s14, s13, s0
	s_add_u32 s7, s7, s15
	s_addc_u32 s14, 0, s14
	s_add_u32 s7, s7, s12
	s_mul_hi_u32 s1, s11, s0
	s_addc_u32 s7, s14, s10
	s_addc_u32 s1, s1, 0
	s_mul_i32 s0, s11, s0
	s_add_u32 s0, s7, s0
	s_addc_u32 s7, 0, s1
	s_add_u32 s10, s13, s0
	s_cselect_b64 s[0:1], -1, 0
	s_cmp_lg_u64 s[0:1], 0
	v_add_co_u32_e32 v0, vcc, v4, v6
	s_addc_u32 s7, s11, s7
	v_xor_b32_e32 v7, v0, v6
	v_mad_u64_u32 v[0:1], s[0:1], v7, s7, 0
	v_mul_hi_u32 v3, v7, s10
	v_addc_co_u32_e32 v2, vcc, v5, v6, vcc
	v_xor_b32_e32 v8, v2, v6
	v_add_co_u32_e32 v9, vcc, v3, v0
	v_addc_co_u32_e32 v10, vcc, 0, v1, vcc
	v_mad_u64_u32 v[0:1], s[0:1], v8, s10, 0
	v_mad_u64_u32 v[2:3], s[0:1], v8, s7, 0
	v_add_co_u32_e32 v0, vcc, v9, v0
	v_addc_co_u32_e32 v0, vcc, v10, v1, vcc
	v_addc_co_u32_e32 v1, vcc, 0, v3, vcc
	v_add_co_u32_e32 v2, vcc, v0, v2
	v_addc_co_u32_e32 v3, vcc, 0, v1, vcc
	v_mul_lo_u32 v9, s9, v2
	v_mul_lo_u32 v10, s8, v3
	v_mad_u64_u32 v[0:1], s[0:1], s8, v2, 0
	v_add3_u32 v1, v1, v10, v9
	v_sub_u32_e32 v9, v8, v1
	v_mov_b32_e32 v10, s9
	v_sub_co_u32_e32 v0, vcc, v7, v0
	v_subb_co_u32_e64 v7, s[0:1], v9, v10, vcc
	v_subrev_co_u32_e64 v9, s[0:1], s8, v0
	v_subbrev_co_u32_e64 v7, s[0:1], 0, v7, s[0:1]
	v_cmp_le_u32_e64 s[0:1], s9, v7
	v_cndmask_b32_e64 v10, 0, -1, s[0:1]
	v_cmp_le_u32_e64 s[0:1], s8, v9
	v_cndmask_b32_e64 v9, 0, -1, s[0:1]
	v_cmp_eq_u32_e64 s[0:1], s9, v7
	v_cndmask_b32_e64 v7, v10, v9, s[0:1]
	v_add_co_u32_e64 v9, s[0:1], 2, v2
	v_subb_co_u32_e32 v1, vcc, v8, v1, vcc
	v_addc_co_u32_e64 v10, s[0:1], 0, v3, s[0:1]
	v_cmp_le_u32_e32 vcc, s9, v1
	v_add_co_u32_e64 v11, s[0:1], 1, v2
	v_cndmask_b32_e64 v8, 0, -1, vcc
	v_cmp_le_u32_e32 vcc, s8, v0
	v_addc_co_u32_e64 v12, s[0:1], 0, v3, s[0:1]
	v_cndmask_b32_e64 v0, 0, -1, vcc
	v_cmp_eq_u32_e32 vcc, s9, v1
	v_cmp_ne_u32_e64 s[0:1], 0, v7
	v_cndmask_b32_e32 v0, v8, v0, vcc
	v_cmp_ne_u32_e32 vcc, 0, v0
	v_cndmask_b32_e64 v1, v11, v9, s[0:1]
	v_cndmask_b32_e64 v7, v12, v10, s[0:1]
	v_cndmask_b32_e32 v1, v2, v1, vcc
	v_xor_b32_e32 v2, s6, v6
	v_cndmask_b32_e32 v0, v3, v7, vcc
	v_xor_b32_e32 v1, v1, v2
	v_xor_b32_e32 v0, v0, v2
	v_sub_co_u32_e32 v10, vcc, v1, v2
	v_subb_co_u32_e32 v11, vcc, v0, v2, vcc
.LBB246_3:
	s_or_saveexec_b64 s[0:1], s[2:3]
	s_load_dwordx8 s[8:15], s[4:5], 0x8
	s_load_dwordx8 s[16:23], s[4:5], 0x60
	s_xor_b64 exec, exec, s[0:1]
	s_cbranch_execz .LBB246_5
; %bb.4:
	v_cvt_f32_u32_e32 v0, s26
	s_sub_i32 s2, 0, s26
	v_mov_b32_e32 v11, 0
	v_rcp_iflag_f32_e32 v0, v0
	v_mul_f32_e32 v0, 0x4f7ffffe, v0
	v_cvt_u32_f32_e32 v0, v0
	v_mul_lo_u32 v1, s2, v0
	v_mul_hi_u32 v1, v0, v1
	v_add_u32_e32 v0, v0, v1
	v_mul_hi_u32 v0, v4, v0
	v_mul_lo_u32 v1, v0, s26
	v_add_u32_e32 v2, 1, v0
	v_sub_u32_e32 v1, v4, v1
	v_subrev_u32_e32 v3, s26, v1
	v_cmp_le_u32_e32 vcc, s26, v1
	v_cndmask_b32_e32 v1, v1, v3, vcc
	v_cndmask_b32_e32 v0, v0, v2, vcc
	v_add_u32_e32 v2, 1, v0
	v_cmp_le_u32_e32 vcc, s26, v1
	v_cndmask_b32_e32 v10, v0, v2, vcc
.LBB246_5:
	s_or_b64 exec, exec, s[0:1]
	v_or_b32_e32 v1, s37, v11
	v_mov_b32_e32 v0, 0
	v_cmp_ne_u64_e32 vcc, 0, v[0:1]
                                        ; implicit-def: $vgpr6_vgpr7
	s_and_saveexec_b64 s[0:1], vcc
	s_xor_b64 s[2:3], exec, s[0:1]
	s_cbranch_execz .LBB246_7
; %bb.6:
	s_ashr_i32 s6, s37, 31
	s_add_u32 s0, s36, s6
	s_mov_b32 s7, s6
	s_addc_u32 s1, s37, s6
	s_waitcnt lgkmcnt(0)
	s_xor_b64 s[22:23], s[0:1], s[6:7]
	v_cvt_f32_u32_e32 v0, s22
	v_cvt_f32_u32_e32 v1, s23
	s_sub_u32 s7, 0, s22
	s_subb_u32 s24, 0, s23
	v_ashrrev_i32_e32 v6, 31, v11
	v_madmk_f32 v0, v1, 0x4f800000, v0
	v_rcp_f32_e32 v0, v0
	v_mul_f32_e32 v0, 0x5f7ffffc, v0
	v_mul_f32_e32 v1, 0x2f800000, v0
	v_trunc_f32_e32 v1, v1
	v_madmk_f32 v0, v1, 0xcf800000, v0
	v_cvt_u32_f32_e32 v1, v1
	v_cvt_u32_f32_e32 v0, v0
	v_readfirstlane_b32 s25, v1
	v_readfirstlane_b32 s0, v0
	s_mul_i32 s1, s7, s25
	s_mul_hi_u32 s34, s7, s0
	s_mul_i32 s33, s24, s0
	s_add_i32 s1, s34, s1
	s_add_i32 s1, s1, s33
	s_mul_i32 s35, s7, s0
	s_mul_i32 s34, s0, s1
	s_mul_hi_u32 s40, s0, s35
	s_mul_hi_u32 s33, s0, s1
	s_add_u32 s34, s40, s34
	s_addc_u32 s33, 0, s33
	s_mul_hi_u32 s41, s25, s35
	s_mul_i32 s35, s25, s35
	s_add_u32 s34, s34, s35
	s_mul_hi_u32 s40, s25, s1
	s_addc_u32 s33, s33, s41
	s_addc_u32 s34, s40, 0
	s_mul_i32 s1, s25, s1
	s_add_u32 s1, s33, s1
	s_addc_u32 s33, 0, s34
	s_add_u32 s34, s0, s1
	s_cselect_b64 s[0:1], -1, 0
	s_cmp_lg_u64 s[0:1], 0
	s_addc_u32 s25, s25, s33
	s_mul_i32 s0, s7, s25
	s_mul_hi_u32 s1, s7, s34
	s_add_i32 s0, s1, s0
	s_mul_i32 s24, s24, s34
	s_add_i32 s0, s0, s24
	s_mul_i32 s7, s7, s34
	s_mul_hi_u32 s24, s25, s7
	s_mul_i32 s33, s25, s7
	s_mul_i32 s40, s34, s0
	s_mul_hi_u32 s7, s34, s7
	s_mul_hi_u32 s35, s34, s0
	s_add_u32 s7, s7, s40
	s_addc_u32 s35, 0, s35
	s_add_u32 s7, s7, s33
	s_mul_hi_u32 s1, s25, s0
	s_addc_u32 s7, s35, s24
	s_addc_u32 s1, s1, 0
	s_mul_i32 s0, s25, s0
	s_add_u32 s0, s7, s0
	s_addc_u32 s7, 0, s1
	s_add_u32 s24, s34, s0
	s_cselect_b64 s[0:1], -1, 0
	s_cmp_lg_u64 s[0:1], 0
	v_add_co_u32_e32 v0, vcc, v10, v6
	s_addc_u32 s7, s25, s7
	v_xor_b32_e32 v7, v0, v6
	v_mad_u64_u32 v[0:1], s[0:1], v7, s7, 0
	v_mul_hi_u32 v3, v7, s24
	v_addc_co_u32_e32 v2, vcc, v11, v6, vcc
	v_xor_b32_e32 v8, v2, v6
	v_add_co_u32_e32 v9, vcc, v3, v0
	v_addc_co_u32_e32 v12, vcc, 0, v1, vcc
	v_mad_u64_u32 v[0:1], s[0:1], v8, s24, 0
	v_mad_u64_u32 v[2:3], s[0:1], v8, s7, 0
	v_add_co_u32_e32 v0, vcc, v9, v0
	v_addc_co_u32_e32 v0, vcc, v12, v1, vcc
	v_addc_co_u32_e32 v1, vcc, 0, v3, vcc
	v_add_co_u32_e32 v2, vcc, v0, v2
	v_addc_co_u32_e32 v3, vcc, 0, v1, vcc
	v_mul_lo_u32 v9, s23, v2
	v_mul_lo_u32 v12, s22, v3
	v_mad_u64_u32 v[0:1], s[0:1], s22, v2, 0
	v_add3_u32 v1, v1, v12, v9
	v_sub_u32_e32 v9, v8, v1
	v_mov_b32_e32 v12, s23
	v_sub_co_u32_e32 v0, vcc, v7, v0
	v_subb_co_u32_e64 v7, s[0:1], v9, v12, vcc
	v_subrev_co_u32_e64 v9, s[0:1], s22, v0
	v_subbrev_co_u32_e64 v7, s[0:1], 0, v7, s[0:1]
	v_cmp_le_u32_e64 s[0:1], s23, v7
	v_cndmask_b32_e64 v12, 0, -1, s[0:1]
	v_cmp_le_u32_e64 s[0:1], s22, v9
	v_cndmask_b32_e64 v9, 0, -1, s[0:1]
	v_cmp_eq_u32_e64 s[0:1], s23, v7
	v_cndmask_b32_e64 v7, v12, v9, s[0:1]
	v_add_co_u32_e64 v9, s[0:1], 2, v2
	v_subb_co_u32_e32 v1, vcc, v8, v1, vcc
	v_addc_co_u32_e64 v12, s[0:1], 0, v3, s[0:1]
	v_cmp_le_u32_e32 vcc, s23, v1
	v_add_co_u32_e64 v13, s[0:1], 1, v2
	v_cndmask_b32_e64 v8, 0, -1, vcc
	v_cmp_le_u32_e32 vcc, s22, v0
	v_addc_co_u32_e64 v14, s[0:1], 0, v3, s[0:1]
	v_cndmask_b32_e64 v0, 0, -1, vcc
	v_cmp_eq_u32_e32 vcc, s23, v1
	v_cmp_ne_u32_e64 s[0:1], 0, v7
	v_cndmask_b32_e32 v0, v8, v0, vcc
	v_cmp_ne_u32_e32 vcc, 0, v0
	v_cndmask_b32_e64 v1, v13, v9, s[0:1]
	v_cndmask_b32_e64 v7, v14, v12, s[0:1]
	v_cndmask_b32_e32 v1, v2, v1, vcc
	v_xor_b32_e32 v2, s6, v6
	v_cndmask_b32_e32 v0, v3, v7, vcc
	v_xor_b32_e32 v1, v1, v2
	v_xor_b32_e32 v0, v0, v2
	v_sub_co_u32_e32 v6, vcc, v1, v2
	v_subb_co_u32_e32 v7, vcc, v0, v2, vcc
.LBB246_7:
	s_andn2_saveexec_b64 s[0:1], s[2:3]
	s_cbranch_execz .LBB246_9
; %bb.8:
	v_cvt_f32_u32_e32 v0, s36
	s_sub_i32 s2, 0, s36
	v_mov_b32_e32 v7, 0
	v_rcp_iflag_f32_e32 v0, v0
	v_mul_f32_e32 v0, 0x4f7ffffe, v0
	v_cvt_u32_f32_e32 v0, v0
	v_mul_lo_u32 v1, s2, v0
	v_mul_hi_u32 v1, v0, v1
	v_add_u32_e32 v0, v0, v1
	v_mul_hi_u32 v0, v10, v0
	v_mul_lo_u32 v1, v0, s36
	v_add_u32_e32 v2, 1, v0
	v_sub_u32_e32 v1, v10, v1
	v_subrev_u32_e32 v3, s36, v1
	v_cmp_le_u32_e32 vcc, s36, v1
	v_cndmask_b32_e32 v1, v1, v3, vcc
	v_cndmask_b32_e32 v0, v0, v2, vcc
	v_add_u32_e32 v2, 1, v0
	v_cmp_le_u32_e32 vcc, s36, v1
	v_cndmask_b32_e32 v6, v0, v2, vcc
.LBB246_9:
	s_or_b64 exec, exec, s[0:1]
	s_waitcnt lgkmcnt(0)
	s_load_dword s22, s[4:5], 0x38
	v_mad_u64_u32 v[12:13], s[0:1], v6, s36, 0
	v_mul_lo_u32 v0, v7, s36
	v_mul_lo_u32 v1, v6, s37
	s_waitcnt lgkmcnt(0)
	s_lshr_b32 s0, s22, 16
	s_add_u32 s1, s36, 1
	s_addc_u32 s2, s37, 0
	s_mul_i32 s2, s20, s2
	s_mul_hi_u32 s3, s20, s1
	s_add_i32 s2, s3, s2
	s_mul_i32 s3, s21, s1
	s_add_i32 s2, s2, s3
	s_mul_i32 s1, s20, s1
	v_add3_u32 v13, v13, v1, v0
	v_mul_lo_u32 v2, s2, v6
	v_mul_lo_u32 v3, s1, v7
	v_mad_u64_u32 v[0:1], s[2:3], s1, v6, 0
	v_sub_co_u32_e32 v8, vcc, v10, v12
	v_add3_u32 v1, v1, v3, v2
	v_lshlrev_b64 v[0:1], 3, v[0:1]
	v_subb_co_u32_e32 v9, vcc, v11, v13, vcc
	v_mov_b32_e32 v2, s15
	v_add_co_u32_e32 v0, vcc, s14, v0
	v_lshlrev_b64 v[14:15], 3, v[8:9]
	v_addc_co_u32_e32 v1, vcc, v2, v1, vcc
	v_add_co_u32_e32 v0, vcc, v0, v14
	v_addc_co_u32_e32 v1, vcc, v1, v15, vcc
	global_load_dwordx4 v[0:3], v[0:1], off
	v_mul_lo_u32 v16, v11, s26
	v_mul_lo_u32 v17, v10, s27
	v_mad_u64_u32 v[10:11], s[2:3], v10, s26, 0
	s_load_dword s20, s[4:5], 0x0
	v_mov_b32_e32 v18, s0
	v_add3_u32 v11, v11, v17, v16
	s_waitcnt vmcnt(0)
	v_cmp_lt_i64_e32 vcc, v[0:1], v[2:3]
	s_and_saveexec_b64 s[2:3], vcc
	s_cbranch_execz .LBB246_28
; %bb.10:
	v_mul_lo_u32 v18, v7, s30
	v_mul_lo_u32 v19, v6, s31
	v_mad_u64_u32 v[16:17], s[4:5], v6, s30, 0
	s_waitcnt lgkmcnt(0)
	s_cmp_lg_u32 s20, 0
	s_cselect_b64 s[4:5], -1, 0
	v_add3_u32 v17, v17, v19, v18
	v_lshlrev_b64 v[16:17], 1, v[16:17]
	v_lshlrev_b64 v[18:19], 1, v[0:1]
	s_and_b32 s1, s20, -3
	v_add_co_u32_e32 v18, vcc, v16, v18
	v_addc_co_u32_e32 v19, vcc, v17, v19, vcc
	v_lshlrev_b64 v[16:17], 1, v[4:5]
	v_mul_lo_u32 v19, s28, v19
	v_mul_lo_u32 v20, s29, v18
	v_mad_u64_u32 v[16:17], s[6:7], s28, v18, v[16:17]
	s_cmp_lg_u32 s1, 1
	s_cselect_b64 s[6:7], -1, 0
	v_add3_u32 v19, v20, v17, v19
	v_lshlrev_b64 v[17:18], 1, v[10:11]
	s_lshl_b64 s[14:15], s[28:29], 1
	v_sub_co_u32_e32 v16, vcc, v16, v17
	v_subb_co_u32_e32 v17, vcc, v19, v18, vcc
	v_mov_b32_e32 v18, s11
	v_add_co_u32_e32 v16, vcc, s10, v16
	v_addc_co_u32_e32 v17, vcc, v18, v17, vcc
	s_mov_b64 s[10:11], 0
	v_mov_b32_e32 v20, s0
	s_movk_i32 s21, 0x7fff
	v_mov_b32_e32 v19, 0x7fc0
	v_mov_b32_e32 v21, s0
	s_branch .LBB246_12
.LBB246_11:                             ;   in Loop: Header=BB246_12 Depth=1
	v_add_co_u32_e32 v0, vcc, 1, v0
	v_addc_co_u32_e32 v1, vcc, 0, v1, vcc
	v_cmp_ge_i64_e32 vcc, v[0:1], v[2:3]
	v_mov_b32_e32 v20, s15
	v_add_co_u32_e64 v16, s[0:1], s14, v16
	v_addc_co_u32_e64 v17, s[0:1], v17, v20, s[0:1]
	s_or_b64 s[10:11], vcc, s[10:11]
	v_mov_b32_e32 v20, v18
	v_mov_b32_e32 v21, v23
	s_andn2_b64 exec, exec, s[10:11]
	s_cbranch_execz .LBB246_27
.LBB246_12:                             ; =>This Inner Loop Header: Depth=1
	global_load_ushort v18, v[16:17], off
	s_and_b64 vcc, exec, s[4:5]
	s_mov_b64 s[0:1], -1
	s_waitcnt vmcnt(0)
	v_and_b32_e32 v22, 0xffff, v18
	s_cbranch_vccz .LBB246_25
; %bb.13:                               ;   in Loop: Header=BB246_12 Depth=1
	s_and_b64 vcc, exec, s[6:7]
                                        ; implicit-def: $vgpr23
                                        ; implicit-def: $vgpr18
	s_cbranch_vccz .LBB246_22
; %bb.14:                               ;   in Loop: Header=BB246_12 Depth=1
	s_cmp_lt_i32 s20, 4
                                        ; implicit-def: $vgpr23
                                        ; implicit-def: $vgpr18
	s_cbranch_scc1 .LBB246_18
; %bb.15:                               ;   in Loop: Header=BB246_12 Depth=1
	s_cmp_eq_u32 s20, 4
	v_mov_b32_e32 v23, v21
	v_mov_b32_e32 v18, v20
	s_cbranch_scc0 .LBB246_17
; %bb.16:                               ;   in Loop: Header=BB246_12 Depth=1
	v_lshlrev_b32_e32 v18, 16, v21
	v_lshlrev_b32_e32 v23, 16, v22
	v_mul_f32_e32 v18, v23, v18
	v_bfe_u32 v23, v18, 16, 1
	v_add3_u32 v23, v18, v23, s21
	v_cmp_o_f32_e32 vcc, v18, v18
	v_cndmask_b32_sdwa v23, v19, v23, vcc dst_sel:DWORD dst_unused:UNUSED_PAD src0_sel:DWORD src1_sel:WORD_1
	v_mov_b32_e32 v18, v23
.LBB246_17:                             ;   in Loop: Header=BB246_12 Depth=1
	s_mov_b64 s[0:1], 0
.LBB246_18:                             ;   in Loop: Header=BB246_12 Depth=1
	s_andn2_b64 vcc, exec, s[0:1]
	s_cbranch_vccnz .LBB246_21
; %bb.19:                               ;   in Loop: Header=BB246_12 Depth=1
	s_cmp_lg_u32 s20, 2
	v_mov_b32_e32 v23, v21
	v_mov_b32_e32 v18, v20
	s_cbranch_scc1 .LBB246_21
; %bb.20:                               ;   in Loop: Header=BB246_12 Depth=1
	v_lshlrev_b32_e32 v18, 16, v22
	v_lshlrev_b32_e32 v23, 16, v21
	v_cmp_u_f32_e32 vcc, v18, v18
	v_cmp_lt_f32_e64 s[0:1], v18, v23
	s_or_b64 vcc, vcc, s[0:1]
	v_cndmask_b32_e32 v23, v20, v22, vcc
	v_mov_b32_e32 v18, v23
.LBB246_21:                             ;   in Loop: Header=BB246_12 Depth=1
	s_mov_b64 s[0:1], 0
.LBB246_22:                             ;   in Loop: Header=BB246_12 Depth=1
	s_and_b64 vcc, exec, s[0:1]
	s_cbranch_vccz .LBB246_24
; %bb.23:                               ;   in Loop: Header=BB246_12 Depth=1
	v_lshlrev_b32_e32 v18, 16, v21
	v_lshlrev_b32_e32 v23, 16, v22
	v_add_f32_e32 v18, v23, v18
	v_bfe_u32 v23, v18, 16, 1
	v_add3_u32 v23, v18, v23, s21
	v_cmp_o_f32_e32 vcc, v18, v18
	v_cndmask_b32_sdwa v23, v19, v23, vcc dst_sel:DWORD dst_unused:UNUSED_PAD src0_sel:DWORD src1_sel:WORD_1
	v_mov_b32_e32 v18, v23
.LBB246_24:                             ;   in Loop: Header=BB246_12 Depth=1
	s_cbranch_execnz .LBB246_11
	s_branch .LBB246_26
.LBB246_25:                             ;   in Loop: Header=BB246_12 Depth=1
                                        ; implicit-def: $vgpr23
                                        ; implicit-def: $vgpr18
	s_andn2_b64 vcc, exec, s[0:1]
	s_cbranch_vccnz .LBB246_11
.LBB246_26:                             ;   in Loop: Header=BB246_12 Depth=1
	v_lshlrev_b32_e32 v18, 16, v22
	v_lshlrev_b32_e32 v21, 16, v21
	v_cmp_u_f32_e32 vcc, v18, v18
	v_cmp_lt_f32_e64 s[0:1], v21, v18
	s_or_b64 vcc, vcc, s[0:1]
	v_cndmask_b32_e32 v18, v20, v22, vcc
	v_mov_b32_e32 v23, v18
	s_branch .LBB246_11
.LBB246_27:
	s_or_b64 exec, exec, s[10:11]
.LBB246_28:
	s_or_b64 exec, exec, s[2:3]
	v_mul_lo_u32 v2, v13, s38
	v_mul_lo_u32 v3, v12, s39
	v_mad_u64_u32 v[0:1], s[0:1], v12, s38, 0
	v_add3_u32 v1, v1, v3, v2
	v_lshlrev_b64 v[0:1], 3, v[0:1]
	v_mov_b32_e32 v2, s13
	v_add_co_u32_e32 v0, vcc, s12, v0
	v_addc_co_u32_e32 v1, vcc, v2, v1, vcc
	v_add_co_u32_e32 v0, vcc, v0, v14
	v_addc_co_u32_e32 v1, vcc, v1, v15, vcc
	global_load_dwordx2 v[0:1], v[0:1], off
	s_waitcnt vmcnt(0)
	v_cmp_lt_i64_e32 vcc, -1, v[0:1]
	s_and_saveexec_b64 s[0:1], vcc
	s_xor_b64 s[0:1], exec, s[0:1]
	s_cbranch_execz .LBB246_36
; %bb.29:
	s_bitcmp1_b32 s22, 0
	v_cmp_ne_u64_e32 vcc, 0, v[0:1]
	s_cselect_b64 s[2:3], -1, 0
	s_or_b64 s[2:3], s[2:3], vcc
	s_waitcnt lgkmcnt(0)
	s_cmp_lg_u32 s20, 1
	s_cselect_b64 s[4:5], -1, 0
	s_or_b64 s[6:7], s[4:5], s[2:3]
	v_mov_b32_e32 v2, 0x7fc0
	s_and_saveexec_b64 s[2:3], s[6:7]
	s_cbranch_execz .LBB246_35
; %bb.30:
	v_cmp_ne_u64_e32 vcc, 0, v[0:1]
	s_xor_b64 s[4:5], s[4:5], -1
	s_and_b64 s[6:7], s[4:5], vcc
	s_and_saveexec_b64 s[4:5], s[6:7]
	s_cbranch_execz .LBB246_34
; %bb.31:
	v_lshlrev_b32_e32 v2, 16, v18
	v_cmp_o_f32_e32 vcc, v2, v2
	s_and_saveexec_b64 s[6:7], vcc
	s_cbranch_execz .LBB246_33
; %bb.32:
	v_ffbh_u32_e32 v3, v1
	v_min_u32_e32 v3, 32, v3
	v_lshlrev_b64 v[0:1], v3, v[0:1]
	s_movk_i32 s12, 0x7fff
	v_min_u32_e32 v0, 1, v0
	v_or_b32_e32 v0, v1, v0
	v_cvt_f32_u32_e32 v0, v0
	v_sub_u32_e32 v1, 32, v3
	v_ldexp_f32 v0, v0, v1
	v_bfe_u32 v1, v0, 16, 1
	v_add3_u32 v0, v0, v1, s12
	v_and_b32_e32 v0, 0xffff0000, v0
	v_div_scale_f32 v1, s[10:11], v0, v0, v2
	v_div_scale_f32 v3, vcc, v2, v0, v2
	v_rcp_f32_e32 v12, v1
	v_fma_f32 v13, -v1, v12, 1.0
	v_fmac_f32_e32 v12, v13, v12
	v_mul_f32_e32 v13, v3, v12
	v_fma_f32 v14, -v1, v13, v3
	v_fmac_f32_e32 v13, v14, v12
	v_fma_f32 v1, -v1, v13, v3
	v_div_fmas_f32 v1, v1, v12, v13
	v_mov_b32_e32 v3, 0x7fc0
	v_div_fixup_f32 v0, v1, v0, v2
	v_bfe_u32 v1, v0, 16, 1
	v_cmp_o_f32_e32 vcc, v0, v0
	v_add3_u32 v0, v0, v1, s12
	v_cndmask_b32_sdwa v18, v3, v0, vcc dst_sel:DWORD dst_unused:UNUSED_PAD src0_sel:DWORD src1_sel:WORD_1
.LBB246_33:
	s_or_b64 exec, exec, s[6:7]
.LBB246_34:
	s_or_b64 exec, exec, s[4:5]
	v_mov_b32_e32 v2, v18
.LBB246_35:
	s_or_b64 exec, exec, s[2:3]
	s_mul_i32 s2, s18, s17
	s_mul_hi_u32 s3, s18, s16
	s_add_i32 s2, s3, s2
	s_mul_i32 s3, s19, s16
	s_add_i32 s2, s2, s3
	s_mul_i32 s3, s18, s16
	v_mul_lo_u32 v12, s2, v6
	v_mul_lo_u32 v13, s3, v7
	v_mad_u64_u32 v[0:1], s[2:3], s3, v6, 0
	v_mul_lo_u32 v9, v9, s16
	v_mul_lo_u32 v14, v8, s17
	v_mad_u64_u32 v[6:7], s[2:3], v8, s16, 0
	v_add3_u32 v1, v1, v13, v12
	v_sub_co_u32_e32 v3, vcc, v4, v10
	v_lshlrev_b64 v[0:1], 1, v[0:1]
	v_subb_co_u32_e32 v4, vcc, v5, v11, vcc
	v_add3_u32 v7, v7, v14, v9
	v_mov_b32_e32 v5, s9
	v_add_co_u32_e32 v8, vcc, s8, v0
	v_addc_co_u32_e32 v5, vcc, v5, v1, vcc
	v_lshlrev_b64 v[0:1], 1, v[6:7]
	v_add_co_u32_e32 v6, vcc, v8, v0
	v_addc_co_u32_e32 v5, vcc, v5, v1, vcc
	v_lshlrev_b64 v[0:1], 1, v[3:4]
	v_add_co_u32_e32 v0, vcc, v6, v0
	v_addc_co_u32_e32 v1, vcc, v5, v1, vcc
	global_store_short v[0:1], v2, off
.LBB246_36:
	s_andn2_saveexec_b64 s[0:1], s[0:1]
	s_cbranch_execnz .LBB246_38
.LBB246_37:
	s_endpgm
.LBB246_38:
	s_trap 2
	; divergent unreachable
	s_endpgm
	.section	.rodata,"a",@progbits
	.p2align	6, 0x0
	.amdhsa_kernel _ZN2at6native12_GLOBAL__N_129segment_reduce_forward_kernelIN3c108BFloat16ElEEvNS0_13ReductionTypeEPT_PKS6_PKT0_SC_llbS6_lllllll
		.amdhsa_group_segment_fixed_size 0
		.amdhsa_private_segment_fixed_size 0
		.amdhsa_kernarg_size 376
		.amdhsa_user_sgpr_count 6
		.amdhsa_user_sgpr_private_segment_buffer 1
		.amdhsa_user_sgpr_dispatch_ptr 0
		.amdhsa_user_sgpr_queue_ptr 0
		.amdhsa_user_sgpr_kernarg_segment_ptr 1
		.amdhsa_user_sgpr_dispatch_id 0
		.amdhsa_user_sgpr_flat_scratch_init 0
		.amdhsa_user_sgpr_private_segment_size 0
		.amdhsa_uses_dynamic_stack 0
		.amdhsa_system_sgpr_private_segment_wavefront_offset 0
		.amdhsa_system_sgpr_workgroup_id_x 1
		.amdhsa_system_sgpr_workgroup_id_y 0
		.amdhsa_system_sgpr_workgroup_id_z 0
		.amdhsa_system_sgpr_workgroup_info 0
		.amdhsa_system_vgpr_workitem_id 0
		.amdhsa_next_free_vgpr 24
		.amdhsa_next_free_sgpr 42
		.amdhsa_reserve_vcc 1
		.amdhsa_reserve_flat_scratch 0
		.amdhsa_float_round_mode_32 0
		.amdhsa_float_round_mode_16_64 0
		.amdhsa_float_denorm_mode_32 3
		.amdhsa_float_denorm_mode_16_64 3
		.amdhsa_dx10_clamp 1
		.amdhsa_ieee_mode 1
		.amdhsa_fp16_overflow 0
		.amdhsa_exception_fp_ieee_invalid_op 0
		.amdhsa_exception_fp_denorm_src 0
		.amdhsa_exception_fp_ieee_div_zero 0
		.amdhsa_exception_fp_ieee_overflow 0
		.amdhsa_exception_fp_ieee_underflow 0
		.amdhsa_exception_fp_ieee_inexact 0
		.amdhsa_exception_int_div_zero 0
	.end_amdhsa_kernel
	.section	.text._ZN2at6native12_GLOBAL__N_129segment_reduce_forward_kernelIN3c108BFloat16ElEEvNS0_13ReductionTypeEPT_PKS6_PKT0_SC_llbS6_lllllll,"axG",@progbits,_ZN2at6native12_GLOBAL__N_129segment_reduce_forward_kernelIN3c108BFloat16ElEEvNS0_13ReductionTypeEPT_PKS6_PKT0_SC_llbS6_lllllll,comdat
.Lfunc_end246:
	.size	_ZN2at6native12_GLOBAL__N_129segment_reduce_forward_kernelIN3c108BFloat16ElEEvNS0_13ReductionTypeEPT_PKS6_PKT0_SC_llbS6_lllllll, .Lfunc_end246-_ZN2at6native12_GLOBAL__N_129segment_reduce_forward_kernelIN3c108BFloat16ElEEvNS0_13ReductionTypeEPT_PKS6_PKT0_SC_llbS6_lllllll
                                        ; -- End function
	.set _ZN2at6native12_GLOBAL__N_129segment_reduce_forward_kernelIN3c108BFloat16ElEEvNS0_13ReductionTypeEPT_PKS6_PKT0_SC_llbS6_lllllll.num_vgpr, 24
	.set _ZN2at6native12_GLOBAL__N_129segment_reduce_forward_kernelIN3c108BFloat16ElEEvNS0_13ReductionTypeEPT_PKS6_PKT0_SC_llbS6_lllllll.num_agpr, 0
	.set _ZN2at6native12_GLOBAL__N_129segment_reduce_forward_kernelIN3c108BFloat16ElEEvNS0_13ReductionTypeEPT_PKS6_PKT0_SC_llbS6_lllllll.numbered_sgpr, 42
	.set _ZN2at6native12_GLOBAL__N_129segment_reduce_forward_kernelIN3c108BFloat16ElEEvNS0_13ReductionTypeEPT_PKS6_PKT0_SC_llbS6_lllllll.num_named_barrier, 0
	.set _ZN2at6native12_GLOBAL__N_129segment_reduce_forward_kernelIN3c108BFloat16ElEEvNS0_13ReductionTypeEPT_PKS6_PKT0_SC_llbS6_lllllll.private_seg_size, 0
	.set _ZN2at6native12_GLOBAL__N_129segment_reduce_forward_kernelIN3c108BFloat16ElEEvNS0_13ReductionTypeEPT_PKS6_PKT0_SC_llbS6_lllllll.uses_vcc, 1
	.set _ZN2at6native12_GLOBAL__N_129segment_reduce_forward_kernelIN3c108BFloat16ElEEvNS0_13ReductionTypeEPT_PKS6_PKT0_SC_llbS6_lllllll.uses_flat_scratch, 0
	.set _ZN2at6native12_GLOBAL__N_129segment_reduce_forward_kernelIN3c108BFloat16ElEEvNS0_13ReductionTypeEPT_PKS6_PKT0_SC_llbS6_lllllll.has_dyn_sized_stack, 0
	.set _ZN2at6native12_GLOBAL__N_129segment_reduce_forward_kernelIN3c108BFloat16ElEEvNS0_13ReductionTypeEPT_PKS6_PKT0_SC_llbS6_lllllll.has_recursion, 0
	.set _ZN2at6native12_GLOBAL__N_129segment_reduce_forward_kernelIN3c108BFloat16ElEEvNS0_13ReductionTypeEPT_PKS6_PKT0_SC_llbS6_lllllll.has_indirect_call, 0
	.section	.AMDGPU.csdata,"",@progbits
; Kernel info:
; codeLenInByte = 2916
; TotalNumSgprs: 46
; NumVgprs: 24
; ScratchSize: 0
; MemoryBound: 0
; FloatMode: 240
; IeeeMode: 1
; LDSByteSize: 0 bytes/workgroup (compile time only)
; SGPRBlocks: 5
; VGPRBlocks: 5
; NumSGPRsForWavesPerEU: 46
; NumVGPRsForWavesPerEU: 24
; Occupancy: 10
; WaveLimiterHint : 0
; COMPUTE_PGM_RSRC2:SCRATCH_EN: 0
; COMPUTE_PGM_RSRC2:USER_SGPR: 6
; COMPUTE_PGM_RSRC2:TRAP_HANDLER: 0
; COMPUTE_PGM_RSRC2:TGID_X_EN: 1
; COMPUTE_PGM_RSRC2:TGID_Y_EN: 0
; COMPUTE_PGM_RSRC2:TGID_Z_EN: 0
; COMPUTE_PGM_RSRC2:TIDIG_COMP_CNT: 0
	.section	.text._ZN7rocprim17ROCPRIM_400000_NS6detail17trampoline_kernelINS0_14default_configENS1_32segmented_reduce_config_selectorIN3c108BFloat16EEEZNS1_21segmented_reduce_implIS3_PKS6_PS6_PKlS6_N6hipcub16HIPCUB_304000_NS6detail27convert_result_type_wrapperISA_SB_N2at6native12_GLOBAL__N_19CustomMaxEEEEE10hipError_tPvRmT0_T1_jT2_SS_T4_T3_P12ihipStream_tbEUlT_E_NS1_11comp_targetILNS1_3genE0ELNS1_11target_archE4294967295ELNS1_3gpuE0ELNS1_3repE0EEENS1_30default_config_static_selectorELNS0_4arch9wavefront6targetE1EEEvSR_,"axG",@progbits,_ZN7rocprim17ROCPRIM_400000_NS6detail17trampoline_kernelINS0_14default_configENS1_32segmented_reduce_config_selectorIN3c108BFloat16EEEZNS1_21segmented_reduce_implIS3_PKS6_PS6_PKlS6_N6hipcub16HIPCUB_304000_NS6detail27convert_result_type_wrapperISA_SB_N2at6native12_GLOBAL__N_19CustomMaxEEEEE10hipError_tPvRmT0_T1_jT2_SS_T4_T3_P12ihipStream_tbEUlT_E_NS1_11comp_targetILNS1_3genE0ELNS1_11target_archE4294967295ELNS1_3gpuE0ELNS1_3repE0EEENS1_30default_config_static_selectorELNS0_4arch9wavefront6targetE1EEEvSR_,comdat
	.globl	_ZN7rocprim17ROCPRIM_400000_NS6detail17trampoline_kernelINS0_14default_configENS1_32segmented_reduce_config_selectorIN3c108BFloat16EEEZNS1_21segmented_reduce_implIS3_PKS6_PS6_PKlS6_N6hipcub16HIPCUB_304000_NS6detail27convert_result_type_wrapperISA_SB_N2at6native12_GLOBAL__N_19CustomMaxEEEEE10hipError_tPvRmT0_T1_jT2_SS_T4_T3_P12ihipStream_tbEUlT_E_NS1_11comp_targetILNS1_3genE0ELNS1_11target_archE4294967295ELNS1_3gpuE0ELNS1_3repE0EEENS1_30default_config_static_selectorELNS0_4arch9wavefront6targetE1EEEvSR_ ; -- Begin function _ZN7rocprim17ROCPRIM_400000_NS6detail17trampoline_kernelINS0_14default_configENS1_32segmented_reduce_config_selectorIN3c108BFloat16EEEZNS1_21segmented_reduce_implIS3_PKS6_PS6_PKlS6_N6hipcub16HIPCUB_304000_NS6detail27convert_result_type_wrapperISA_SB_N2at6native12_GLOBAL__N_19CustomMaxEEEEE10hipError_tPvRmT0_T1_jT2_SS_T4_T3_P12ihipStream_tbEUlT_E_NS1_11comp_targetILNS1_3genE0ELNS1_11target_archE4294967295ELNS1_3gpuE0ELNS1_3repE0EEENS1_30default_config_static_selectorELNS0_4arch9wavefront6targetE1EEEvSR_
	.p2align	8
	.type	_ZN7rocprim17ROCPRIM_400000_NS6detail17trampoline_kernelINS0_14default_configENS1_32segmented_reduce_config_selectorIN3c108BFloat16EEEZNS1_21segmented_reduce_implIS3_PKS6_PS6_PKlS6_N6hipcub16HIPCUB_304000_NS6detail27convert_result_type_wrapperISA_SB_N2at6native12_GLOBAL__N_19CustomMaxEEEEE10hipError_tPvRmT0_T1_jT2_SS_T4_T3_P12ihipStream_tbEUlT_E_NS1_11comp_targetILNS1_3genE0ELNS1_11target_archE4294967295ELNS1_3gpuE0ELNS1_3repE0EEENS1_30default_config_static_selectorELNS0_4arch9wavefront6targetE1EEEvSR_,@function
_ZN7rocprim17ROCPRIM_400000_NS6detail17trampoline_kernelINS0_14default_configENS1_32segmented_reduce_config_selectorIN3c108BFloat16EEEZNS1_21segmented_reduce_implIS3_PKS6_PS6_PKlS6_N6hipcub16HIPCUB_304000_NS6detail27convert_result_type_wrapperISA_SB_N2at6native12_GLOBAL__N_19CustomMaxEEEEE10hipError_tPvRmT0_T1_jT2_SS_T4_T3_P12ihipStream_tbEUlT_E_NS1_11comp_targetILNS1_3genE0ELNS1_11target_archE4294967295ELNS1_3gpuE0ELNS1_3repE0EEENS1_30default_config_static_selectorELNS0_4arch9wavefront6targetE1EEEvSR_: ; @_ZN7rocprim17ROCPRIM_400000_NS6detail17trampoline_kernelINS0_14default_configENS1_32segmented_reduce_config_selectorIN3c108BFloat16EEEZNS1_21segmented_reduce_implIS3_PKS6_PS6_PKlS6_N6hipcub16HIPCUB_304000_NS6detail27convert_result_type_wrapperISA_SB_N2at6native12_GLOBAL__N_19CustomMaxEEEEE10hipError_tPvRmT0_T1_jT2_SS_T4_T3_P12ihipStream_tbEUlT_E_NS1_11comp_targetILNS1_3genE0ELNS1_11target_archE4294967295ELNS1_3gpuE0ELNS1_3repE0EEENS1_30default_config_static_selectorELNS0_4arch9wavefront6targetE1EEEvSR_
; %bb.0:
	.section	.rodata,"a",@progbits
	.p2align	6, 0x0
	.amdhsa_kernel _ZN7rocprim17ROCPRIM_400000_NS6detail17trampoline_kernelINS0_14default_configENS1_32segmented_reduce_config_selectorIN3c108BFloat16EEEZNS1_21segmented_reduce_implIS3_PKS6_PS6_PKlS6_N6hipcub16HIPCUB_304000_NS6detail27convert_result_type_wrapperISA_SB_N2at6native12_GLOBAL__N_19CustomMaxEEEEE10hipError_tPvRmT0_T1_jT2_SS_T4_T3_P12ihipStream_tbEUlT_E_NS1_11comp_targetILNS1_3genE0ELNS1_11target_archE4294967295ELNS1_3gpuE0ELNS1_3repE0EEENS1_30default_config_static_selectorELNS0_4arch9wavefront6targetE1EEEvSR_
		.amdhsa_group_segment_fixed_size 0
		.amdhsa_private_segment_fixed_size 0
		.amdhsa_kernarg_size 48
		.amdhsa_user_sgpr_count 6
		.amdhsa_user_sgpr_private_segment_buffer 1
		.amdhsa_user_sgpr_dispatch_ptr 0
		.amdhsa_user_sgpr_queue_ptr 0
		.amdhsa_user_sgpr_kernarg_segment_ptr 1
		.amdhsa_user_sgpr_dispatch_id 0
		.amdhsa_user_sgpr_flat_scratch_init 0
		.amdhsa_user_sgpr_private_segment_size 0
		.amdhsa_uses_dynamic_stack 0
		.amdhsa_system_sgpr_private_segment_wavefront_offset 0
		.amdhsa_system_sgpr_workgroup_id_x 1
		.amdhsa_system_sgpr_workgroup_id_y 0
		.amdhsa_system_sgpr_workgroup_id_z 0
		.amdhsa_system_sgpr_workgroup_info 0
		.amdhsa_system_vgpr_workitem_id 0
		.amdhsa_next_free_vgpr 1
		.amdhsa_next_free_sgpr 0
		.amdhsa_reserve_vcc 0
		.amdhsa_reserve_flat_scratch 0
		.amdhsa_float_round_mode_32 0
		.amdhsa_float_round_mode_16_64 0
		.amdhsa_float_denorm_mode_32 3
		.amdhsa_float_denorm_mode_16_64 3
		.amdhsa_dx10_clamp 1
		.amdhsa_ieee_mode 1
		.amdhsa_fp16_overflow 0
		.amdhsa_exception_fp_ieee_invalid_op 0
		.amdhsa_exception_fp_denorm_src 0
		.amdhsa_exception_fp_ieee_div_zero 0
		.amdhsa_exception_fp_ieee_overflow 0
		.amdhsa_exception_fp_ieee_underflow 0
		.amdhsa_exception_fp_ieee_inexact 0
		.amdhsa_exception_int_div_zero 0
	.end_amdhsa_kernel
	.section	.text._ZN7rocprim17ROCPRIM_400000_NS6detail17trampoline_kernelINS0_14default_configENS1_32segmented_reduce_config_selectorIN3c108BFloat16EEEZNS1_21segmented_reduce_implIS3_PKS6_PS6_PKlS6_N6hipcub16HIPCUB_304000_NS6detail27convert_result_type_wrapperISA_SB_N2at6native12_GLOBAL__N_19CustomMaxEEEEE10hipError_tPvRmT0_T1_jT2_SS_T4_T3_P12ihipStream_tbEUlT_E_NS1_11comp_targetILNS1_3genE0ELNS1_11target_archE4294967295ELNS1_3gpuE0ELNS1_3repE0EEENS1_30default_config_static_selectorELNS0_4arch9wavefront6targetE1EEEvSR_,"axG",@progbits,_ZN7rocprim17ROCPRIM_400000_NS6detail17trampoline_kernelINS0_14default_configENS1_32segmented_reduce_config_selectorIN3c108BFloat16EEEZNS1_21segmented_reduce_implIS3_PKS6_PS6_PKlS6_N6hipcub16HIPCUB_304000_NS6detail27convert_result_type_wrapperISA_SB_N2at6native12_GLOBAL__N_19CustomMaxEEEEE10hipError_tPvRmT0_T1_jT2_SS_T4_T3_P12ihipStream_tbEUlT_E_NS1_11comp_targetILNS1_3genE0ELNS1_11target_archE4294967295ELNS1_3gpuE0ELNS1_3repE0EEENS1_30default_config_static_selectorELNS0_4arch9wavefront6targetE1EEEvSR_,comdat
.Lfunc_end247:
	.size	_ZN7rocprim17ROCPRIM_400000_NS6detail17trampoline_kernelINS0_14default_configENS1_32segmented_reduce_config_selectorIN3c108BFloat16EEEZNS1_21segmented_reduce_implIS3_PKS6_PS6_PKlS6_N6hipcub16HIPCUB_304000_NS6detail27convert_result_type_wrapperISA_SB_N2at6native12_GLOBAL__N_19CustomMaxEEEEE10hipError_tPvRmT0_T1_jT2_SS_T4_T3_P12ihipStream_tbEUlT_E_NS1_11comp_targetILNS1_3genE0ELNS1_11target_archE4294967295ELNS1_3gpuE0ELNS1_3repE0EEENS1_30default_config_static_selectorELNS0_4arch9wavefront6targetE1EEEvSR_, .Lfunc_end247-_ZN7rocprim17ROCPRIM_400000_NS6detail17trampoline_kernelINS0_14default_configENS1_32segmented_reduce_config_selectorIN3c108BFloat16EEEZNS1_21segmented_reduce_implIS3_PKS6_PS6_PKlS6_N6hipcub16HIPCUB_304000_NS6detail27convert_result_type_wrapperISA_SB_N2at6native12_GLOBAL__N_19CustomMaxEEEEE10hipError_tPvRmT0_T1_jT2_SS_T4_T3_P12ihipStream_tbEUlT_E_NS1_11comp_targetILNS1_3genE0ELNS1_11target_archE4294967295ELNS1_3gpuE0ELNS1_3repE0EEENS1_30default_config_static_selectorELNS0_4arch9wavefront6targetE1EEEvSR_
                                        ; -- End function
	.set _ZN7rocprim17ROCPRIM_400000_NS6detail17trampoline_kernelINS0_14default_configENS1_32segmented_reduce_config_selectorIN3c108BFloat16EEEZNS1_21segmented_reduce_implIS3_PKS6_PS6_PKlS6_N6hipcub16HIPCUB_304000_NS6detail27convert_result_type_wrapperISA_SB_N2at6native12_GLOBAL__N_19CustomMaxEEEEE10hipError_tPvRmT0_T1_jT2_SS_T4_T3_P12ihipStream_tbEUlT_E_NS1_11comp_targetILNS1_3genE0ELNS1_11target_archE4294967295ELNS1_3gpuE0ELNS1_3repE0EEENS1_30default_config_static_selectorELNS0_4arch9wavefront6targetE1EEEvSR_.num_vgpr, 0
	.set _ZN7rocprim17ROCPRIM_400000_NS6detail17trampoline_kernelINS0_14default_configENS1_32segmented_reduce_config_selectorIN3c108BFloat16EEEZNS1_21segmented_reduce_implIS3_PKS6_PS6_PKlS6_N6hipcub16HIPCUB_304000_NS6detail27convert_result_type_wrapperISA_SB_N2at6native12_GLOBAL__N_19CustomMaxEEEEE10hipError_tPvRmT0_T1_jT2_SS_T4_T3_P12ihipStream_tbEUlT_E_NS1_11comp_targetILNS1_3genE0ELNS1_11target_archE4294967295ELNS1_3gpuE0ELNS1_3repE0EEENS1_30default_config_static_selectorELNS0_4arch9wavefront6targetE1EEEvSR_.num_agpr, 0
	.set _ZN7rocprim17ROCPRIM_400000_NS6detail17trampoline_kernelINS0_14default_configENS1_32segmented_reduce_config_selectorIN3c108BFloat16EEEZNS1_21segmented_reduce_implIS3_PKS6_PS6_PKlS6_N6hipcub16HIPCUB_304000_NS6detail27convert_result_type_wrapperISA_SB_N2at6native12_GLOBAL__N_19CustomMaxEEEEE10hipError_tPvRmT0_T1_jT2_SS_T4_T3_P12ihipStream_tbEUlT_E_NS1_11comp_targetILNS1_3genE0ELNS1_11target_archE4294967295ELNS1_3gpuE0ELNS1_3repE0EEENS1_30default_config_static_selectorELNS0_4arch9wavefront6targetE1EEEvSR_.numbered_sgpr, 0
	.set _ZN7rocprim17ROCPRIM_400000_NS6detail17trampoline_kernelINS0_14default_configENS1_32segmented_reduce_config_selectorIN3c108BFloat16EEEZNS1_21segmented_reduce_implIS3_PKS6_PS6_PKlS6_N6hipcub16HIPCUB_304000_NS6detail27convert_result_type_wrapperISA_SB_N2at6native12_GLOBAL__N_19CustomMaxEEEEE10hipError_tPvRmT0_T1_jT2_SS_T4_T3_P12ihipStream_tbEUlT_E_NS1_11comp_targetILNS1_3genE0ELNS1_11target_archE4294967295ELNS1_3gpuE0ELNS1_3repE0EEENS1_30default_config_static_selectorELNS0_4arch9wavefront6targetE1EEEvSR_.num_named_barrier, 0
	.set _ZN7rocprim17ROCPRIM_400000_NS6detail17trampoline_kernelINS0_14default_configENS1_32segmented_reduce_config_selectorIN3c108BFloat16EEEZNS1_21segmented_reduce_implIS3_PKS6_PS6_PKlS6_N6hipcub16HIPCUB_304000_NS6detail27convert_result_type_wrapperISA_SB_N2at6native12_GLOBAL__N_19CustomMaxEEEEE10hipError_tPvRmT0_T1_jT2_SS_T4_T3_P12ihipStream_tbEUlT_E_NS1_11comp_targetILNS1_3genE0ELNS1_11target_archE4294967295ELNS1_3gpuE0ELNS1_3repE0EEENS1_30default_config_static_selectorELNS0_4arch9wavefront6targetE1EEEvSR_.private_seg_size, 0
	.set _ZN7rocprim17ROCPRIM_400000_NS6detail17trampoline_kernelINS0_14default_configENS1_32segmented_reduce_config_selectorIN3c108BFloat16EEEZNS1_21segmented_reduce_implIS3_PKS6_PS6_PKlS6_N6hipcub16HIPCUB_304000_NS6detail27convert_result_type_wrapperISA_SB_N2at6native12_GLOBAL__N_19CustomMaxEEEEE10hipError_tPvRmT0_T1_jT2_SS_T4_T3_P12ihipStream_tbEUlT_E_NS1_11comp_targetILNS1_3genE0ELNS1_11target_archE4294967295ELNS1_3gpuE0ELNS1_3repE0EEENS1_30default_config_static_selectorELNS0_4arch9wavefront6targetE1EEEvSR_.uses_vcc, 0
	.set _ZN7rocprim17ROCPRIM_400000_NS6detail17trampoline_kernelINS0_14default_configENS1_32segmented_reduce_config_selectorIN3c108BFloat16EEEZNS1_21segmented_reduce_implIS3_PKS6_PS6_PKlS6_N6hipcub16HIPCUB_304000_NS6detail27convert_result_type_wrapperISA_SB_N2at6native12_GLOBAL__N_19CustomMaxEEEEE10hipError_tPvRmT0_T1_jT2_SS_T4_T3_P12ihipStream_tbEUlT_E_NS1_11comp_targetILNS1_3genE0ELNS1_11target_archE4294967295ELNS1_3gpuE0ELNS1_3repE0EEENS1_30default_config_static_selectorELNS0_4arch9wavefront6targetE1EEEvSR_.uses_flat_scratch, 0
	.set _ZN7rocprim17ROCPRIM_400000_NS6detail17trampoline_kernelINS0_14default_configENS1_32segmented_reduce_config_selectorIN3c108BFloat16EEEZNS1_21segmented_reduce_implIS3_PKS6_PS6_PKlS6_N6hipcub16HIPCUB_304000_NS6detail27convert_result_type_wrapperISA_SB_N2at6native12_GLOBAL__N_19CustomMaxEEEEE10hipError_tPvRmT0_T1_jT2_SS_T4_T3_P12ihipStream_tbEUlT_E_NS1_11comp_targetILNS1_3genE0ELNS1_11target_archE4294967295ELNS1_3gpuE0ELNS1_3repE0EEENS1_30default_config_static_selectorELNS0_4arch9wavefront6targetE1EEEvSR_.has_dyn_sized_stack, 0
	.set _ZN7rocprim17ROCPRIM_400000_NS6detail17trampoline_kernelINS0_14default_configENS1_32segmented_reduce_config_selectorIN3c108BFloat16EEEZNS1_21segmented_reduce_implIS3_PKS6_PS6_PKlS6_N6hipcub16HIPCUB_304000_NS6detail27convert_result_type_wrapperISA_SB_N2at6native12_GLOBAL__N_19CustomMaxEEEEE10hipError_tPvRmT0_T1_jT2_SS_T4_T3_P12ihipStream_tbEUlT_E_NS1_11comp_targetILNS1_3genE0ELNS1_11target_archE4294967295ELNS1_3gpuE0ELNS1_3repE0EEENS1_30default_config_static_selectorELNS0_4arch9wavefront6targetE1EEEvSR_.has_recursion, 0
	.set _ZN7rocprim17ROCPRIM_400000_NS6detail17trampoline_kernelINS0_14default_configENS1_32segmented_reduce_config_selectorIN3c108BFloat16EEEZNS1_21segmented_reduce_implIS3_PKS6_PS6_PKlS6_N6hipcub16HIPCUB_304000_NS6detail27convert_result_type_wrapperISA_SB_N2at6native12_GLOBAL__N_19CustomMaxEEEEE10hipError_tPvRmT0_T1_jT2_SS_T4_T3_P12ihipStream_tbEUlT_E_NS1_11comp_targetILNS1_3genE0ELNS1_11target_archE4294967295ELNS1_3gpuE0ELNS1_3repE0EEENS1_30default_config_static_selectorELNS0_4arch9wavefront6targetE1EEEvSR_.has_indirect_call, 0
	.section	.AMDGPU.csdata,"",@progbits
; Kernel info:
; codeLenInByte = 0
; TotalNumSgprs: 4
; NumVgprs: 0
; ScratchSize: 0
; MemoryBound: 0
; FloatMode: 240
; IeeeMode: 1
; LDSByteSize: 0 bytes/workgroup (compile time only)
; SGPRBlocks: 0
; VGPRBlocks: 0
; NumSGPRsForWavesPerEU: 4
; NumVGPRsForWavesPerEU: 1
; Occupancy: 10
; WaveLimiterHint : 0
; COMPUTE_PGM_RSRC2:SCRATCH_EN: 0
; COMPUTE_PGM_RSRC2:USER_SGPR: 6
; COMPUTE_PGM_RSRC2:TRAP_HANDLER: 0
; COMPUTE_PGM_RSRC2:TGID_X_EN: 1
; COMPUTE_PGM_RSRC2:TGID_Y_EN: 0
; COMPUTE_PGM_RSRC2:TGID_Z_EN: 0
; COMPUTE_PGM_RSRC2:TIDIG_COMP_CNT: 0
	.section	.text._ZN7rocprim17ROCPRIM_400000_NS6detail17trampoline_kernelINS0_14default_configENS1_32segmented_reduce_config_selectorIN3c108BFloat16EEEZNS1_21segmented_reduce_implIS3_PKS6_PS6_PKlS6_N6hipcub16HIPCUB_304000_NS6detail27convert_result_type_wrapperISA_SB_N2at6native12_GLOBAL__N_19CustomMaxEEEEE10hipError_tPvRmT0_T1_jT2_SS_T4_T3_P12ihipStream_tbEUlT_E_NS1_11comp_targetILNS1_3genE5ELNS1_11target_archE942ELNS1_3gpuE9ELNS1_3repE0EEENS1_30default_config_static_selectorELNS0_4arch9wavefront6targetE1EEEvSR_,"axG",@progbits,_ZN7rocprim17ROCPRIM_400000_NS6detail17trampoline_kernelINS0_14default_configENS1_32segmented_reduce_config_selectorIN3c108BFloat16EEEZNS1_21segmented_reduce_implIS3_PKS6_PS6_PKlS6_N6hipcub16HIPCUB_304000_NS6detail27convert_result_type_wrapperISA_SB_N2at6native12_GLOBAL__N_19CustomMaxEEEEE10hipError_tPvRmT0_T1_jT2_SS_T4_T3_P12ihipStream_tbEUlT_E_NS1_11comp_targetILNS1_3genE5ELNS1_11target_archE942ELNS1_3gpuE9ELNS1_3repE0EEENS1_30default_config_static_selectorELNS0_4arch9wavefront6targetE1EEEvSR_,comdat
	.globl	_ZN7rocprim17ROCPRIM_400000_NS6detail17trampoline_kernelINS0_14default_configENS1_32segmented_reduce_config_selectorIN3c108BFloat16EEEZNS1_21segmented_reduce_implIS3_PKS6_PS6_PKlS6_N6hipcub16HIPCUB_304000_NS6detail27convert_result_type_wrapperISA_SB_N2at6native12_GLOBAL__N_19CustomMaxEEEEE10hipError_tPvRmT0_T1_jT2_SS_T4_T3_P12ihipStream_tbEUlT_E_NS1_11comp_targetILNS1_3genE5ELNS1_11target_archE942ELNS1_3gpuE9ELNS1_3repE0EEENS1_30default_config_static_selectorELNS0_4arch9wavefront6targetE1EEEvSR_ ; -- Begin function _ZN7rocprim17ROCPRIM_400000_NS6detail17trampoline_kernelINS0_14default_configENS1_32segmented_reduce_config_selectorIN3c108BFloat16EEEZNS1_21segmented_reduce_implIS3_PKS6_PS6_PKlS6_N6hipcub16HIPCUB_304000_NS6detail27convert_result_type_wrapperISA_SB_N2at6native12_GLOBAL__N_19CustomMaxEEEEE10hipError_tPvRmT0_T1_jT2_SS_T4_T3_P12ihipStream_tbEUlT_E_NS1_11comp_targetILNS1_3genE5ELNS1_11target_archE942ELNS1_3gpuE9ELNS1_3repE0EEENS1_30default_config_static_selectorELNS0_4arch9wavefront6targetE1EEEvSR_
	.p2align	8
	.type	_ZN7rocprim17ROCPRIM_400000_NS6detail17trampoline_kernelINS0_14default_configENS1_32segmented_reduce_config_selectorIN3c108BFloat16EEEZNS1_21segmented_reduce_implIS3_PKS6_PS6_PKlS6_N6hipcub16HIPCUB_304000_NS6detail27convert_result_type_wrapperISA_SB_N2at6native12_GLOBAL__N_19CustomMaxEEEEE10hipError_tPvRmT0_T1_jT2_SS_T4_T3_P12ihipStream_tbEUlT_E_NS1_11comp_targetILNS1_3genE5ELNS1_11target_archE942ELNS1_3gpuE9ELNS1_3repE0EEENS1_30default_config_static_selectorELNS0_4arch9wavefront6targetE1EEEvSR_,@function
_ZN7rocprim17ROCPRIM_400000_NS6detail17trampoline_kernelINS0_14default_configENS1_32segmented_reduce_config_selectorIN3c108BFloat16EEEZNS1_21segmented_reduce_implIS3_PKS6_PS6_PKlS6_N6hipcub16HIPCUB_304000_NS6detail27convert_result_type_wrapperISA_SB_N2at6native12_GLOBAL__N_19CustomMaxEEEEE10hipError_tPvRmT0_T1_jT2_SS_T4_T3_P12ihipStream_tbEUlT_E_NS1_11comp_targetILNS1_3genE5ELNS1_11target_archE942ELNS1_3gpuE9ELNS1_3repE0EEENS1_30default_config_static_selectorELNS0_4arch9wavefront6targetE1EEEvSR_: ; @_ZN7rocprim17ROCPRIM_400000_NS6detail17trampoline_kernelINS0_14default_configENS1_32segmented_reduce_config_selectorIN3c108BFloat16EEEZNS1_21segmented_reduce_implIS3_PKS6_PS6_PKlS6_N6hipcub16HIPCUB_304000_NS6detail27convert_result_type_wrapperISA_SB_N2at6native12_GLOBAL__N_19CustomMaxEEEEE10hipError_tPvRmT0_T1_jT2_SS_T4_T3_P12ihipStream_tbEUlT_E_NS1_11comp_targetILNS1_3genE5ELNS1_11target_archE942ELNS1_3gpuE9ELNS1_3repE0EEENS1_30default_config_static_selectorELNS0_4arch9wavefront6targetE1EEEvSR_
; %bb.0:
	.section	.rodata,"a",@progbits
	.p2align	6, 0x0
	.amdhsa_kernel _ZN7rocprim17ROCPRIM_400000_NS6detail17trampoline_kernelINS0_14default_configENS1_32segmented_reduce_config_selectorIN3c108BFloat16EEEZNS1_21segmented_reduce_implIS3_PKS6_PS6_PKlS6_N6hipcub16HIPCUB_304000_NS6detail27convert_result_type_wrapperISA_SB_N2at6native12_GLOBAL__N_19CustomMaxEEEEE10hipError_tPvRmT0_T1_jT2_SS_T4_T3_P12ihipStream_tbEUlT_E_NS1_11comp_targetILNS1_3genE5ELNS1_11target_archE942ELNS1_3gpuE9ELNS1_3repE0EEENS1_30default_config_static_selectorELNS0_4arch9wavefront6targetE1EEEvSR_
		.amdhsa_group_segment_fixed_size 0
		.amdhsa_private_segment_fixed_size 0
		.amdhsa_kernarg_size 48
		.amdhsa_user_sgpr_count 6
		.amdhsa_user_sgpr_private_segment_buffer 1
		.amdhsa_user_sgpr_dispatch_ptr 0
		.amdhsa_user_sgpr_queue_ptr 0
		.amdhsa_user_sgpr_kernarg_segment_ptr 1
		.amdhsa_user_sgpr_dispatch_id 0
		.amdhsa_user_sgpr_flat_scratch_init 0
		.amdhsa_user_sgpr_private_segment_size 0
		.amdhsa_uses_dynamic_stack 0
		.amdhsa_system_sgpr_private_segment_wavefront_offset 0
		.amdhsa_system_sgpr_workgroup_id_x 1
		.amdhsa_system_sgpr_workgroup_id_y 0
		.amdhsa_system_sgpr_workgroup_id_z 0
		.amdhsa_system_sgpr_workgroup_info 0
		.amdhsa_system_vgpr_workitem_id 0
		.amdhsa_next_free_vgpr 1
		.amdhsa_next_free_sgpr 0
		.amdhsa_reserve_vcc 0
		.amdhsa_reserve_flat_scratch 0
		.amdhsa_float_round_mode_32 0
		.amdhsa_float_round_mode_16_64 0
		.amdhsa_float_denorm_mode_32 3
		.amdhsa_float_denorm_mode_16_64 3
		.amdhsa_dx10_clamp 1
		.amdhsa_ieee_mode 1
		.amdhsa_fp16_overflow 0
		.amdhsa_exception_fp_ieee_invalid_op 0
		.amdhsa_exception_fp_denorm_src 0
		.amdhsa_exception_fp_ieee_div_zero 0
		.amdhsa_exception_fp_ieee_overflow 0
		.amdhsa_exception_fp_ieee_underflow 0
		.amdhsa_exception_fp_ieee_inexact 0
		.amdhsa_exception_int_div_zero 0
	.end_amdhsa_kernel
	.section	.text._ZN7rocprim17ROCPRIM_400000_NS6detail17trampoline_kernelINS0_14default_configENS1_32segmented_reduce_config_selectorIN3c108BFloat16EEEZNS1_21segmented_reduce_implIS3_PKS6_PS6_PKlS6_N6hipcub16HIPCUB_304000_NS6detail27convert_result_type_wrapperISA_SB_N2at6native12_GLOBAL__N_19CustomMaxEEEEE10hipError_tPvRmT0_T1_jT2_SS_T4_T3_P12ihipStream_tbEUlT_E_NS1_11comp_targetILNS1_3genE5ELNS1_11target_archE942ELNS1_3gpuE9ELNS1_3repE0EEENS1_30default_config_static_selectorELNS0_4arch9wavefront6targetE1EEEvSR_,"axG",@progbits,_ZN7rocprim17ROCPRIM_400000_NS6detail17trampoline_kernelINS0_14default_configENS1_32segmented_reduce_config_selectorIN3c108BFloat16EEEZNS1_21segmented_reduce_implIS3_PKS6_PS6_PKlS6_N6hipcub16HIPCUB_304000_NS6detail27convert_result_type_wrapperISA_SB_N2at6native12_GLOBAL__N_19CustomMaxEEEEE10hipError_tPvRmT0_T1_jT2_SS_T4_T3_P12ihipStream_tbEUlT_E_NS1_11comp_targetILNS1_3genE5ELNS1_11target_archE942ELNS1_3gpuE9ELNS1_3repE0EEENS1_30default_config_static_selectorELNS0_4arch9wavefront6targetE1EEEvSR_,comdat
.Lfunc_end248:
	.size	_ZN7rocprim17ROCPRIM_400000_NS6detail17trampoline_kernelINS0_14default_configENS1_32segmented_reduce_config_selectorIN3c108BFloat16EEEZNS1_21segmented_reduce_implIS3_PKS6_PS6_PKlS6_N6hipcub16HIPCUB_304000_NS6detail27convert_result_type_wrapperISA_SB_N2at6native12_GLOBAL__N_19CustomMaxEEEEE10hipError_tPvRmT0_T1_jT2_SS_T4_T3_P12ihipStream_tbEUlT_E_NS1_11comp_targetILNS1_3genE5ELNS1_11target_archE942ELNS1_3gpuE9ELNS1_3repE0EEENS1_30default_config_static_selectorELNS0_4arch9wavefront6targetE1EEEvSR_, .Lfunc_end248-_ZN7rocprim17ROCPRIM_400000_NS6detail17trampoline_kernelINS0_14default_configENS1_32segmented_reduce_config_selectorIN3c108BFloat16EEEZNS1_21segmented_reduce_implIS3_PKS6_PS6_PKlS6_N6hipcub16HIPCUB_304000_NS6detail27convert_result_type_wrapperISA_SB_N2at6native12_GLOBAL__N_19CustomMaxEEEEE10hipError_tPvRmT0_T1_jT2_SS_T4_T3_P12ihipStream_tbEUlT_E_NS1_11comp_targetILNS1_3genE5ELNS1_11target_archE942ELNS1_3gpuE9ELNS1_3repE0EEENS1_30default_config_static_selectorELNS0_4arch9wavefront6targetE1EEEvSR_
                                        ; -- End function
	.set _ZN7rocprim17ROCPRIM_400000_NS6detail17trampoline_kernelINS0_14default_configENS1_32segmented_reduce_config_selectorIN3c108BFloat16EEEZNS1_21segmented_reduce_implIS3_PKS6_PS6_PKlS6_N6hipcub16HIPCUB_304000_NS6detail27convert_result_type_wrapperISA_SB_N2at6native12_GLOBAL__N_19CustomMaxEEEEE10hipError_tPvRmT0_T1_jT2_SS_T4_T3_P12ihipStream_tbEUlT_E_NS1_11comp_targetILNS1_3genE5ELNS1_11target_archE942ELNS1_3gpuE9ELNS1_3repE0EEENS1_30default_config_static_selectorELNS0_4arch9wavefront6targetE1EEEvSR_.num_vgpr, 0
	.set _ZN7rocprim17ROCPRIM_400000_NS6detail17trampoline_kernelINS0_14default_configENS1_32segmented_reduce_config_selectorIN3c108BFloat16EEEZNS1_21segmented_reduce_implIS3_PKS6_PS6_PKlS6_N6hipcub16HIPCUB_304000_NS6detail27convert_result_type_wrapperISA_SB_N2at6native12_GLOBAL__N_19CustomMaxEEEEE10hipError_tPvRmT0_T1_jT2_SS_T4_T3_P12ihipStream_tbEUlT_E_NS1_11comp_targetILNS1_3genE5ELNS1_11target_archE942ELNS1_3gpuE9ELNS1_3repE0EEENS1_30default_config_static_selectorELNS0_4arch9wavefront6targetE1EEEvSR_.num_agpr, 0
	.set _ZN7rocprim17ROCPRIM_400000_NS6detail17trampoline_kernelINS0_14default_configENS1_32segmented_reduce_config_selectorIN3c108BFloat16EEEZNS1_21segmented_reduce_implIS3_PKS6_PS6_PKlS6_N6hipcub16HIPCUB_304000_NS6detail27convert_result_type_wrapperISA_SB_N2at6native12_GLOBAL__N_19CustomMaxEEEEE10hipError_tPvRmT0_T1_jT2_SS_T4_T3_P12ihipStream_tbEUlT_E_NS1_11comp_targetILNS1_3genE5ELNS1_11target_archE942ELNS1_3gpuE9ELNS1_3repE0EEENS1_30default_config_static_selectorELNS0_4arch9wavefront6targetE1EEEvSR_.numbered_sgpr, 0
	.set _ZN7rocprim17ROCPRIM_400000_NS6detail17trampoline_kernelINS0_14default_configENS1_32segmented_reduce_config_selectorIN3c108BFloat16EEEZNS1_21segmented_reduce_implIS3_PKS6_PS6_PKlS6_N6hipcub16HIPCUB_304000_NS6detail27convert_result_type_wrapperISA_SB_N2at6native12_GLOBAL__N_19CustomMaxEEEEE10hipError_tPvRmT0_T1_jT2_SS_T4_T3_P12ihipStream_tbEUlT_E_NS1_11comp_targetILNS1_3genE5ELNS1_11target_archE942ELNS1_3gpuE9ELNS1_3repE0EEENS1_30default_config_static_selectorELNS0_4arch9wavefront6targetE1EEEvSR_.num_named_barrier, 0
	.set _ZN7rocprim17ROCPRIM_400000_NS6detail17trampoline_kernelINS0_14default_configENS1_32segmented_reduce_config_selectorIN3c108BFloat16EEEZNS1_21segmented_reduce_implIS3_PKS6_PS6_PKlS6_N6hipcub16HIPCUB_304000_NS6detail27convert_result_type_wrapperISA_SB_N2at6native12_GLOBAL__N_19CustomMaxEEEEE10hipError_tPvRmT0_T1_jT2_SS_T4_T3_P12ihipStream_tbEUlT_E_NS1_11comp_targetILNS1_3genE5ELNS1_11target_archE942ELNS1_3gpuE9ELNS1_3repE0EEENS1_30default_config_static_selectorELNS0_4arch9wavefront6targetE1EEEvSR_.private_seg_size, 0
	.set _ZN7rocprim17ROCPRIM_400000_NS6detail17trampoline_kernelINS0_14default_configENS1_32segmented_reduce_config_selectorIN3c108BFloat16EEEZNS1_21segmented_reduce_implIS3_PKS6_PS6_PKlS6_N6hipcub16HIPCUB_304000_NS6detail27convert_result_type_wrapperISA_SB_N2at6native12_GLOBAL__N_19CustomMaxEEEEE10hipError_tPvRmT0_T1_jT2_SS_T4_T3_P12ihipStream_tbEUlT_E_NS1_11comp_targetILNS1_3genE5ELNS1_11target_archE942ELNS1_3gpuE9ELNS1_3repE0EEENS1_30default_config_static_selectorELNS0_4arch9wavefront6targetE1EEEvSR_.uses_vcc, 0
	.set _ZN7rocprim17ROCPRIM_400000_NS6detail17trampoline_kernelINS0_14default_configENS1_32segmented_reduce_config_selectorIN3c108BFloat16EEEZNS1_21segmented_reduce_implIS3_PKS6_PS6_PKlS6_N6hipcub16HIPCUB_304000_NS6detail27convert_result_type_wrapperISA_SB_N2at6native12_GLOBAL__N_19CustomMaxEEEEE10hipError_tPvRmT0_T1_jT2_SS_T4_T3_P12ihipStream_tbEUlT_E_NS1_11comp_targetILNS1_3genE5ELNS1_11target_archE942ELNS1_3gpuE9ELNS1_3repE0EEENS1_30default_config_static_selectorELNS0_4arch9wavefront6targetE1EEEvSR_.uses_flat_scratch, 0
	.set _ZN7rocprim17ROCPRIM_400000_NS6detail17trampoline_kernelINS0_14default_configENS1_32segmented_reduce_config_selectorIN3c108BFloat16EEEZNS1_21segmented_reduce_implIS3_PKS6_PS6_PKlS6_N6hipcub16HIPCUB_304000_NS6detail27convert_result_type_wrapperISA_SB_N2at6native12_GLOBAL__N_19CustomMaxEEEEE10hipError_tPvRmT0_T1_jT2_SS_T4_T3_P12ihipStream_tbEUlT_E_NS1_11comp_targetILNS1_3genE5ELNS1_11target_archE942ELNS1_3gpuE9ELNS1_3repE0EEENS1_30default_config_static_selectorELNS0_4arch9wavefront6targetE1EEEvSR_.has_dyn_sized_stack, 0
	.set _ZN7rocprim17ROCPRIM_400000_NS6detail17trampoline_kernelINS0_14default_configENS1_32segmented_reduce_config_selectorIN3c108BFloat16EEEZNS1_21segmented_reduce_implIS3_PKS6_PS6_PKlS6_N6hipcub16HIPCUB_304000_NS6detail27convert_result_type_wrapperISA_SB_N2at6native12_GLOBAL__N_19CustomMaxEEEEE10hipError_tPvRmT0_T1_jT2_SS_T4_T3_P12ihipStream_tbEUlT_E_NS1_11comp_targetILNS1_3genE5ELNS1_11target_archE942ELNS1_3gpuE9ELNS1_3repE0EEENS1_30default_config_static_selectorELNS0_4arch9wavefront6targetE1EEEvSR_.has_recursion, 0
	.set _ZN7rocprim17ROCPRIM_400000_NS6detail17trampoline_kernelINS0_14default_configENS1_32segmented_reduce_config_selectorIN3c108BFloat16EEEZNS1_21segmented_reduce_implIS3_PKS6_PS6_PKlS6_N6hipcub16HIPCUB_304000_NS6detail27convert_result_type_wrapperISA_SB_N2at6native12_GLOBAL__N_19CustomMaxEEEEE10hipError_tPvRmT0_T1_jT2_SS_T4_T3_P12ihipStream_tbEUlT_E_NS1_11comp_targetILNS1_3genE5ELNS1_11target_archE942ELNS1_3gpuE9ELNS1_3repE0EEENS1_30default_config_static_selectorELNS0_4arch9wavefront6targetE1EEEvSR_.has_indirect_call, 0
	.section	.AMDGPU.csdata,"",@progbits
; Kernel info:
; codeLenInByte = 0
; TotalNumSgprs: 4
; NumVgprs: 0
; ScratchSize: 0
; MemoryBound: 0
; FloatMode: 240
; IeeeMode: 1
; LDSByteSize: 0 bytes/workgroup (compile time only)
; SGPRBlocks: 0
; VGPRBlocks: 0
; NumSGPRsForWavesPerEU: 4
; NumVGPRsForWavesPerEU: 1
; Occupancy: 10
; WaveLimiterHint : 0
; COMPUTE_PGM_RSRC2:SCRATCH_EN: 0
; COMPUTE_PGM_RSRC2:USER_SGPR: 6
; COMPUTE_PGM_RSRC2:TRAP_HANDLER: 0
; COMPUTE_PGM_RSRC2:TGID_X_EN: 1
; COMPUTE_PGM_RSRC2:TGID_Y_EN: 0
; COMPUTE_PGM_RSRC2:TGID_Z_EN: 0
; COMPUTE_PGM_RSRC2:TIDIG_COMP_CNT: 0
	.section	.text._ZN7rocprim17ROCPRIM_400000_NS6detail17trampoline_kernelINS0_14default_configENS1_32segmented_reduce_config_selectorIN3c108BFloat16EEEZNS1_21segmented_reduce_implIS3_PKS6_PS6_PKlS6_N6hipcub16HIPCUB_304000_NS6detail27convert_result_type_wrapperISA_SB_N2at6native12_GLOBAL__N_19CustomMaxEEEEE10hipError_tPvRmT0_T1_jT2_SS_T4_T3_P12ihipStream_tbEUlT_E_NS1_11comp_targetILNS1_3genE10ELNS1_11target_archE1201ELNS1_3gpuE5ELNS1_3repE0EEENS1_30default_config_static_selectorELNS0_4arch9wavefront6targetE1EEEvSR_,"axG",@progbits,_ZN7rocprim17ROCPRIM_400000_NS6detail17trampoline_kernelINS0_14default_configENS1_32segmented_reduce_config_selectorIN3c108BFloat16EEEZNS1_21segmented_reduce_implIS3_PKS6_PS6_PKlS6_N6hipcub16HIPCUB_304000_NS6detail27convert_result_type_wrapperISA_SB_N2at6native12_GLOBAL__N_19CustomMaxEEEEE10hipError_tPvRmT0_T1_jT2_SS_T4_T3_P12ihipStream_tbEUlT_E_NS1_11comp_targetILNS1_3genE10ELNS1_11target_archE1201ELNS1_3gpuE5ELNS1_3repE0EEENS1_30default_config_static_selectorELNS0_4arch9wavefront6targetE1EEEvSR_,comdat
	.globl	_ZN7rocprim17ROCPRIM_400000_NS6detail17trampoline_kernelINS0_14default_configENS1_32segmented_reduce_config_selectorIN3c108BFloat16EEEZNS1_21segmented_reduce_implIS3_PKS6_PS6_PKlS6_N6hipcub16HIPCUB_304000_NS6detail27convert_result_type_wrapperISA_SB_N2at6native12_GLOBAL__N_19CustomMaxEEEEE10hipError_tPvRmT0_T1_jT2_SS_T4_T3_P12ihipStream_tbEUlT_E_NS1_11comp_targetILNS1_3genE10ELNS1_11target_archE1201ELNS1_3gpuE5ELNS1_3repE0EEENS1_30default_config_static_selectorELNS0_4arch9wavefront6targetE1EEEvSR_ ; -- Begin function _ZN7rocprim17ROCPRIM_400000_NS6detail17trampoline_kernelINS0_14default_configENS1_32segmented_reduce_config_selectorIN3c108BFloat16EEEZNS1_21segmented_reduce_implIS3_PKS6_PS6_PKlS6_N6hipcub16HIPCUB_304000_NS6detail27convert_result_type_wrapperISA_SB_N2at6native12_GLOBAL__N_19CustomMaxEEEEE10hipError_tPvRmT0_T1_jT2_SS_T4_T3_P12ihipStream_tbEUlT_E_NS1_11comp_targetILNS1_3genE10ELNS1_11target_archE1201ELNS1_3gpuE5ELNS1_3repE0EEENS1_30default_config_static_selectorELNS0_4arch9wavefront6targetE1EEEvSR_
	.p2align	8
	.type	_ZN7rocprim17ROCPRIM_400000_NS6detail17trampoline_kernelINS0_14default_configENS1_32segmented_reduce_config_selectorIN3c108BFloat16EEEZNS1_21segmented_reduce_implIS3_PKS6_PS6_PKlS6_N6hipcub16HIPCUB_304000_NS6detail27convert_result_type_wrapperISA_SB_N2at6native12_GLOBAL__N_19CustomMaxEEEEE10hipError_tPvRmT0_T1_jT2_SS_T4_T3_P12ihipStream_tbEUlT_E_NS1_11comp_targetILNS1_3genE10ELNS1_11target_archE1201ELNS1_3gpuE5ELNS1_3repE0EEENS1_30default_config_static_selectorELNS0_4arch9wavefront6targetE1EEEvSR_,@function
_ZN7rocprim17ROCPRIM_400000_NS6detail17trampoline_kernelINS0_14default_configENS1_32segmented_reduce_config_selectorIN3c108BFloat16EEEZNS1_21segmented_reduce_implIS3_PKS6_PS6_PKlS6_N6hipcub16HIPCUB_304000_NS6detail27convert_result_type_wrapperISA_SB_N2at6native12_GLOBAL__N_19CustomMaxEEEEE10hipError_tPvRmT0_T1_jT2_SS_T4_T3_P12ihipStream_tbEUlT_E_NS1_11comp_targetILNS1_3genE10ELNS1_11target_archE1201ELNS1_3gpuE5ELNS1_3repE0EEENS1_30default_config_static_selectorELNS0_4arch9wavefront6targetE1EEEvSR_: ; @_ZN7rocprim17ROCPRIM_400000_NS6detail17trampoline_kernelINS0_14default_configENS1_32segmented_reduce_config_selectorIN3c108BFloat16EEEZNS1_21segmented_reduce_implIS3_PKS6_PS6_PKlS6_N6hipcub16HIPCUB_304000_NS6detail27convert_result_type_wrapperISA_SB_N2at6native12_GLOBAL__N_19CustomMaxEEEEE10hipError_tPvRmT0_T1_jT2_SS_T4_T3_P12ihipStream_tbEUlT_E_NS1_11comp_targetILNS1_3genE10ELNS1_11target_archE1201ELNS1_3gpuE5ELNS1_3repE0EEENS1_30default_config_static_selectorELNS0_4arch9wavefront6targetE1EEEvSR_
; %bb.0:
	.section	.rodata,"a",@progbits
	.p2align	6, 0x0
	.amdhsa_kernel _ZN7rocprim17ROCPRIM_400000_NS6detail17trampoline_kernelINS0_14default_configENS1_32segmented_reduce_config_selectorIN3c108BFloat16EEEZNS1_21segmented_reduce_implIS3_PKS6_PS6_PKlS6_N6hipcub16HIPCUB_304000_NS6detail27convert_result_type_wrapperISA_SB_N2at6native12_GLOBAL__N_19CustomMaxEEEEE10hipError_tPvRmT0_T1_jT2_SS_T4_T3_P12ihipStream_tbEUlT_E_NS1_11comp_targetILNS1_3genE10ELNS1_11target_archE1201ELNS1_3gpuE5ELNS1_3repE0EEENS1_30default_config_static_selectorELNS0_4arch9wavefront6targetE1EEEvSR_
		.amdhsa_group_segment_fixed_size 0
		.amdhsa_private_segment_fixed_size 0
		.amdhsa_kernarg_size 48
		.amdhsa_user_sgpr_count 6
		.amdhsa_user_sgpr_private_segment_buffer 1
		.amdhsa_user_sgpr_dispatch_ptr 0
		.amdhsa_user_sgpr_queue_ptr 0
		.amdhsa_user_sgpr_kernarg_segment_ptr 1
		.amdhsa_user_sgpr_dispatch_id 0
		.amdhsa_user_sgpr_flat_scratch_init 0
		.amdhsa_user_sgpr_private_segment_size 0
		.amdhsa_uses_dynamic_stack 0
		.amdhsa_system_sgpr_private_segment_wavefront_offset 0
		.amdhsa_system_sgpr_workgroup_id_x 1
		.amdhsa_system_sgpr_workgroup_id_y 0
		.amdhsa_system_sgpr_workgroup_id_z 0
		.amdhsa_system_sgpr_workgroup_info 0
		.amdhsa_system_vgpr_workitem_id 0
		.amdhsa_next_free_vgpr 1
		.amdhsa_next_free_sgpr 0
		.amdhsa_reserve_vcc 0
		.amdhsa_reserve_flat_scratch 0
		.amdhsa_float_round_mode_32 0
		.amdhsa_float_round_mode_16_64 0
		.amdhsa_float_denorm_mode_32 3
		.amdhsa_float_denorm_mode_16_64 3
		.amdhsa_dx10_clamp 1
		.amdhsa_ieee_mode 1
		.amdhsa_fp16_overflow 0
		.amdhsa_exception_fp_ieee_invalid_op 0
		.amdhsa_exception_fp_denorm_src 0
		.amdhsa_exception_fp_ieee_div_zero 0
		.amdhsa_exception_fp_ieee_overflow 0
		.amdhsa_exception_fp_ieee_underflow 0
		.amdhsa_exception_fp_ieee_inexact 0
		.amdhsa_exception_int_div_zero 0
	.end_amdhsa_kernel
	.section	.text._ZN7rocprim17ROCPRIM_400000_NS6detail17trampoline_kernelINS0_14default_configENS1_32segmented_reduce_config_selectorIN3c108BFloat16EEEZNS1_21segmented_reduce_implIS3_PKS6_PS6_PKlS6_N6hipcub16HIPCUB_304000_NS6detail27convert_result_type_wrapperISA_SB_N2at6native12_GLOBAL__N_19CustomMaxEEEEE10hipError_tPvRmT0_T1_jT2_SS_T4_T3_P12ihipStream_tbEUlT_E_NS1_11comp_targetILNS1_3genE10ELNS1_11target_archE1201ELNS1_3gpuE5ELNS1_3repE0EEENS1_30default_config_static_selectorELNS0_4arch9wavefront6targetE1EEEvSR_,"axG",@progbits,_ZN7rocprim17ROCPRIM_400000_NS6detail17trampoline_kernelINS0_14default_configENS1_32segmented_reduce_config_selectorIN3c108BFloat16EEEZNS1_21segmented_reduce_implIS3_PKS6_PS6_PKlS6_N6hipcub16HIPCUB_304000_NS6detail27convert_result_type_wrapperISA_SB_N2at6native12_GLOBAL__N_19CustomMaxEEEEE10hipError_tPvRmT0_T1_jT2_SS_T4_T3_P12ihipStream_tbEUlT_E_NS1_11comp_targetILNS1_3genE10ELNS1_11target_archE1201ELNS1_3gpuE5ELNS1_3repE0EEENS1_30default_config_static_selectorELNS0_4arch9wavefront6targetE1EEEvSR_,comdat
.Lfunc_end249:
	.size	_ZN7rocprim17ROCPRIM_400000_NS6detail17trampoline_kernelINS0_14default_configENS1_32segmented_reduce_config_selectorIN3c108BFloat16EEEZNS1_21segmented_reduce_implIS3_PKS6_PS6_PKlS6_N6hipcub16HIPCUB_304000_NS6detail27convert_result_type_wrapperISA_SB_N2at6native12_GLOBAL__N_19CustomMaxEEEEE10hipError_tPvRmT0_T1_jT2_SS_T4_T3_P12ihipStream_tbEUlT_E_NS1_11comp_targetILNS1_3genE10ELNS1_11target_archE1201ELNS1_3gpuE5ELNS1_3repE0EEENS1_30default_config_static_selectorELNS0_4arch9wavefront6targetE1EEEvSR_, .Lfunc_end249-_ZN7rocprim17ROCPRIM_400000_NS6detail17trampoline_kernelINS0_14default_configENS1_32segmented_reduce_config_selectorIN3c108BFloat16EEEZNS1_21segmented_reduce_implIS3_PKS6_PS6_PKlS6_N6hipcub16HIPCUB_304000_NS6detail27convert_result_type_wrapperISA_SB_N2at6native12_GLOBAL__N_19CustomMaxEEEEE10hipError_tPvRmT0_T1_jT2_SS_T4_T3_P12ihipStream_tbEUlT_E_NS1_11comp_targetILNS1_3genE10ELNS1_11target_archE1201ELNS1_3gpuE5ELNS1_3repE0EEENS1_30default_config_static_selectorELNS0_4arch9wavefront6targetE1EEEvSR_
                                        ; -- End function
	.set _ZN7rocprim17ROCPRIM_400000_NS6detail17trampoline_kernelINS0_14default_configENS1_32segmented_reduce_config_selectorIN3c108BFloat16EEEZNS1_21segmented_reduce_implIS3_PKS6_PS6_PKlS6_N6hipcub16HIPCUB_304000_NS6detail27convert_result_type_wrapperISA_SB_N2at6native12_GLOBAL__N_19CustomMaxEEEEE10hipError_tPvRmT0_T1_jT2_SS_T4_T3_P12ihipStream_tbEUlT_E_NS1_11comp_targetILNS1_3genE10ELNS1_11target_archE1201ELNS1_3gpuE5ELNS1_3repE0EEENS1_30default_config_static_selectorELNS0_4arch9wavefront6targetE1EEEvSR_.num_vgpr, 0
	.set _ZN7rocprim17ROCPRIM_400000_NS6detail17trampoline_kernelINS0_14default_configENS1_32segmented_reduce_config_selectorIN3c108BFloat16EEEZNS1_21segmented_reduce_implIS3_PKS6_PS6_PKlS6_N6hipcub16HIPCUB_304000_NS6detail27convert_result_type_wrapperISA_SB_N2at6native12_GLOBAL__N_19CustomMaxEEEEE10hipError_tPvRmT0_T1_jT2_SS_T4_T3_P12ihipStream_tbEUlT_E_NS1_11comp_targetILNS1_3genE10ELNS1_11target_archE1201ELNS1_3gpuE5ELNS1_3repE0EEENS1_30default_config_static_selectorELNS0_4arch9wavefront6targetE1EEEvSR_.num_agpr, 0
	.set _ZN7rocprim17ROCPRIM_400000_NS6detail17trampoline_kernelINS0_14default_configENS1_32segmented_reduce_config_selectorIN3c108BFloat16EEEZNS1_21segmented_reduce_implIS3_PKS6_PS6_PKlS6_N6hipcub16HIPCUB_304000_NS6detail27convert_result_type_wrapperISA_SB_N2at6native12_GLOBAL__N_19CustomMaxEEEEE10hipError_tPvRmT0_T1_jT2_SS_T4_T3_P12ihipStream_tbEUlT_E_NS1_11comp_targetILNS1_3genE10ELNS1_11target_archE1201ELNS1_3gpuE5ELNS1_3repE0EEENS1_30default_config_static_selectorELNS0_4arch9wavefront6targetE1EEEvSR_.numbered_sgpr, 0
	.set _ZN7rocprim17ROCPRIM_400000_NS6detail17trampoline_kernelINS0_14default_configENS1_32segmented_reduce_config_selectorIN3c108BFloat16EEEZNS1_21segmented_reduce_implIS3_PKS6_PS6_PKlS6_N6hipcub16HIPCUB_304000_NS6detail27convert_result_type_wrapperISA_SB_N2at6native12_GLOBAL__N_19CustomMaxEEEEE10hipError_tPvRmT0_T1_jT2_SS_T4_T3_P12ihipStream_tbEUlT_E_NS1_11comp_targetILNS1_3genE10ELNS1_11target_archE1201ELNS1_3gpuE5ELNS1_3repE0EEENS1_30default_config_static_selectorELNS0_4arch9wavefront6targetE1EEEvSR_.num_named_barrier, 0
	.set _ZN7rocprim17ROCPRIM_400000_NS6detail17trampoline_kernelINS0_14default_configENS1_32segmented_reduce_config_selectorIN3c108BFloat16EEEZNS1_21segmented_reduce_implIS3_PKS6_PS6_PKlS6_N6hipcub16HIPCUB_304000_NS6detail27convert_result_type_wrapperISA_SB_N2at6native12_GLOBAL__N_19CustomMaxEEEEE10hipError_tPvRmT0_T1_jT2_SS_T4_T3_P12ihipStream_tbEUlT_E_NS1_11comp_targetILNS1_3genE10ELNS1_11target_archE1201ELNS1_3gpuE5ELNS1_3repE0EEENS1_30default_config_static_selectorELNS0_4arch9wavefront6targetE1EEEvSR_.private_seg_size, 0
	.set _ZN7rocprim17ROCPRIM_400000_NS6detail17trampoline_kernelINS0_14default_configENS1_32segmented_reduce_config_selectorIN3c108BFloat16EEEZNS1_21segmented_reduce_implIS3_PKS6_PS6_PKlS6_N6hipcub16HIPCUB_304000_NS6detail27convert_result_type_wrapperISA_SB_N2at6native12_GLOBAL__N_19CustomMaxEEEEE10hipError_tPvRmT0_T1_jT2_SS_T4_T3_P12ihipStream_tbEUlT_E_NS1_11comp_targetILNS1_3genE10ELNS1_11target_archE1201ELNS1_3gpuE5ELNS1_3repE0EEENS1_30default_config_static_selectorELNS0_4arch9wavefront6targetE1EEEvSR_.uses_vcc, 0
	.set _ZN7rocprim17ROCPRIM_400000_NS6detail17trampoline_kernelINS0_14default_configENS1_32segmented_reduce_config_selectorIN3c108BFloat16EEEZNS1_21segmented_reduce_implIS3_PKS6_PS6_PKlS6_N6hipcub16HIPCUB_304000_NS6detail27convert_result_type_wrapperISA_SB_N2at6native12_GLOBAL__N_19CustomMaxEEEEE10hipError_tPvRmT0_T1_jT2_SS_T4_T3_P12ihipStream_tbEUlT_E_NS1_11comp_targetILNS1_3genE10ELNS1_11target_archE1201ELNS1_3gpuE5ELNS1_3repE0EEENS1_30default_config_static_selectorELNS0_4arch9wavefront6targetE1EEEvSR_.uses_flat_scratch, 0
	.set _ZN7rocprim17ROCPRIM_400000_NS6detail17trampoline_kernelINS0_14default_configENS1_32segmented_reduce_config_selectorIN3c108BFloat16EEEZNS1_21segmented_reduce_implIS3_PKS6_PS6_PKlS6_N6hipcub16HIPCUB_304000_NS6detail27convert_result_type_wrapperISA_SB_N2at6native12_GLOBAL__N_19CustomMaxEEEEE10hipError_tPvRmT0_T1_jT2_SS_T4_T3_P12ihipStream_tbEUlT_E_NS1_11comp_targetILNS1_3genE10ELNS1_11target_archE1201ELNS1_3gpuE5ELNS1_3repE0EEENS1_30default_config_static_selectorELNS0_4arch9wavefront6targetE1EEEvSR_.has_dyn_sized_stack, 0
	.set _ZN7rocprim17ROCPRIM_400000_NS6detail17trampoline_kernelINS0_14default_configENS1_32segmented_reduce_config_selectorIN3c108BFloat16EEEZNS1_21segmented_reduce_implIS3_PKS6_PS6_PKlS6_N6hipcub16HIPCUB_304000_NS6detail27convert_result_type_wrapperISA_SB_N2at6native12_GLOBAL__N_19CustomMaxEEEEE10hipError_tPvRmT0_T1_jT2_SS_T4_T3_P12ihipStream_tbEUlT_E_NS1_11comp_targetILNS1_3genE10ELNS1_11target_archE1201ELNS1_3gpuE5ELNS1_3repE0EEENS1_30default_config_static_selectorELNS0_4arch9wavefront6targetE1EEEvSR_.has_recursion, 0
	.set _ZN7rocprim17ROCPRIM_400000_NS6detail17trampoline_kernelINS0_14default_configENS1_32segmented_reduce_config_selectorIN3c108BFloat16EEEZNS1_21segmented_reduce_implIS3_PKS6_PS6_PKlS6_N6hipcub16HIPCUB_304000_NS6detail27convert_result_type_wrapperISA_SB_N2at6native12_GLOBAL__N_19CustomMaxEEEEE10hipError_tPvRmT0_T1_jT2_SS_T4_T3_P12ihipStream_tbEUlT_E_NS1_11comp_targetILNS1_3genE10ELNS1_11target_archE1201ELNS1_3gpuE5ELNS1_3repE0EEENS1_30default_config_static_selectorELNS0_4arch9wavefront6targetE1EEEvSR_.has_indirect_call, 0
	.section	.AMDGPU.csdata,"",@progbits
; Kernel info:
; codeLenInByte = 0
; TotalNumSgprs: 4
; NumVgprs: 0
; ScratchSize: 0
; MemoryBound: 0
; FloatMode: 240
; IeeeMode: 1
; LDSByteSize: 0 bytes/workgroup (compile time only)
; SGPRBlocks: 0
; VGPRBlocks: 0
; NumSGPRsForWavesPerEU: 4
; NumVGPRsForWavesPerEU: 1
; Occupancy: 10
; WaveLimiterHint : 0
; COMPUTE_PGM_RSRC2:SCRATCH_EN: 0
; COMPUTE_PGM_RSRC2:USER_SGPR: 6
; COMPUTE_PGM_RSRC2:TRAP_HANDLER: 0
; COMPUTE_PGM_RSRC2:TGID_X_EN: 1
; COMPUTE_PGM_RSRC2:TGID_Y_EN: 0
; COMPUTE_PGM_RSRC2:TGID_Z_EN: 0
; COMPUTE_PGM_RSRC2:TIDIG_COMP_CNT: 0
	.section	.text._ZN7rocprim17ROCPRIM_400000_NS6detail17trampoline_kernelINS0_14default_configENS1_32segmented_reduce_config_selectorIN3c108BFloat16EEEZNS1_21segmented_reduce_implIS3_PKS6_PS6_PKlS6_N6hipcub16HIPCUB_304000_NS6detail27convert_result_type_wrapperISA_SB_N2at6native12_GLOBAL__N_19CustomMaxEEEEE10hipError_tPvRmT0_T1_jT2_SS_T4_T3_P12ihipStream_tbEUlT_E_NS1_11comp_targetILNS1_3genE4ELNS1_11target_archE910ELNS1_3gpuE8ELNS1_3repE0EEENS1_30default_config_static_selectorELNS0_4arch9wavefront6targetE1EEEvSR_,"axG",@progbits,_ZN7rocprim17ROCPRIM_400000_NS6detail17trampoline_kernelINS0_14default_configENS1_32segmented_reduce_config_selectorIN3c108BFloat16EEEZNS1_21segmented_reduce_implIS3_PKS6_PS6_PKlS6_N6hipcub16HIPCUB_304000_NS6detail27convert_result_type_wrapperISA_SB_N2at6native12_GLOBAL__N_19CustomMaxEEEEE10hipError_tPvRmT0_T1_jT2_SS_T4_T3_P12ihipStream_tbEUlT_E_NS1_11comp_targetILNS1_3genE4ELNS1_11target_archE910ELNS1_3gpuE8ELNS1_3repE0EEENS1_30default_config_static_selectorELNS0_4arch9wavefront6targetE1EEEvSR_,comdat
	.globl	_ZN7rocprim17ROCPRIM_400000_NS6detail17trampoline_kernelINS0_14default_configENS1_32segmented_reduce_config_selectorIN3c108BFloat16EEEZNS1_21segmented_reduce_implIS3_PKS6_PS6_PKlS6_N6hipcub16HIPCUB_304000_NS6detail27convert_result_type_wrapperISA_SB_N2at6native12_GLOBAL__N_19CustomMaxEEEEE10hipError_tPvRmT0_T1_jT2_SS_T4_T3_P12ihipStream_tbEUlT_E_NS1_11comp_targetILNS1_3genE4ELNS1_11target_archE910ELNS1_3gpuE8ELNS1_3repE0EEENS1_30default_config_static_selectorELNS0_4arch9wavefront6targetE1EEEvSR_ ; -- Begin function _ZN7rocprim17ROCPRIM_400000_NS6detail17trampoline_kernelINS0_14default_configENS1_32segmented_reduce_config_selectorIN3c108BFloat16EEEZNS1_21segmented_reduce_implIS3_PKS6_PS6_PKlS6_N6hipcub16HIPCUB_304000_NS6detail27convert_result_type_wrapperISA_SB_N2at6native12_GLOBAL__N_19CustomMaxEEEEE10hipError_tPvRmT0_T1_jT2_SS_T4_T3_P12ihipStream_tbEUlT_E_NS1_11comp_targetILNS1_3genE4ELNS1_11target_archE910ELNS1_3gpuE8ELNS1_3repE0EEENS1_30default_config_static_selectorELNS0_4arch9wavefront6targetE1EEEvSR_
	.p2align	8
	.type	_ZN7rocprim17ROCPRIM_400000_NS6detail17trampoline_kernelINS0_14default_configENS1_32segmented_reduce_config_selectorIN3c108BFloat16EEEZNS1_21segmented_reduce_implIS3_PKS6_PS6_PKlS6_N6hipcub16HIPCUB_304000_NS6detail27convert_result_type_wrapperISA_SB_N2at6native12_GLOBAL__N_19CustomMaxEEEEE10hipError_tPvRmT0_T1_jT2_SS_T4_T3_P12ihipStream_tbEUlT_E_NS1_11comp_targetILNS1_3genE4ELNS1_11target_archE910ELNS1_3gpuE8ELNS1_3repE0EEENS1_30default_config_static_selectorELNS0_4arch9wavefront6targetE1EEEvSR_,@function
_ZN7rocprim17ROCPRIM_400000_NS6detail17trampoline_kernelINS0_14default_configENS1_32segmented_reduce_config_selectorIN3c108BFloat16EEEZNS1_21segmented_reduce_implIS3_PKS6_PS6_PKlS6_N6hipcub16HIPCUB_304000_NS6detail27convert_result_type_wrapperISA_SB_N2at6native12_GLOBAL__N_19CustomMaxEEEEE10hipError_tPvRmT0_T1_jT2_SS_T4_T3_P12ihipStream_tbEUlT_E_NS1_11comp_targetILNS1_3genE4ELNS1_11target_archE910ELNS1_3gpuE8ELNS1_3repE0EEENS1_30default_config_static_selectorELNS0_4arch9wavefront6targetE1EEEvSR_: ; @_ZN7rocprim17ROCPRIM_400000_NS6detail17trampoline_kernelINS0_14default_configENS1_32segmented_reduce_config_selectorIN3c108BFloat16EEEZNS1_21segmented_reduce_implIS3_PKS6_PS6_PKlS6_N6hipcub16HIPCUB_304000_NS6detail27convert_result_type_wrapperISA_SB_N2at6native12_GLOBAL__N_19CustomMaxEEEEE10hipError_tPvRmT0_T1_jT2_SS_T4_T3_P12ihipStream_tbEUlT_E_NS1_11comp_targetILNS1_3genE4ELNS1_11target_archE910ELNS1_3gpuE8ELNS1_3repE0EEENS1_30default_config_static_selectorELNS0_4arch9wavefront6targetE1EEEvSR_
; %bb.0:
	.section	.rodata,"a",@progbits
	.p2align	6, 0x0
	.amdhsa_kernel _ZN7rocprim17ROCPRIM_400000_NS6detail17trampoline_kernelINS0_14default_configENS1_32segmented_reduce_config_selectorIN3c108BFloat16EEEZNS1_21segmented_reduce_implIS3_PKS6_PS6_PKlS6_N6hipcub16HIPCUB_304000_NS6detail27convert_result_type_wrapperISA_SB_N2at6native12_GLOBAL__N_19CustomMaxEEEEE10hipError_tPvRmT0_T1_jT2_SS_T4_T3_P12ihipStream_tbEUlT_E_NS1_11comp_targetILNS1_3genE4ELNS1_11target_archE910ELNS1_3gpuE8ELNS1_3repE0EEENS1_30default_config_static_selectorELNS0_4arch9wavefront6targetE1EEEvSR_
		.amdhsa_group_segment_fixed_size 0
		.amdhsa_private_segment_fixed_size 0
		.amdhsa_kernarg_size 48
		.amdhsa_user_sgpr_count 6
		.amdhsa_user_sgpr_private_segment_buffer 1
		.amdhsa_user_sgpr_dispatch_ptr 0
		.amdhsa_user_sgpr_queue_ptr 0
		.amdhsa_user_sgpr_kernarg_segment_ptr 1
		.amdhsa_user_sgpr_dispatch_id 0
		.amdhsa_user_sgpr_flat_scratch_init 0
		.amdhsa_user_sgpr_private_segment_size 0
		.amdhsa_uses_dynamic_stack 0
		.amdhsa_system_sgpr_private_segment_wavefront_offset 0
		.amdhsa_system_sgpr_workgroup_id_x 1
		.amdhsa_system_sgpr_workgroup_id_y 0
		.amdhsa_system_sgpr_workgroup_id_z 0
		.amdhsa_system_sgpr_workgroup_info 0
		.amdhsa_system_vgpr_workitem_id 0
		.amdhsa_next_free_vgpr 1
		.amdhsa_next_free_sgpr 0
		.amdhsa_reserve_vcc 0
		.amdhsa_reserve_flat_scratch 0
		.amdhsa_float_round_mode_32 0
		.amdhsa_float_round_mode_16_64 0
		.amdhsa_float_denorm_mode_32 3
		.amdhsa_float_denorm_mode_16_64 3
		.amdhsa_dx10_clamp 1
		.amdhsa_ieee_mode 1
		.amdhsa_fp16_overflow 0
		.amdhsa_exception_fp_ieee_invalid_op 0
		.amdhsa_exception_fp_denorm_src 0
		.amdhsa_exception_fp_ieee_div_zero 0
		.amdhsa_exception_fp_ieee_overflow 0
		.amdhsa_exception_fp_ieee_underflow 0
		.amdhsa_exception_fp_ieee_inexact 0
		.amdhsa_exception_int_div_zero 0
	.end_amdhsa_kernel
	.section	.text._ZN7rocprim17ROCPRIM_400000_NS6detail17trampoline_kernelINS0_14default_configENS1_32segmented_reduce_config_selectorIN3c108BFloat16EEEZNS1_21segmented_reduce_implIS3_PKS6_PS6_PKlS6_N6hipcub16HIPCUB_304000_NS6detail27convert_result_type_wrapperISA_SB_N2at6native12_GLOBAL__N_19CustomMaxEEEEE10hipError_tPvRmT0_T1_jT2_SS_T4_T3_P12ihipStream_tbEUlT_E_NS1_11comp_targetILNS1_3genE4ELNS1_11target_archE910ELNS1_3gpuE8ELNS1_3repE0EEENS1_30default_config_static_selectorELNS0_4arch9wavefront6targetE1EEEvSR_,"axG",@progbits,_ZN7rocprim17ROCPRIM_400000_NS6detail17trampoline_kernelINS0_14default_configENS1_32segmented_reduce_config_selectorIN3c108BFloat16EEEZNS1_21segmented_reduce_implIS3_PKS6_PS6_PKlS6_N6hipcub16HIPCUB_304000_NS6detail27convert_result_type_wrapperISA_SB_N2at6native12_GLOBAL__N_19CustomMaxEEEEE10hipError_tPvRmT0_T1_jT2_SS_T4_T3_P12ihipStream_tbEUlT_E_NS1_11comp_targetILNS1_3genE4ELNS1_11target_archE910ELNS1_3gpuE8ELNS1_3repE0EEENS1_30default_config_static_selectorELNS0_4arch9wavefront6targetE1EEEvSR_,comdat
.Lfunc_end250:
	.size	_ZN7rocprim17ROCPRIM_400000_NS6detail17trampoline_kernelINS0_14default_configENS1_32segmented_reduce_config_selectorIN3c108BFloat16EEEZNS1_21segmented_reduce_implIS3_PKS6_PS6_PKlS6_N6hipcub16HIPCUB_304000_NS6detail27convert_result_type_wrapperISA_SB_N2at6native12_GLOBAL__N_19CustomMaxEEEEE10hipError_tPvRmT0_T1_jT2_SS_T4_T3_P12ihipStream_tbEUlT_E_NS1_11comp_targetILNS1_3genE4ELNS1_11target_archE910ELNS1_3gpuE8ELNS1_3repE0EEENS1_30default_config_static_selectorELNS0_4arch9wavefront6targetE1EEEvSR_, .Lfunc_end250-_ZN7rocprim17ROCPRIM_400000_NS6detail17trampoline_kernelINS0_14default_configENS1_32segmented_reduce_config_selectorIN3c108BFloat16EEEZNS1_21segmented_reduce_implIS3_PKS6_PS6_PKlS6_N6hipcub16HIPCUB_304000_NS6detail27convert_result_type_wrapperISA_SB_N2at6native12_GLOBAL__N_19CustomMaxEEEEE10hipError_tPvRmT0_T1_jT2_SS_T4_T3_P12ihipStream_tbEUlT_E_NS1_11comp_targetILNS1_3genE4ELNS1_11target_archE910ELNS1_3gpuE8ELNS1_3repE0EEENS1_30default_config_static_selectorELNS0_4arch9wavefront6targetE1EEEvSR_
                                        ; -- End function
	.set _ZN7rocprim17ROCPRIM_400000_NS6detail17trampoline_kernelINS0_14default_configENS1_32segmented_reduce_config_selectorIN3c108BFloat16EEEZNS1_21segmented_reduce_implIS3_PKS6_PS6_PKlS6_N6hipcub16HIPCUB_304000_NS6detail27convert_result_type_wrapperISA_SB_N2at6native12_GLOBAL__N_19CustomMaxEEEEE10hipError_tPvRmT0_T1_jT2_SS_T4_T3_P12ihipStream_tbEUlT_E_NS1_11comp_targetILNS1_3genE4ELNS1_11target_archE910ELNS1_3gpuE8ELNS1_3repE0EEENS1_30default_config_static_selectorELNS0_4arch9wavefront6targetE1EEEvSR_.num_vgpr, 0
	.set _ZN7rocprim17ROCPRIM_400000_NS6detail17trampoline_kernelINS0_14default_configENS1_32segmented_reduce_config_selectorIN3c108BFloat16EEEZNS1_21segmented_reduce_implIS3_PKS6_PS6_PKlS6_N6hipcub16HIPCUB_304000_NS6detail27convert_result_type_wrapperISA_SB_N2at6native12_GLOBAL__N_19CustomMaxEEEEE10hipError_tPvRmT0_T1_jT2_SS_T4_T3_P12ihipStream_tbEUlT_E_NS1_11comp_targetILNS1_3genE4ELNS1_11target_archE910ELNS1_3gpuE8ELNS1_3repE0EEENS1_30default_config_static_selectorELNS0_4arch9wavefront6targetE1EEEvSR_.num_agpr, 0
	.set _ZN7rocprim17ROCPRIM_400000_NS6detail17trampoline_kernelINS0_14default_configENS1_32segmented_reduce_config_selectorIN3c108BFloat16EEEZNS1_21segmented_reduce_implIS3_PKS6_PS6_PKlS6_N6hipcub16HIPCUB_304000_NS6detail27convert_result_type_wrapperISA_SB_N2at6native12_GLOBAL__N_19CustomMaxEEEEE10hipError_tPvRmT0_T1_jT2_SS_T4_T3_P12ihipStream_tbEUlT_E_NS1_11comp_targetILNS1_3genE4ELNS1_11target_archE910ELNS1_3gpuE8ELNS1_3repE0EEENS1_30default_config_static_selectorELNS0_4arch9wavefront6targetE1EEEvSR_.numbered_sgpr, 0
	.set _ZN7rocprim17ROCPRIM_400000_NS6detail17trampoline_kernelINS0_14default_configENS1_32segmented_reduce_config_selectorIN3c108BFloat16EEEZNS1_21segmented_reduce_implIS3_PKS6_PS6_PKlS6_N6hipcub16HIPCUB_304000_NS6detail27convert_result_type_wrapperISA_SB_N2at6native12_GLOBAL__N_19CustomMaxEEEEE10hipError_tPvRmT0_T1_jT2_SS_T4_T3_P12ihipStream_tbEUlT_E_NS1_11comp_targetILNS1_3genE4ELNS1_11target_archE910ELNS1_3gpuE8ELNS1_3repE0EEENS1_30default_config_static_selectorELNS0_4arch9wavefront6targetE1EEEvSR_.num_named_barrier, 0
	.set _ZN7rocprim17ROCPRIM_400000_NS6detail17trampoline_kernelINS0_14default_configENS1_32segmented_reduce_config_selectorIN3c108BFloat16EEEZNS1_21segmented_reduce_implIS3_PKS6_PS6_PKlS6_N6hipcub16HIPCUB_304000_NS6detail27convert_result_type_wrapperISA_SB_N2at6native12_GLOBAL__N_19CustomMaxEEEEE10hipError_tPvRmT0_T1_jT2_SS_T4_T3_P12ihipStream_tbEUlT_E_NS1_11comp_targetILNS1_3genE4ELNS1_11target_archE910ELNS1_3gpuE8ELNS1_3repE0EEENS1_30default_config_static_selectorELNS0_4arch9wavefront6targetE1EEEvSR_.private_seg_size, 0
	.set _ZN7rocprim17ROCPRIM_400000_NS6detail17trampoline_kernelINS0_14default_configENS1_32segmented_reduce_config_selectorIN3c108BFloat16EEEZNS1_21segmented_reduce_implIS3_PKS6_PS6_PKlS6_N6hipcub16HIPCUB_304000_NS6detail27convert_result_type_wrapperISA_SB_N2at6native12_GLOBAL__N_19CustomMaxEEEEE10hipError_tPvRmT0_T1_jT2_SS_T4_T3_P12ihipStream_tbEUlT_E_NS1_11comp_targetILNS1_3genE4ELNS1_11target_archE910ELNS1_3gpuE8ELNS1_3repE0EEENS1_30default_config_static_selectorELNS0_4arch9wavefront6targetE1EEEvSR_.uses_vcc, 0
	.set _ZN7rocprim17ROCPRIM_400000_NS6detail17trampoline_kernelINS0_14default_configENS1_32segmented_reduce_config_selectorIN3c108BFloat16EEEZNS1_21segmented_reduce_implIS3_PKS6_PS6_PKlS6_N6hipcub16HIPCUB_304000_NS6detail27convert_result_type_wrapperISA_SB_N2at6native12_GLOBAL__N_19CustomMaxEEEEE10hipError_tPvRmT0_T1_jT2_SS_T4_T3_P12ihipStream_tbEUlT_E_NS1_11comp_targetILNS1_3genE4ELNS1_11target_archE910ELNS1_3gpuE8ELNS1_3repE0EEENS1_30default_config_static_selectorELNS0_4arch9wavefront6targetE1EEEvSR_.uses_flat_scratch, 0
	.set _ZN7rocprim17ROCPRIM_400000_NS6detail17trampoline_kernelINS0_14default_configENS1_32segmented_reduce_config_selectorIN3c108BFloat16EEEZNS1_21segmented_reduce_implIS3_PKS6_PS6_PKlS6_N6hipcub16HIPCUB_304000_NS6detail27convert_result_type_wrapperISA_SB_N2at6native12_GLOBAL__N_19CustomMaxEEEEE10hipError_tPvRmT0_T1_jT2_SS_T4_T3_P12ihipStream_tbEUlT_E_NS1_11comp_targetILNS1_3genE4ELNS1_11target_archE910ELNS1_3gpuE8ELNS1_3repE0EEENS1_30default_config_static_selectorELNS0_4arch9wavefront6targetE1EEEvSR_.has_dyn_sized_stack, 0
	.set _ZN7rocprim17ROCPRIM_400000_NS6detail17trampoline_kernelINS0_14default_configENS1_32segmented_reduce_config_selectorIN3c108BFloat16EEEZNS1_21segmented_reduce_implIS3_PKS6_PS6_PKlS6_N6hipcub16HIPCUB_304000_NS6detail27convert_result_type_wrapperISA_SB_N2at6native12_GLOBAL__N_19CustomMaxEEEEE10hipError_tPvRmT0_T1_jT2_SS_T4_T3_P12ihipStream_tbEUlT_E_NS1_11comp_targetILNS1_3genE4ELNS1_11target_archE910ELNS1_3gpuE8ELNS1_3repE0EEENS1_30default_config_static_selectorELNS0_4arch9wavefront6targetE1EEEvSR_.has_recursion, 0
	.set _ZN7rocprim17ROCPRIM_400000_NS6detail17trampoline_kernelINS0_14default_configENS1_32segmented_reduce_config_selectorIN3c108BFloat16EEEZNS1_21segmented_reduce_implIS3_PKS6_PS6_PKlS6_N6hipcub16HIPCUB_304000_NS6detail27convert_result_type_wrapperISA_SB_N2at6native12_GLOBAL__N_19CustomMaxEEEEE10hipError_tPvRmT0_T1_jT2_SS_T4_T3_P12ihipStream_tbEUlT_E_NS1_11comp_targetILNS1_3genE4ELNS1_11target_archE910ELNS1_3gpuE8ELNS1_3repE0EEENS1_30default_config_static_selectorELNS0_4arch9wavefront6targetE1EEEvSR_.has_indirect_call, 0
	.section	.AMDGPU.csdata,"",@progbits
; Kernel info:
; codeLenInByte = 0
; TotalNumSgprs: 4
; NumVgprs: 0
; ScratchSize: 0
; MemoryBound: 0
; FloatMode: 240
; IeeeMode: 1
; LDSByteSize: 0 bytes/workgroup (compile time only)
; SGPRBlocks: 0
; VGPRBlocks: 0
; NumSGPRsForWavesPerEU: 4
; NumVGPRsForWavesPerEU: 1
; Occupancy: 10
; WaveLimiterHint : 0
; COMPUTE_PGM_RSRC2:SCRATCH_EN: 0
; COMPUTE_PGM_RSRC2:USER_SGPR: 6
; COMPUTE_PGM_RSRC2:TRAP_HANDLER: 0
; COMPUTE_PGM_RSRC2:TGID_X_EN: 1
; COMPUTE_PGM_RSRC2:TGID_Y_EN: 0
; COMPUTE_PGM_RSRC2:TGID_Z_EN: 0
; COMPUTE_PGM_RSRC2:TIDIG_COMP_CNT: 0
	.section	.text._ZN7rocprim17ROCPRIM_400000_NS6detail17trampoline_kernelINS0_14default_configENS1_32segmented_reduce_config_selectorIN3c108BFloat16EEEZNS1_21segmented_reduce_implIS3_PKS6_PS6_PKlS6_N6hipcub16HIPCUB_304000_NS6detail27convert_result_type_wrapperISA_SB_N2at6native12_GLOBAL__N_19CustomMaxEEEEE10hipError_tPvRmT0_T1_jT2_SS_T4_T3_P12ihipStream_tbEUlT_E_NS1_11comp_targetILNS1_3genE3ELNS1_11target_archE908ELNS1_3gpuE7ELNS1_3repE0EEENS1_30default_config_static_selectorELNS0_4arch9wavefront6targetE1EEEvSR_,"axG",@progbits,_ZN7rocprim17ROCPRIM_400000_NS6detail17trampoline_kernelINS0_14default_configENS1_32segmented_reduce_config_selectorIN3c108BFloat16EEEZNS1_21segmented_reduce_implIS3_PKS6_PS6_PKlS6_N6hipcub16HIPCUB_304000_NS6detail27convert_result_type_wrapperISA_SB_N2at6native12_GLOBAL__N_19CustomMaxEEEEE10hipError_tPvRmT0_T1_jT2_SS_T4_T3_P12ihipStream_tbEUlT_E_NS1_11comp_targetILNS1_3genE3ELNS1_11target_archE908ELNS1_3gpuE7ELNS1_3repE0EEENS1_30default_config_static_selectorELNS0_4arch9wavefront6targetE1EEEvSR_,comdat
	.globl	_ZN7rocprim17ROCPRIM_400000_NS6detail17trampoline_kernelINS0_14default_configENS1_32segmented_reduce_config_selectorIN3c108BFloat16EEEZNS1_21segmented_reduce_implIS3_PKS6_PS6_PKlS6_N6hipcub16HIPCUB_304000_NS6detail27convert_result_type_wrapperISA_SB_N2at6native12_GLOBAL__N_19CustomMaxEEEEE10hipError_tPvRmT0_T1_jT2_SS_T4_T3_P12ihipStream_tbEUlT_E_NS1_11comp_targetILNS1_3genE3ELNS1_11target_archE908ELNS1_3gpuE7ELNS1_3repE0EEENS1_30default_config_static_selectorELNS0_4arch9wavefront6targetE1EEEvSR_ ; -- Begin function _ZN7rocprim17ROCPRIM_400000_NS6detail17trampoline_kernelINS0_14default_configENS1_32segmented_reduce_config_selectorIN3c108BFloat16EEEZNS1_21segmented_reduce_implIS3_PKS6_PS6_PKlS6_N6hipcub16HIPCUB_304000_NS6detail27convert_result_type_wrapperISA_SB_N2at6native12_GLOBAL__N_19CustomMaxEEEEE10hipError_tPvRmT0_T1_jT2_SS_T4_T3_P12ihipStream_tbEUlT_E_NS1_11comp_targetILNS1_3genE3ELNS1_11target_archE908ELNS1_3gpuE7ELNS1_3repE0EEENS1_30default_config_static_selectorELNS0_4arch9wavefront6targetE1EEEvSR_
	.p2align	8
	.type	_ZN7rocprim17ROCPRIM_400000_NS6detail17trampoline_kernelINS0_14default_configENS1_32segmented_reduce_config_selectorIN3c108BFloat16EEEZNS1_21segmented_reduce_implIS3_PKS6_PS6_PKlS6_N6hipcub16HIPCUB_304000_NS6detail27convert_result_type_wrapperISA_SB_N2at6native12_GLOBAL__N_19CustomMaxEEEEE10hipError_tPvRmT0_T1_jT2_SS_T4_T3_P12ihipStream_tbEUlT_E_NS1_11comp_targetILNS1_3genE3ELNS1_11target_archE908ELNS1_3gpuE7ELNS1_3repE0EEENS1_30default_config_static_selectorELNS0_4arch9wavefront6targetE1EEEvSR_,@function
_ZN7rocprim17ROCPRIM_400000_NS6detail17trampoline_kernelINS0_14default_configENS1_32segmented_reduce_config_selectorIN3c108BFloat16EEEZNS1_21segmented_reduce_implIS3_PKS6_PS6_PKlS6_N6hipcub16HIPCUB_304000_NS6detail27convert_result_type_wrapperISA_SB_N2at6native12_GLOBAL__N_19CustomMaxEEEEE10hipError_tPvRmT0_T1_jT2_SS_T4_T3_P12ihipStream_tbEUlT_E_NS1_11comp_targetILNS1_3genE3ELNS1_11target_archE908ELNS1_3gpuE7ELNS1_3repE0EEENS1_30default_config_static_selectorELNS0_4arch9wavefront6targetE1EEEvSR_: ; @_ZN7rocprim17ROCPRIM_400000_NS6detail17trampoline_kernelINS0_14default_configENS1_32segmented_reduce_config_selectorIN3c108BFloat16EEEZNS1_21segmented_reduce_implIS3_PKS6_PS6_PKlS6_N6hipcub16HIPCUB_304000_NS6detail27convert_result_type_wrapperISA_SB_N2at6native12_GLOBAL__N_19CustomMaxEEEEE10hipError_tPvRmT0_T1_jT2_SS_T4_T3_P12ihipStream_tbEUlT_E_NS1_11comp_targetILNS1_3genE3ELNS1_11target_archE908ELNS1_3gpuE7ELNS1_3repE0EEENS1_30default_config_static_selectorELNS0_4arch9wavefront6targetE1EEEvSR_
; %bb.0:
	.section	.rodata,"a",@progbits
	.p2align	6, 0x0
	.amdhsa_kernel _ZN7rocprim17ROCPRIM_400000_NS6detail17trampoline_kernelINS0_14default_configENS1_32segmented_reduce_config_selectorIN3c108BFloat16EEEZNS1_21segmented_reduce_implIS3_PKS6_PS6_PKlS6_N6hipcub16HIPCUB_304000_NS6detail27convert_result_type_wrapperISA_SB_N2at6native12_GLOBAL__N_19CustomMaxEEEEE10hipError_tPvRmT0_T1_jT2_SS_T4_T3_P12ihipStream_tbEUlT_E_NS1_11comp_targetILNS1_3genE3ELNS1_11target_archE908ELNS1_3gpuE7ELNS1_3repE0EEENS1_30default_config_static_selectorELNS0_4arch9wavefront6targetE1EEEvSR_
		.amdhsa_group_segment_fixed_size 0
		.amdhsa_private_segment_fixed_size 0
		.amdhsa_kernarg_size 48
		.amdhsa_user_sgpr_count 6
		.amdhsa_user_sgpr_private_segment_buffer 1
		.amdhsa_user_sgpr_dispatch_ptr 0
		.amdhsa_user_sgpr_queue_ptr 0
		.amdhsa_user_sgpr_kernarg_segment_ptr 1
		.amdhsa_user_sgpr_dispatch_id 0
		.amdhsa_user_sgpr_flat_scratch_init 0
		.amdhsa_user_sgpr_private_segment_size 0
		.amdhsa_uses_dynamic_stack 0
		.amdhsa_system_sgpr_private_segment_wavefront_offset 0
		.amdhsa_system_sgpr_workgroup_id_x 1
		.amdhsa_system_sgpr_workgroup_id_y 0
		.amdhsa_system_sgpr_workgroup_id_z 0
		.amdhsa_system_sgpr_workgroup_info 0
		.amdhsa_system_vgpr_workitem_id 0
		.amdhsa_next_free_vgpr 1
		.amdhsa_next_free_sgpr 0
		.amdhsa_reserve_vcc 0
		.amdhsa_reserve_flat_scratch 0
		.amdhsa_float_round_mode_32 0
		.amdhsa_float_round_mode_16_64 0
		.amdhsa_float_denorm_mode_32 3
		.amdhsa_float_denorm_mode_16_64 3
		.amdhsa_dx10_clamp 1
		.amdhsa_ieee_mode 1
		.amdhsa_fp16_overflow 0
		.amdhsa_exception_fp_ieee_invalid_op 0
		.amdhsa_exception_fp_denorm_src 0
		.amdhsa_exception_fp_ieee_div_zero 0
		.amdhsa_exception_fp_ieee_overflow 0
		.amdhsa_exception_fp_ieee_underflow 0
		.amdhsa_exception_fp_ieee_inexact 0
		.amdhsa_exception_int_div_zero 0
	.end_amdhsa_kernel
	.section	.text._ZN7rocprim17ROCPRIM_400000_NS6detail17trampoline_kernelINS0_14default_configENS1_32segmented_reduce_config_selectorIN3c108BFloat16EEEZNS1_21segmented_reduce_implIS3_PKS6_PS6_PKlS6_N6hipcub16HIPCUB_304000_NS6detail27convert_result_type_wrapperISA_SB_N2at6native12_GLOBAL__N_19CustomMaxEEEEE10hipError_tPvRmT0_T1_jT2_SS_T4_T3_P12ihipStream_tbEUlT_E_NS1_11comp_targetILNS1_3genE3ELNS1_11target_archE908ELNS1_3gpuE7ELNS1_3repE0EEENS1_30default_config_static_selectorELNS0_4arch9wavefront6targetE1EEEvSR_,"axG",@progbits,_ZN7rocprim17ROCPRIM_400000_NS6detail17trampoline_kernelINS0_14default_configENS1_32segmented_reduce_config_selectorIN3c108BFloat16EEEZNS1_21segmented_reduce_implIS3_PKS6_PS6_PKlS6_N6hipcub16HIPCUB_304000_NS6detail27convert_result_type_wrapperISA_SB_N2at6native12_GLOBAL__N_19CustomMaxEEEEE10hipError_tPvRmT0_T1_jT2_SS_T4_T3_P12ihipStream_tbEUlT_E_NS1_11comp_targetILNS1_3genE3ELNS1_11target_archE908ELNS1_3gpuE7ELNS1_3repE0EEENS1_30default_config_static_selectorELNS0_4arch9wavefront6targetE1EEEvSR_,comdat
.Lfunc_end251:
	.size	_ZN7rocprim17ROCPRIM_400000_NS6detail17trampoline_kernelINS0_14default_configENS1_32segmented_reduce_config_selectorIN3c108BFloat16EEEZNS1_21segmented_reduce_implIS3_PKS6_PS6_PKlS6_N6hipcub16HIPCUB_304000_NS6detail27convert_result_type_wrapperISA_SB_N2at6native12_GLOBAL__N_19CustomMaxEEEEE10hipError_tPvRmT0_T1_jT2_SS_T4_T3_P12ihipStream_tbEUlT_E_NS1_11comp_targetILNS1_3genE3ELNS1_11target_archE908ELNS1_3gpuE7ELNS1_3repE0EEENS1_30default_config_static_selectorELNS0_4arch9wavefront6targetE1EEEvSR_, .Lfunc_end251-_ZN7rocprim17ROCPRIM_400000_NS6detail17trampoline_kernelINS0_14default_configENS1_32segmented_reduce_config_selectorIN3c108BFloat16EEEZNS1_21segmented_reduce_implIS3_PKS6_PS6_PKlS6_N6hipcub16HIPCUB_304000_NS6detail27convert_result_type_wrapperISA_SB_N2at6native12_GLOBAL__N_19CustomMaxEEEEE10hipError_tPvRmT0_T1_jT2_SS_T4_T3_P12ihipStream_tbEUlT_E_NS1_11comp_targetILNS1_3genE3ELNS1_11target_archE908ELNS1_3gpuE7ELNS1_3repE0EEENS1_30default_config_static_selectorELNS0_4arch9wavefront6targetE1EEEvSR_
                                        ; -- End function
	.set _ZN7rocprim17ROCPRIM_400000_NS6detail17trampoline_kernelINS0_14default_configENS1_32segmented_reduce_config_selectorIN3c108BFloat16EEEZNS1_21segmented_reduce_implIS3_PKS6_PS6_PKlS6_N6hipcub16HIPCUB_304000_NS6detail27convert_result_type_wrapperISA_SB_N2at6native12_GLOBAL__N_19CustomMaxEEEEE10hipError_tPvRmT0_T1_jT2_SS_T4_T3_P12ihipStream_tbEUlT_E_NS1_11comp_targetILNS1_3genE3ELNS1_11target_archE908ELNS1_3gpuE7ELNS1_3repE0EEENS1_30default_config_static_selectorELNS0_4arch9wavefront6targetE1EEEvSR_.num_vgpr, 0
	.set _ZN7rocprim17ROCPRIM_400000_NS6detail17trampoline_kernelINS0_14default_configENS1_32segmented_reduce_config_selectorIN3c108BFloat16EEEZNS1_21segmented_reduce_implIS3_PKS6_PS6_PKlS6_N6hipcub16HIPCUB_304000_NS6detail27convert_result_type_wrapperISA_SB_N2at6native12_GLOBAL__N_19CustomMaxEEEEE10hipError_tPvRmT0_T1_jT2_SS_T4_T3_P12ihipStream_tbEUlT_E_NS1_11comp_targetILNS1_3genE3ELNS1_11target_archE908ELNS1_3gpuE7ELNS1_3repE0EEENS1_30default_config_static_selectorELNS0_4arch9wavefront6targetE1EEEvSR_.num_agpr, 0
	.set _ZN7rocprim17ROCPRIM_400000_NS6detail17trampoline_kernelINS0_14default_configENS1_32segmented_reduce_config_selectorIN3c108BFloat16EEEZNS1_21segmented_reduce_implIS3_PKS6_PS6_PKlS6_N6hipcub16HIPCUB_304000_NS6detail27convert_result_type_wrapperISA_SB_N2at6native12_GLOBAL__N_19CustomMaxEEEEE10hipError_tPvRmT0_T1_jT2_SS_T4_T3_P12ihipStream_tbEUlT_E_NS1_11comp_targetILNS1_3genE3ELNS1_11target_archE908ELNS1_3gpuE7ELNS1_3repE0EEENS1_30default_config_static_selectorELNS0_4arch9wavefront6targetE1EEEvSR_.numbered_sgpr, 0
	.set _ZN7rocprim17ROCPRIM_400000_NS6detail17trampoline_kernelINS0_14default_configENS1_32segmented_reduce_config_selectorIN3c108BFloat16EEEZNS1_21segmented_reduce_implIS3_PKS6_PS6_PKlS6_N6hipcub16HIPCUB_304000_NS6detail27convert_result_type_wrapperISA_SB_N2at6native12_GLOBAL__N_19CustomMaxEEEEE10hipError_tPvRmT0_T1_jT2_SS_T4_T3_P12ihipStream_tbEUlT_E_NS1_11comp_targetILNS1_3genE3ELNS1_11target_archE908ELNS1_3gpuE7ELNS1_3repE0EEENS1_30default_config_static_selectorELNS0_4arch9wavefront6targetE1EEEvSR_.num_named_barrier, 0
	.set _ZN7rocprim17ROCPRIM_400000_NS6detail17trampoline_kernelINS0_14default_configENS1_32segmented_reduce_config_selectorIN3c108BFloat16EEEZNS1_21segmented_reduce_implIS3_PKS6_PS6_PKlS6_N6hipcub16HIPCUB_304000_NS6detail27convert_result_type_wrapperISA_SB_N2at6native12_GLOBAL__N_19CustomMaxEEEEE10hipError_tPvRmT0_T1_jT2_SS_T4_T3_P12ihipStream_tbEUlT_E_NS1_11comp_targetILNS1_3genE3ELNS1_11target_archE908ELNS1_3gpuE7ELNS1_3repE0EEENS1_30default_config_static_selectorELNS0_4arch9wavefront6targetE1EEEvSR_.private_seg_size, 0
	.set _ZN7rocprim17ROCPRIM_400000_NS6detail17trampoline_kernelINS0_14default_configENS1_32segmented_reduce_config_selectorIN3c108BFloat16EEEZNS1_21segmented_reduce_implIS3_PKS6_PS6_PKlS6_N6hipcub16HIPCUB_304000_NS6detail27convert_result_type_wrapperISA_SB_N2at6native12_GLOBAL__N_19CustomMaxEEEEE10hipError_tPvRmT0_T1_jT2_SS_T4_T3_P12ihipStream_tbEUlT_E_NS1_11comp_targetILNS1_3genE3ELNS1_11target_archE908ELNS1_3gpuE7ELNS1_3repE0EEENS1_30default_config_static_selectorELNS0_4arch9wavefront6targetE1EEEvSR_.uses_vcc, 0
	.set _ZN7rocprim17ROCPRIM_400000_NS6detail17trampoline_kernelINS0_14default_configENS1_32segmented_reduce_config_selectorIN3c108BFloat16EEEZNS1_21segmented_reduce_implIS3_PKS6_PS6_PKlS6_N6hipcub16HIPCUB_304000_NS6detail27convert_result_type_wrapperISA_SB_N2at6native12_GLOBAL__N_19CustomMaxEEEEE10hipError_tPvRmT0_T1_jT2_SS_T4_T3_P12ihipStream_tbEUlT_E_NS1_11comp_targetILNS1_3genE3ELNS1_11target_archE908ELNS1_3gpuE7ELNS1_3repE0EEENS1_30default_config_static_selectorELNS0_4arch9wavefront6targetE1EEEvSR_.uses_flat_scratch, 0
	.set _ZN7rocprim17ROCPRIM_400000_NS6detail17trampoline_kernelINS0_14default_configENS1_32segmented_reduce_config_selectorIN3c108BFloat16EEEZNS1_21segmented_reduce_implIS3_PKS6_PS6_PKlS6_N6hipcub16HIPCUB_304000_NS6detail27convert_result_type_wrapperISA_SB_N2at6native12_GLOBAL__N_19CustomMaxEEEEE10hipError_tPvRmT0_T1_jT2_SS_T4_T3_P12ihipStream_tbEUlT_E_NS1_11comp_targetILNS1_3genE3ELNS1_11target_archE908ELNS1_3gpuE7ELNS1_3repE0EEENS1_30default_config_static_selectorELNS0_4arch9wavefront6targetE1EEEvSR_.has_dyn_sized_stack, 0
	.set _ZN7rocprim17ROCPRIM_400000_NS6detail17trampoline_kernelINS0_14default_configENS1_32segmented_reduce_config_selectorIN3c108BFloat16EEEZNS1_21segmented_reduce_implIS3_PKS6_PS6_PKlS6_N6hipcub16HIPCUB_304000_NS6detail27convert_result_type_wrapperISA_SB_N2at6native12_GLOBAL__N_19CustomMaxEEEEE10hipError_tPvRmT0_T1_jT2_SS_T4_T3_P12ihipStream_tbEUlT_E_NS1_11comp_targetILNS1_3genE3ELNS1_11target_archE908ELNS1_3gpuE7ELNS1_3repE0EEENS1_30default_config_static_selectorELNS0_4arch9wavefront6targetE1EEEvSR_.has_recursion, 0
	.set _ZN7rocprim17ROCPRIM_400000_NS6detail17trampoline_kernelINS0_14default_configENS1_32segmented_reduce_config_selectorIN3c108BFloat16EEEZNS1_21segmented_reduce_implIS3_PKS6_PS6_PKlS6_N6hipcub16HIPCUB_304000_NS6detail27convert_result_type_wrapperISA_SB_N2at6native12_GLOBAL__N_19CustomMaxEEEEE10hipError_tPvRmT0_T1_jT2_SS_T4_T3_P12ihipStream_tbEUlT_E_NS1_11comp_targetILNS1_3genE3ELNS1_11target_archE908ELNS1_3gpuE7ELNS1_3repE0EEENS1_30default_config_static_selectorELNS0_4arch9wavefront6targetE1EEEvSR_.has_indirect_call, 0
	.section	.AMDGPU.csdata,"",@progbits
; Kernel info:
; codeLenInByte = 0
; TotalNumSgprs: 4
; NumVgprs: 0
; ScratchSize: 0
; MemoryBound: 0
; FloatMode: 240
; IeeeMode: 1
; LDSByteSize: 0 bytes/workgroup (compile time only)
; SGPRBlocks: 0
; VGPRBlocks: 0
; NumSGPRsForWavesPerEU: 4
; NumVGPRsForWavesPerEU: 1
; Occupancy: 10
; WaveLimiterHint : 0
; COMPUTE_PGM_RSRC2:SCRATCH_EN: 0
; COMPUTE_PGM_RSRC2:USER_SGPR: 6
; COMPUTE_PGM_RSRC2:TRAP_HANDLER: 0
; COMPUTE_PGM_RSRC2:TGID_X_EN: 1
; COMPUTE_PGM_RSRC2:TGID_Y_EN: 0
; COMPUTE_PGM_RSRC2:TGID_Z_EN: 0
; COMPUTE_PGM_RSRC2:TIDIG_COMP_CNT: 0
	.section	.text._ZN7rocprim17ROCPRIM_400000_NS6detail17trampoline_kernelINS0_14default_configENS1_32segmented_reduce_config_selectorIN3c108BFloat16EEEZNS1_21segmented_reduce_implIS3_PKS6_PS6_PKlS6_N6hipcub16HIPCUB_304000_NS6detail27convert_result_type_wrapperISA_SB_N2at6native12_GLOBAL__N_19CustomMaxEEEEE10hipError_tPvRmT0_T1_jT2_SS_T4_T3_P12ihipStream_tbEUlT_E_NS1_11comp_targetILNS1_3genE2ELNS1_11target_archE906ELNS1_3gpuE6ELNS1_3repE0EEENS1_30default_config_static_selectorELNS0_4arch9wavefront6targetE1EEEvSR_,"axG",@progbits,_ZN7rocprim17ROCPRIM_400000_NS6detail17trampoline_kernelINS0_14default_configENS1_32segmented_reduce_config_selectorIN3c108BFloat16EEEZNS1_21segmented_reduce_implIS3_PKS6_PS6_PKlS6_N6hipcub16HIPCUB_304000_NS6detail27convert_result_type_wrapperISA_SB_N2at6native12_GLOBAL__N_19CustomMaxEEEEE10hipError_tPvRmT0_T1_jT2_SS_T4_T3_P12ihipStream_tbEUlT_E_NS1_11comp_targetILNS1_3genE2ELNS1_11target_archE906ELNS1_3gpuE6ELNS1_3repE0EEENS1_30default_config_static_selectorELNS0_4arch9wavefront6targetE1EEEvSR_,comdat
	.globl	_ZN7rocprim17ROCPRIM_400000_NS6detail17trampoline_kernelINS0_14default_configENS1_32segmented_reduce_config_selectorIN3c108BFloat16EEEZNS1_21segmented_reduce_implIS3_PKS6_PS6_PKlS6_N6hipcub16HIPCUB_304000_NS6detail27convert_result_type_wrapperISA_SB_N2at6native12_GLOBAL__N_19CustomMaxEEEEE10hipError_tPvRmT0_T1_jT2_SS_T4_T3_P12ihipStream_tbEUlT_E_NS1_11comp_targetILNS1_3genE2ELNS1_11target_archE906ELNS1_3gpuE6ELNS1_3repE0EEENS1_30default_config_static_selectorELNS0_4arch9wavefront6targetE1EEEvSR_ ; -- Begin function _ZN7rocprim17ROCPRIM_400000_NS6detail17trampoline_kernelINS0_14default_configENS1_32segmented_reduce_config_selectorIN3c108BFloat16EEEZNS1_21segmented_reduce_implIS3_PKS6_PS6_PKlS6_N6hipcub16HIPCUB_304000_NS6detail27convert_result_type_wrapperISA_SB_N2at6native12_GLOBAL__N_19CustomMaxEEEEE10hipError_tPvRmT0_T1_jT2_SS_T4_T3_P12ihipStream_tbEUlT_E_NS1_11comp_targetILNS1_3genE2ELNS1_11target_archE906ELNS1_3gpuE6ELNS1_3repE0EEENS1_30default_config_static_selectorELNS0_4arch9wavefront6targetE1EEEvSR_
	.p2align	8
	.type	_ZN7rocprim17ROCPRIM_400000_NS6detail17trampoline_kernelINS0_14default_configENS1_32segmented_reduce_config_selectorIN3c108BFloat16EEEZNS1_21segmented_reduce_implIS3_PKS6_PS6_PKlS6_N6hipcub16HIPCUB_304000_NS6detail27convert_result_type_wrapperISA_SB_N2at6native12_GLOBAL__N_19CustomMaxEEEEE10hipError_tPvRmT0_T1_jT2_SS_T4_T3_P12ihipStream_tbEUlT_E_NS1_11comp_targetILNS1_3genE2ELNS1_11target_archE906ELNS1_3gpuE6ELNS1_3repE0EEENS1_30default_config_static_selectorELNS0_4arch9wavefront6targetE1EEEvSR_,@function
_ZN7rocprim17ROCPRIM_400000_NS6detail17trampoline_kernelINS0_14default_configENS1_32segmented_reduce_config_selectorIN3c108BFloat16EEEZNS1_21segmented_reduce_implIS3_PKS6_PS6_PKlS6_N6hipcub16HIPCUB_304000_NS6detail27convert_result_type_wrapperISA_SB_N2at6native12_GLOBAL__N_19CustomMaxEEEEE10hipError_tPvRmT0_T1_jT2_SS_T4_T3_P12ihipStream_tbEUlT_E_NS1_11comp_targetILNS1_3genE2ELNS1_11target_archE906ELNS1_3gpuE6ELNS1_3repE0EEENS1_30default_config_static_selectorELNS0_4arch9wavefront6targetE1EEEvSR_: ; @_ZN7rocprim17ROCPRIM_400000_NS6detail17trampoline_kernelINS0_14default_configENS1_32segmented_reduce_config_selectorIN3c108BFloat16EEEZNS1_21segmented_reduce_implIS3_PKS6_PS6_PKlS6_N6hipcub16HIPCUB_304000_NS6detail27convert_result_type_wrapperISA_SB_N2at6native12_GLOBAL__N_19CustomMaxEEEEE10hipError_tPvRmT0_T1_jT2_SS_T4_T3_P12ihipStream_tbEUlT_E_NS1_11comp_targetILNS1_3genE2ELNS1_11target_archE906ELNS1_3gpuE6ELNS1_3repE0EEENS1_30default_config_static_selectorELNS0_4arch9wavefront6targetE1EEEvSR_
; %bb.0:
	s_load_dword s2, s[4:5], 0x28
	s_load_dwordx8 s[36:43], s[4:5], 0x0
	s_load_dwordx2 s[0:1], s[4:5], 0x20
	s_mov_b32 s7, 0
	s_waitcnt lgkmcnt(0)
	s_lshr_b32 s33, s2, 16
	s_lshl_b64 s[2:3], s[40:41], 3
	s_add_u32 s4, s42, s2
	s_addc_u32 s5, s43, s3
	s_add_u32 s8, s0, s2
	s_addc_u32 s9, s1, s3
	s_lshl_b64 s[0:1], s[6:7], 3
	s_add_u32 s2, s4, s0
	s_addc_u32 s3, s5, s1
	s_load_dwordx2 s[44:45], s[2:3], 0x0
	s_add_u32 s0, s8, s0
	s_addc_u32 s1, s9, s1
	s_load_dwordx2 s[42:43], s[0:1], 0x0
	v_cmp_eq_u32_e64 s[0:1], 0, v0
	s_waitcnt lgkmcnt(0)
	v_mov_b32_e32 v1, s44
	v_mov_b32_e32 v2, s45
	v_cmp_gt_i64_e32 vcc, s[42:43], v[1:2]
	s_cbranch_vccnz .LBB252_3
; %bb.1:
	s_and_b64 s[34:35], s[0:1], exec
	s_cbranch_execz .LBB252_4
; %bb.2:
	v_mov_b32_e32 v1, s33
	s_and_saveexec_b64 s[0:1], s[34:35]
	s_cbranch_execnz .LBB252_409
	s_branch .LBB252_410
.LBB252_3:
	s_mov_b64 s[34:35], 0
.LBB252_4:
	s_add_u32 s0, s44, 0x1000
	v_mov_b32_e32 v1, s42
	s_addc_u32 s1, s45, 0
	v_mov_b32_e32 v2, s43
	v_cmp_le_i64_e32 vcc, s[0:1], v[1:2]
	s_cbranch_vccz .LBB252_20
; %bb.5:
	s_lshl_b64 s[2:3], s[44:45], 1
	s_add_u32 s4, s36, s2
	s_addc_u32 s5, s37, s3
	v_lshlrev_b32_e32 v20, 1, v0
	v_mov_b32_e32 v1, s5
	v_add_co_u32_e32 v2, vcc, s4, v20
	v_addc_co_u32_e32 v3, vcc, 0, v1, vcc
	global_load_ushort v19, v20, s[4:5]
	global_load_ushort v18, v20, s[4:5] offset:512
	global_load_ushort v17, v20, s[4:5] offset:1024
	;; [unrolled: 1-line block ×7, first 2 shown]
	s_movk_i32 s4, 0x1000
	v_add_co_u32_e32 v1, vcc, s4, v2
	v_addc_co_u32_e32 v2, vcc, 0, v3, vcc
	global_load_ushort v10, v[1:2], off
	global_load_ushort v9, v[1:2], off offset:512
	global_load_ushort v8, v[1:2], off offset:1024
	global_load_ushort v7, v[1:2], off offset:1536
	global_load_ushort v6, v[1:2], off offset:2048
	global_load_ushort v5, v[1:2], off offset:2560
	global_load_ushort v4, v[1:2], off offset:3072
	global_load_ushort v3, v[1:2], off offset:3584
	s_waitcnt vmcnt(15)
	v_lshlrev_b32_e32 v1, 16, v19
	v_cmp_o_f32_e32 vcc, v1, v1
	v_mov_b32_e32 v11, v19
	s_and_saveexec_b64 s[4:5], vcc
	s_cbranch_execnz .LBB252_21
; %bb.6:
	s_or_b64 exec, exec, s[4:5]
	v_cmp_o_f32_e32 vcc, v1, v1
	s_and_saveexec_b64 s[4:5], vcc
	s_cbranch_execnz .LBB252_24
.LBB252_7:
	s_or_b64 exec, exec, s[4:5]
	v_cmp_o_f32_e32 vcc, v1, v1
	s_and_saveexec_b64 s[4:5], vcc
	s_cbranch_execnz .LBB252_27
.LBB252_8:
	s_or_b64 exec, exec, s[4:5]
	v_cmp_o_f32_e32 vcc, v1, v1
	s_and_saveexec_b64 s[4:5], vcc
	s_cbranch_execnz .LBB252_30
.LBB252_9:
	s_or_b64 exec, exec, s[4:5]
	v_cmp_o_f32_e32 vcc, v1, v1
	s_and_saveexec_b64 s[4:5], vcc
	s_cbranch_execnz .LBB252_33
.LBB252_10:
	s_or_b64 exec, exec, s[4:5]
	v_cmp_o_f32_e32 vcc, v1, v1
	s_and_saveexec_b64 s[4:5], vcc
	s_cbranch_execnz .LBB252_36
.LBB252_11:
	s_or_b64 exec, exec, s[4:5]
	v_cmp_o_f32_e32 vcc, v1, v1
	s_and_saveexec_b64 s[4:5], vcc
	s_cbranch_execnz .LBB252_39
.LBB252_12:
	s_or_b64 exec, exec, s[4:5]
	v_cmp_o_f32_e32 vcc, v1, v1
	s_and_saveexec_b64 s[4:5], vcc
	s_cbranch_execnz .LBB252_42
.LBB252_13:
	s_or_b64 exec, exec, s[4:5]
	v_cmp_o_f32_e32 vcc, v1, v1
	s_and_saveexec_b64 s[4:5], vcc
	s_cbranch_execnz .LBB252_45
.LBB252_14:
	s_or_b64 exec, exec, s[4:5]
	v_cmp_o_f32_e32 vcc, v1, v1
	s_and_saveexec_b64 s[4:5], vcc
	s_cbranch_execnz .LBB252_48
.LBB252_15:
	s_or_b64 exec, exec, s[4:5]
	v_cmp_o_f32_e32 vcc, v1, v1
	s_and_saveexec_b64 s[4:5], vcc
	s_cbranch_execnz .LBB252_51
.LBB252_16:
	s_or_b64 exec, exec, s[4:5]
	v_cmp_o_f32_e32 vcc, v1, v1
	s_and_saveexec_b64 s[4:5], vcc
	s_cbranch_execnz .LBB252_54
.LBB252_17:
	s_or_b64 exec, exec, s[4:5]
	v_cmp_o_f32_e32 vcc, v1, v1
	s_and_saveexec_b64 s[4:5], vcc
	s_cbranch_execnz .LBB252_57
.LBB252_18:
	s_or_b64 exec, exec, s[4:5]
	v_cmp_o_f32_e32 vcc, v1, v1
	s_and_saveexec_b64 s[4:5], vcc
	s_cbranch_execnz .LBB252_60
.LBB252_19:
	s_or_b64 exec, exec, s[4:5]
	v_cmp_o_f32_e32 vcc, v1, v1
	s_and_saveexec_b64 s[4:5], vcc
	s_cbranch_execnz .LBB252_63
	s_branch .LBB252_66
.LBB252_20:
                                        ; implicit-def: $vgpr3
	s_cbranch_execnz .LBB252_300
	s_branch .LBB252_402
.LBB252_21:
	s_waitcnt vmcnt(14)
	v_lshlrev_b32_e32 v2, 16, v18
	v_cmp_o_f32_e32 vcc, v2, v2
	v_mov_b32_e32 v11, v18
	s_and_saveexec_b64 s[8:9], vcc
; %bb.22:
	v_cmp_lt_f32_e32 vcc, v1, v2
	v_cndmask_b32_e32 v11, v19, v18, vcc
	v_lshlrev_b32_e32 v2, 16, v11
; %bb.23:
	s_or_b64 exec, exec, s[8:9]
	v_mov_b32_e32 v1, v2
	s_or_b64 exec, exec, s[4:5]
	v_cmp_o_f32_e32 vcc, v1, v1
	s_and_saveexec_b64 s[4:5], vcc
	s_cbranch_execz .LBB252_7
.LBB252_24:
	s_waitcnt vmcnt(13)
	v_lshlrev_b32_e32 v2, 16, v17
	v_cmp_o_f32_e32 vcc, v2, v2
	v_mov_b32_e32 v21, v17
	s_and_saveexec_b64 s[8:9], vcc
; %bb.25:
	v_cmp_lt_f32_e32 vcc, v1, v2
	v_cndmask_b32_e32 v21, v11, v17, vcc
	v_lshlrev_b32_e32 v2, 16, v21
; %bb.26:
	s_or_b64 exec, exec, s[8:9]
	v_mov_b32_e32 v1, v2
	v_mov_b32_e32 v11, v21
	s_or_b64 exec, exec, s[4:5]
	v_cmp_o_f32_e32 vcc, v1, v1
	s_and_saveexec_b64 s[4:5], vcc
	s_cbranch_execz .LBB252_8
.LBB252_27:
	s_waitcnt vmcnt(12)
	v_lshlrev_b32_e32 v2, 16, v16
	v_cmp_o_f32_e32 vcc, v2, v2
	v_mov_b32_e32 v21, v16
	s_and_saveexec_b64 s[8:9], vcc
; %bb.28:
	v_cmp_lt_f32_e32 vcc, v1, v2
	v_cndmask_b32_e32 v21, v11, v16, vcc
	v_lshlrev_b32_e32 v2, 16, v21
; %bb.29:
	s_or_b64 exec, exec, s[8:9]
	v_mov_b32_e32 v1, v2
	v_mov_b32_e32 v11, v21
	s_or_b64 exec, exec, s[4:5]
	v_cmp_o_f32_e32 vcc, v1, v1
	s_and_saveexec_b64 s[4:5], vcc
	s_cbranch_execz .LBB252_9
.LBB252_30:
	s_waitcnt vmcnt(11)
	v_lshlrev_b32_e32 v2, 16, v15
	v_cmp_o_f32_e32 vcc, v2, v2
	v_mov_b32_e32 v21, v15
	s_and_saveexec_b64 s[8:9], vcc
; %bb.31:
	v_cmp_lt_f32_e32 vcc, v1, v2
	v_cndmask_b32_e32 v21, v11, v15, vcc
	v_lshlrev_b32_e32 v2, 16, v21
; %bb.32:
	s_or_b64 exec, exec, s[8:9]
	v_mov_b32_e32 v1, v2
	v_mov_b32_e32 v11, v21
	s_or_b64 exec, exec, s[4:5]
	v_cmp_o_f32_e32 vcc, v1, v1
	s_and_saveexec_b64 s[4:5], vcc
	s_cbranch_execz .LBB252_10
.LBB252_33:
	s_waitcnt vmcnt(10)
	v_lshlrev_b32_e32 v2, 16, v14
	v_cmp_o_f32_e32 vcc, v2, v2
	v_mov_b32_e32 v21, v14
	s_and_saveexec_b64 s[8:9], vcc
; %bb.34:
	v_cmp_lt_f32_e32 vcc, v1, v2
	v_cndmask_b32_e32 v21, v11, v14, vcc
	v_lshlrev_b32_e32 v2, 16, v21
; %bb.35:
	s_or_b64 exec, exec, s[8:9]
	v_mov_b32_e32 v1, v2
	v_mov_b32_e32 v11, v21
	s_or_b64 exec, exec, s[4:5]
	v_cmp_o_f32_e32 vcc, v1, v1
	s_and_saveexec_b64 s[4:5], vcc
	s_cbranch_execz .LBB252_11
.LBB252_36:
	s_waitcnt vmcnt(9)
	v_lshlrev_b32_e32 v2, 16, v13
	v_cmp_o_f32_e32 vcc, v2, v2
	v_mov_b32_e32 v21, v13
	s_and_saveexec_b64 s[8:9], vcc
; %bb.37:
	v_cmp_lt_f32_e32 vcc, v1, v2
	v_cndmask_b32_e32 v21, v11, v13, vcc
	v_lshlrev_b32_e32 v2, 16, v21
; %bb.38:
	s_or_b64 exec, exec, s[8:9]
	v_mov_b32_e32 v1, v2
	v_mov_b32_e32 v11, v21
	s_or_b64 exec, exec, s[4:5]
	v_cmp_o_f32_e32 vcc, v1, v1
	s_and_saveexec_b64 s[4:5], vcc
	s_cbranch_execz .LBB252_12
.LBB252_39:
	s_waitcnt vmcnt(8)
	v_lshlrev_b32_e32 v2, 16, v12
	v_cmp_o_f32_e32 vcc, v2, v2
	v_mov_b32_e32 v21, v12
	s_and_saveexec_b64 s[8:9], vcc
; %bb.40:
	v_cmp_lt_f32_e32 vcc, v1, v2
	v_cndmask_b32_e32 v21, v11, v12, vcc
	v_lshlrev_b32_e32 v2, 16, v21
; %bb.41:
	s_or_b64 exec, exec, s[8:9]
	v_mov_b32_e32 v1, v2
	v_mov_b32_e32 v11, v21
	s_or_b64 exec, exec, s[4:5]
	v_cmp_o_f32_e32 vcc, v1, v1
	s_and_saveexec_b64 s[4:5], vcc
	s_cbranch_execz .LBB252_13
.LBB252_42:
	s_waitcnt vmcnt(7)
	v_lshlrev_b32_e32 v2, 16, v10
	v_cmp_o_f32_e32 vcc, v2, v2
	v_mov_b32_e32 v21, v10
	s_and_saveexec_b64 s[8:9], vcc
; %bb.43:
	v_cmp_lt_f32_e32 vcc, v1, v2
	v_cndmask_b32_e32 v21, v11, v10, vcc
	v_lshlrev_b32_e32 v2, 16, v21
; %bb.44:
	s_or_b64 exec, exec, s[8:9]
	v_mov_b32_e32 v1, v2
	v_mov_b32_e32 v11, v21
	s_or_b64 exec, exec, s[4:5]
	v_cmp_o_f32_e32 vcc, v1, v1
	s_and_saveexec_b64 s[4:5], vcc
	s_cbranch_execz .LBB252_14
.LBB252_45:
	s_waitcnt vmcnt(6)
	v_lshlrev_b32_e32 v2, 16, v9
	v_cmp_o_f32_e32 vcc, v2, v2
	v_mov_b32_e32 v21, v9
	s_and_saveexec_b64 s[8:9], vcc
; %bb.46:
	v_cmp_lt_f32_e32 vcc, v1, v2
	v_cndmask_b32_e32 v21, v11, v9, vcc
	v_lshlrev_b32_e32 v2, 16, v21
; %bb.47:
	s_or_b64 exec, exec, s[8:9]
	v_mov_b32_e32 v1, v2
	v_mov_b32_e32 v11, v21
	s_or_b64 exec, exec, s[4:5]
	v_cmp_o_f32_e32 vcc, v1, v1
	s_and_saveexec_b64 s[4:5], vcc
	s_cbranch_execz .LBB252_15
.LBB252_48:
	s_waitcnt vmcnt(5)
	v_lshlrev_b32_e32 v2, 16, v8
	v_cmp_o_f32_e32 vcc, v2, v2
	v_mov_b32_e32 v21, v8
	s_and_saveexec_b64 s[8:9], vcc
; %bb.49:
	v_cmp_lt_f32_e32 vcc, v1, v2
	v_cndmask_b32_e32 v21, v11, v8, vcc
	v_lshlrev_b32_e32 v2, 16, v21
; %bb.50:
	s_or_b64 exec, exec, s[8:9]
	v_mov_b32_e32 v1, v2
	v_mov_b32_e32 v11, v21
	s_or_b64 exec, exec, s[4:5]
	v_cmp_o_f32_e32 vcc, v1, v1
	s_and_saveexec_b64 s[4:5], vcc
	s_cbranch_execz .LBB252_16
.LBB252_51:
	s_waitcnt vmcnt(4)
	v_lshlrev_b32_e32 v2, 16, v7
	v_cmp_o_f32_e32 vcc, v2, v2
	v_mov_b32_e32 v21, v7
	s_and_saveexec_b64 s[8:9], vcc
; %bb.52:
	v_cmp_lt_f32_e32 vcc, v1, v2
	v_cndmask_b32_e32 v21, v11, v7, vcc
	v_lshlrev_b32_e32 v2, 16, v21
; %bb.53:
	s_or_b64 exec, exec, s[8:9]
	v_mov_b32_e32 v1, v2
	v_mov_b32_e32 v11, v21
	s_or_b64 exec, exec, s[4:5]
	v_cmp_o_f32_e32 vcc, v1, v1
	s_and_saveexec_b64 s[4:5], vcc
	s_cbranch_execz .LBB252_17
.LBB252_54:
	s_waitcnt vmcnt(3)
	v_lshlrev_b32_e32 v2, 16, v6
	v_cmp_o_f32_e32 vcc, v2, v2
	v_mov_b32_e32 v21, v6
	s_and_saveexec_b64 s[8:9], vcc
; %bb.55:
	v_cmp_lt_f32_e32 vcc, v1, v2
	v_cndmask_b32_e32 v21, v11, v6, vcc
	v_lshlrev_b32_e32 v2, 16, v21
; %bb.56:
	s_or_b64 exec, exec, s[8:9]
	v_mov_b32_e32 v1, v2
	v_mov_b32_e32 v11, v21
	s_or_b64 exec, exec, s[4:5]
	v_cmp_o_f32_e32 vcc, v1, v1
	s_and_saveexec_b64 s[4:5], vcc
	s_cbranch_execz .LBB252_18
.LBB252_57:
	s_waitcnt vmcnt(2)
	v_lshlrev_b32_e32 v2, 16, v5
	v_cmp_o_f32_e32 vcc, v2, v2
	v_mov_b32_e32 v21, v5
	s_and_saveexec_b64 s[8:9], vcc
; %bb.58:
	v_cmp_lt_f32_e32 vcc, v1, v2
	v_cndmask_b32_e32 v21, v11, v5, vcc
	v_lshlrev_b32_e32 v2, 16, v21
; %bb.59:
	s_or_b64 exec, exec, s[8:9]
	v_mov_b32_e32 v1, v2
	v_mov_b32_e32 v11, v21
	s_or_b64 exec, exec, s[4:5]
	v_cmp_o_f32_e32 vcc, v1, v1
	s_and_saveexec_b64 s[4:5], vcc
	s_cbranch_execz .LBB252_19
.LBB252_60:
	s_waitcnt vmcnt(1)
	v_lshlrev_b32_e32 v2, 16, v4
	v_cmp_o_f32_e32 vcc, v2, v2
	v_mov_b32_e32 v21, v4
	s_and_saveexec_b64 s[8:9], vcc
; %bb.61:
	v_cmp_lt_f32_e32 vcc, v1, v2
	v_cndmask_b32_e32 v21, v11, v4, vcc
	v_lshlrev_b32_e32 v2, 16, v21
; %bb.62:
	s_or_b64 exec, exec, s[8:9]
	v_mov_b32_e32 v1, v2
	v_mov_b32_e32 v11, v21
	s_or_b64 exec, exec, s[4:5]
	v_cmp_o_f32_e32 vcc, v1, v1
	s_and_saveexec_b64 s[4:5], vcc
	s_cbranch_execz .LBB252_66
.LBB252_63:
	s_waitcnt vmcnt(0)
	v_lshlrev_b32_e32 v21, 16, v3
	v_cmp_o_f32_e32 vcc, v21, v21
	v_mov_b32_e32 v2, v3
	s_and_saveexec_b64 s[8:9], vcc
; %bb.64:
	v_cmp_lt_f32_e32 vcc, v1, v21
	v_cndmask_b32_e32 v2, v11, v3, vcc
; %bb.65:
	s_or_b64 exec, exec, s[8:9]
	v_mov_b32_e32 v11, v2
.LBB252_66:
	s_or_b64 exec, exec, s[4:5]
	s_add_u32 s4, s44, 0x2000
	v_mov_b32_e32 v1, s42
	s_addc_u32 s5, s45, 0
	v_mov_b32_e32 v2, s43
	v_cmp_ge_i64_e32 vcc, s[4:5], v[1:2]
	s_cbranch_vccnz .LBB252_134
; %bb.67:
	s_add_u32 s2, s36, s2
	s_addc_u32 s3, s37, s3
	v_mov_b32_e32 v1, s3
	v_add_co_u32_e32 v2, vcc, s2, v20
	s_waitcnt vmcnt(0)
	v_addc_co_u32_e32 v3, vcc, 0, v1, vcc
	v_add_co_u32_e32 v1, vcc, 0x2000, v2
	v_addc_co_u32_e32 v2, vcc, 0, v3, vcc
.LBB252_68:                             ; =>This Inner Loop Header: Depth=1
	v_add_co_u32_e32 v21, vcc, 0x1000, v1
	v_addc_co_u32_e32 v22, vcc, 0, v2, vcc
	global_load_ushort v19, v[1:2], off
	global_load_ushort v18, v[1:2], off offset:512
	global_load_ushort v17, v[1:2], off offset:1024
	;; [unrolled: 1-line block ×7, first 2 shown]
	global_load_ushort v10, v[21:22], off
	global_load_ushort v9, v[21:22], off offset:512
	global_load_ushort v8, v[21:22], off offset:1024
	;; [unrolled: 1-line block ×7, first 2 shown]
	v_lshlrev_b32_e32 v21, 16, v11
	v_cmp_o_f32_e32 vcc, v21, v21
	s_and_saveexec_b64 s[2:3], vcc
	s_cbranch_execnz .LBB252_84
; %bb.69:                               ;   in Loop: Header=BB252_68 Depth=1
	s_or_b64 exec, exec, s[2:3]
	v_cmp_o_f32_e32 vcc, v21, v21
	s_and_saveexec_b64 s[2:3], vcc
	s_cbranch_execnz .LBB252_87
.LBB252_70:                             ;   in Loop: Header=BB252_68 Depth=1
	s_or_b64 exec, exec, s[2:3]
	v_cmp_o_f32_e32 vcc, v21, v21
	s_and_saveexec_b64 s[2:3], vcc
	s_cbranch_execnz .LBB252_90
.LBB252_71:                             ;   in Loop: Header=BB252_68 Depth=1
	s_or_b64 exec, exec, s[2:3]
	v_cmp_o_f32_e32 vcc, v21, v21
	s_and_saveexec_b64 s[2:3], vcc
	s_cbranch_execnz .LBB252_93
.LBB252_72:                             ;   in Loop: Header=BB252_68 Depth=1
	s_or_b64 exec, exec, s[2:3]
	v_cmp_o_f32_e32 vcc, v21, v21
	s_and_saveexec_b64 s[2:3], vcc
	s_cbranch_execnz .LBB252_96
.LBB252_73:                             ;   in Loop: Header=BB252_68 Depth=1
	s_or_b64 exec, exec, s[2:3]
	v_cmp_o_f32_e32 vcc, v21, v21
	s_and_saveexec_b64 s[2:3], vcc
	s_cbranch_execnz .LBB252_99
.LBB252_74:                             ;   in Loop: Header=BB252_68 Depth=1
	s_or_b64 exec, exec, s[2:3]
	v_cmp_o_f32_e32 vcc, v21, v21
	s_and_saveexec_b64 s[2:3], vcc
	s_cbranch_execnz .LBB252_102
.LBB252_75:                             ;   in Loop: Header=BB252_68 Depth=1
	s_or_b64 exec, exec, s[2:3]
	v_cmp_o_f32_e32 vcc, v21, v21
	s_and_saveexec_b64 s[2:3], vcc
	s_cbranch_execnz .LBB252_105
.LBB252_76:                             ;   in Loop: Header=BB252_68 Depth=1
	s_or_b64 exec, exec, s[2:3]
	v_cmp_o_f32_e32 vcc, v21, v21
	s_and_saveexec_b64 s[2:3], vcc
	s_cbranch_execnz .LBB252_108
.LBB252_77:                             ;   in Loop: Header=BB252_68 Depth=1
	s_or_b64 exec, exec, s[2:3]
	v_cmp_o_f32_e32 vcc, v21, v21
	s_and_saveexec_b64 s[2:3], vcc
	s_cbranch_execnz .LBB252_111
.LBB252_78:                             ;   in Loop: Header=BB252_68 Depth=1
	s_or_b64 exec, exec, s[2:3]
	v_cmp_o_f32_e32 vcc, v21, v21
	s_and_saveexec_b64 s[2:3], vcc
	s_cbranch_execnz .LBB252_114
.LBB252_79:                             ;   in Loop: Header=BB252_68 Depth=1
	s_or_b64 exec, exec, s[2:3]
	v_cmp_o_f32_e32 vcc, v21, v21
	s_and_saveexec_b64 s[2:3], vcc
	s_cbranch_execnz .LBB252_117
.LBB252_80:                             ;   in Loop: Header=BB252_68 Depth=1
	s_or_b64 exec, exec, s[2:3]
	v_cmp_o_f32_e32 vcc, v21, v21
	s_and_saveexec_b64 s[2:3], vcc
	s_cbranch_execnz .LBB252_120
.LBB252_81:                             ;   in Loop: Header=BB252_68 Depth=1
	s_or_b64 exec, exec, s[2:3]
	v_cmp_o_f32_e32 vcc, v21, v21
	s_and_saveexec_b64 s[2:3], vcc
	s_cbranch_execnz .LBB252_123
.LBB252_82:                             ;   in Loop: Header=BB252_68 Depth=1
	s_or_b64 exec, exec, s[2:3]
	v_cmp_o_f32_e32 vcc, v21, v21
	s_and_saveexec_b64 s[2:3], vcc
	s_cbranch_execnz .LBB252_126
.LBB252_83:                             ;   in Loop: Header=BB252_68 Depth=1
	s_or_b64 exec, exec, s[2:3]
	v_cmp_o_f32_e32 vcc, v21, v21
	s_and_saveexec_b64 s[2:3], vcc
	s_cbranch_execnz .LBB252_129
	s_branch .LBB252_132
.LBB252_84:                             ;   in Loop: Header=BB252_68 Depth=1
	s_waitcnt vmcnt(15)
	v_lshlrev_b32_e32 v22, 16, v19
	v_cmp_o_f32_e32 vcc, v22, v22
	v_mov_b32_e32 v23, v19
	s_and_saveexec_b64 s[4:5], vcc
; %bb.85:                               ;   in Loop: Header=BB252_68 Depth=1
	v_cmp_lt_f32_e32 vcc, v21, v22
	v_cndmask_b32_e32 v23, v11, v19, vcc
	v_lshlrev_b32_e32 v22, 16, v23
; %bb.86:                               ;   in Loop: Header=BB252_68 Depth=1
	s_or_b64 exec, exec, s[4:5]
	v_mov_b32_e32 v21, v22
	v_mov_b32_e32 v11, v23
	s_or_b64 exec, exec, s[2:3]
	v_cmp_o_f32_e32 vcc, v21, v21
	s_and_saveexec_b64 s[2:3], vcc
	s_cbranch_execz .LBB252_70
.LBB252_87:                             ;   in Loop: Header=BB252_68 Depth=1
	s_waitcnt vmcnt(14)
	v_lshlrev_b32_e32 v22, 16, v18
	v_cmp_o_f32_e32 vcc, v22, v22
	v_mov_b32_e32 v23, v18
	s_and_saveexec_b64 s[4:5], vcc
; %bb.88:                               ;   in Loop: Header=BB252_68 Depth=1
	v_cmp_lt_f32_e32 vcc, v21, v22
	v_cndmask_b32_e32 v23, v11, v18, vcc
	v_lshlrev_b32_e32 v22, 16, v23
; %bb.89:                               ;   in Loop: Header=BB252_68 Depth=1
	s_or_b64 exec, exec, s[4:5]
	v_mov_b32_e32 v21, v22
	v_mov_b32_e32 v11, v23
	s_or_b64 exec, exec, s[2:3]
	v_cmp_o_f32_e32 vcc, v21, v21
	s_and_saveexec_b64 s[2:3], vcc
	s_cbranch_execz .LBB252_71
.LBB252_90:                             ;   in Loop: Header=BB252_68 Depth=1
	s_waitcnt vmcnt(13)
	v_lshlrev_b32_e32 v22, 16, v17
	v_cmp_o_f32_e32 vcc, v22, v22
	v_mov_b32_e32 v23, v17
	s_and_saveexec_b64 s[4:5], vcc
; %bb.91:                               ;   in Loop: Header=BB252_68 Depth=1
	v_cmp_lt_f32_e32 vcc, v21, v22
	v_cndmask_b32_e32 v23, v11, v17, vcc
	v_lshlrev_b32_e32 v22, 16, v23
; %bb.92:                               ;   in Loop: Header=BB252_68 Depth=1
	s_or_b64 exec, exec, s[4:5]
	v_mov_b32_e32 v21, v22
	v_mov_b32_e32 v11, v23
	s_or_b64 exec, exec, s[2:3]
	v_cmp_o_f32_e32 vcc, v21, v21
	s_and_saveexec_b64 s[2:3], vcc
	s_cbranch_execz .LBB252_72
.LBB252_93:                             ;   in Loop: Header=BB252_68 Depth=1
	s_waitcnt vmcnt(12)
	v_lshlrev_b32_e32 v22, 16, v16
	v_cmp_o_f32_e32 vcc, v22, v22
	v_mov_b32_e32 v23, v16
	s_and_saveexec_b64 s[4:5], vcc
; %bb.94:                               ;   in Loop: Header=BB252_68 Depth=1
	v_cmp_lt_f32_e32 vcc, v21, v22
	v_cndmask_b32_e32 v23, v11, v16, vcc
	v_lshlrev_b32_e32 v22, 16, v23
; %bb.95:                               ;   in Loop: Header=BB252_68 Depth=1
	s_or_b64 exec, exec, s[4:5]
	v_mov_b32_e32 v21, v22
	v_mov_b32_e32 v11, v23
	s_or_b64 exec, exec, s[2:3]
	v_cmp_o_f32_e32 vcc, v21, v21
	s_and_saveexec_b64 s[2:3], vcc
	s_cbranch_execz .LBB252_73
.LBB252_96:                             ;   in Loop: Header=BB252_68 Depth=1
	s_waitcnt vmcnt(11)
	v_lshlrev_b32_e32 v22, 16, v15
	v_cmp_o_f32_e32 vcc, v22, v22
	v_mov_b32_e32 v23, v15
	s_and_saveexec_b64 s[4:5], vcc
; %bb.97:                               ;   in Loop: Header=BB252_68 Depth=1
	v_cmp_lt_f32_e32 vcc, v21, v22
	v_cndmask_b32_e32 v23, v11, v15, vcc
	v_lshlrev_b32_e32 v22, 16, v23
; %bb.98:                               ;   in Loop: Header=BB252_68 Depth=1
	s_or_b64 exec, exec, s[4:5]
	v_mov_b32_e32 v21, v22
	v_mov_b32_e32 v11, v23
	s_or_b64 exec, exec, s[2:3]
	v_cmp_o_f32_e32 vcc, v21, v21
	s_and_saveexec_b64 s[2:3], vcc
	s_cbranch_execz .LBB252_74
.LBB252_99:                             ;   in Loop: Header=BB252_68 Depth=1
	s_waitcnt vmcnt(10)
	v_lshlrev_b32_e32 v22, 16, v14
	v_cmp_o_f32_e32 vcc, v22, v22
	v_mov_b32_e32 v23, v14
	s_and_saveexec_b64 s[4:5], vcc
; %bb.100:                              ;   in Loop: Header=BB252_68 Depth=1
	v_cmp_lt_f32_e32 vcc, v21, v22
	v_cndmask_b32_e32 v23, v11, v14, vcc
	v_lshlrev_b32_e32 v22, 16, v23
; %bb.101:                              ;   in Loop: Header=BB252_68 Depth=1
	s_or_b64 exec, exec, s[4:5]
	v_mov_b32_e32 v21, v22
	v_mov_b32_e32 v11, v23
	s_or_b64 exec, exec, s[2:3]
	v_cmp_o_f32_e32 vcc, v21, v21
	s_and_saveexec_b64 s[2:3], vcc
	s_cbranch_execz .LBB252_75
.LBB252_102:                            ;   in Loop: Header=BB252_68 Depth=1
	s_waitcnt vmcnt(9)
	v_lshlrev_b32_e32 v22, 16, v13
	v_cmp_o_f32_e32 vcc, v22, v22
	v_mov_b32_e32 v23, v13
	s_and_saveexec_b64 s[4:5], vcc
; %bb.103:                              ;   in Loop: Header=BB252_68 Depth=1
	v_cmp_lt_f32_e32 vcc, v21, v22
	v_cndmask_b32_e32 v23, v11, v13, vcc
	v_lshlrev_b32_e32 v22, 16, v23
; %bb.104:                              ;   in Loop: Header=BB252_68 Depth=1
	s_or_b64 exec, exec, s[4:5]
	v_mov_b32_e32 v21, v22
	v_mov_b32_e32 v11, v23
	s_or_b64 exec, exec, s[2:3]
	v_cmp_o_f32_e32 vcc, v21, v21
	s_and_saveexec_b64 s[2:3], vcc
	s_cbranch_execz .LBB252_76
.LBB252_105:                            ;   in Loop: Header=BB252_68 Depth=1
	s_waitcnt vmcnt(8)
	v_lshlrev_b32_e32 v22, 16, v12
	v_cmp_o_f32_e32 vcc, v22, v22
	v_mov_b32_e32 v23, v12
	s_and_saveexec_b64 s[4:5], vcc
; %bb.106:                              ;   in Loop: Header=BB252_68 Depth=1
	v_cmp_lt_f32_e32 vcc, v21, v22
	v_cndmask_b32_e32 v23, v11, v12, vcc
	v_lshlrev_b32_e32 v22, 16, v23
; %bb.107:                              ;   in Loop: Header=BB252_68 Depth=1
	s_or_b64 exec, exec, s[4:5]
	v_mov_b32_e32 v21, v22
	v_mov_b32_e32 v11, v23
	s_or_b64 exec, exec, s[2:3]
	v_cmp_o_f32_e32 vcc, v21, v21
	s_and_saveexec_b64 s[2:3], vcc
	s_cbranch_execz .LBB252_77
.LBB252_108:                            ;   in Loop: Header=BB252_68 Depth=1
	s_waitcnt vmcnt(7)
	v_lshlrev_b32_e32 v22, 16, v10
	v_cmp_o_f32_e32 vcc, v22, v22
	v_mov_b32_e32 v23, v10
	s_and_saveexec_b64 s[4:5], vcc
; %bb.109:                              ;   in Loop: Header=BB252_68 Depth=1
	v_cmp_lt_f32_e32 vcc, v21, v22
	v_cndmask_b32_e32 v23, v11, v10, vcc
	v_lshlrev_b32_e32 v22, 16, v23
; %bb.110:                              ;   in Loop: Header=BB252_68 Depth=1
	s_or_b64 exec, exec, s[4:5]
	v_mov_b32_e32 v21, v22
	v_mov_b32_e32 v11, v23
	s_or_b64 exec, exec, s[2:3]
	v_cmp_o_f32_e32 vcc, v21, v21
	s_and_saveexec_b64 s[2:3], vcc
	s_cbranch_execz .LBB252_78
.LBB252_111:                            ;   in Loop: Header=BB252_68 Depth=1
	s_waitcnt vmcnt(6)
	v_lshlrev_b32_e32 v22, 16, v9
	v_cmp_o_f32_e32 vcc, v22, v22
	v_mov_b32_e32 v23, v9
	s_and_saveexec_b64 s[4:5], vcc
; %bb.112:                              ;   in Loop: Header=BB252_68 Depth=1
	v_cmp_lt_f32_e32 vcc, v21, v22
	v_cndmask_b32_e32 v23, v11, v9, vcc
	v_lshlrev_b32_e32 v22, 16, v23
; %bb.113:                              ;   in Loop: Header=BB252_68 Depth=1
	s_or_b64 exec, exec, s[4:5]
	v_mov_b32_e32 v21, v22
	v_mov_b32_e32 v11, v23
	s_or_b64 exec, exec, s[2:3]
	v_cmp_o_f32_e32 vcc, v21, v21
	s_and_saveexec_b64 s[2:3], vcc
	s_cbranch_execz .LBB252_79
.LBB252_114:                            ;   in Loop: Header=BB252_68 Depth=1
	s_waitcnt vmcnt(5)
	v_lshlrev_b32_e32 v22, 16, v8
	v_cmp_o_f32_e32 vcc, v22, v22
	v_mov_b32_e32 v23, v8
	s_and_saveexec_b64 s[4:5], vcc
; %bb.115:                              ;   in Loop: Header=BB252_68 Depth=1
	v_cmp_lt_f32_e32 vcc, v21, v22
	v_cndmask_b32_e32 v23, v11, v8, vcc
	v_lshlrev_b32_e32 v22, 16, v23
; %bb.116:                              ;   in Loop: Header=BB252_68 Depth=1
	s_or_b64 exec, exec, s[4:5]
	v_mov_b32_e32 v21, v22
	v_mov_b32_e32 v11, v23
	s_or_b64 exec, exec, s[2:3]
	v_cmp_o_f32_e32 vcc, v21, v21
	s_and_saveexec_b64 s[2:3], vcc
	s_cbranch_execz .LBB252_80
.LBB252_117:                            ;   in Loop: Header=BB252_68 Depth=1
	s_waitcnt vmcnt(4)
	v_lshlrev_b32_e32 v22, 16, v7
	v_cmp_o_f32_e32 vcc, v22, v22
	v_mov_b32_e32 v23, v7
	s_and_saveexec_b64 s[4:5], vcc
; %bb.118:                              ;   in Loop: Header=BB252_68 Depth=1
	v_cmp_lt_f32_e32 vcc, v21, v22
	v_cndmask_b32_e32 v23, v11, v7, vcc
	v_lshlrev_b32_e32 v22, 16, v23
; %bb.119:                              ;   in Loop: Header=BB252_68 Depth=1
	s_or_b64 exec, exec, s[4:5]
	v_mov_b32_e32 v21, v22
	v_mov_b32_e32 v11, v23
	s_or_b64 exec, exec, s[2:3]
	v_cmp_o_f32_e32 vcc, v21, v21
	s_and_saveexec_b64 s[2:3], vcc
	s_cbranch_execz .LBB252_81
.LBB252_120:                            ;   in Loop: Header=BB252_68 Depth=1
	s_waitcnt vmcnt(3)
	v_lshlrev_b32_e32 v22, 16, v6
	v_cmp_o_f32_e32 vcc, v22, v22
	v_mov_b32_e32 v23, v6
	s_and_saveexec_b64 s[4:5], vcc
; %bb.121:                              ;   in Loop: Header=BB252_68 Depth=1
	v_cmp_lt_f32_e32 vcc, v21, v22
	v_cndmask_b32_e32 v23, v11, v6, vcc
	v_lshlrev_b32_e32 v22, 16, v23
; %bb.122:                              ;   in Loop: Header=BB252_68 Depth=1
	s_or_b64 exec, exec, s[4:5]
	v_mov_b32_e32 v21, v22
	v_mov_b32_e32 v11, v23
	s_or_b64 exec, exec, s[2:3]
	v_cmp_o_f32_e32 vcc, v21, v21
	s_and_saveexec_b64 s[2:3], vcc
	s_cbranch_execz .LBB252_82
.LBB252_123:                            ;   in Loop: Header=BB252_68 Depth=1
	s_waitcnt vmcnt(2)
	v_lshlrev_b32_e32 v22, 16, v5
	v_cmp_o_f32_e32 vcc, v22, v22
	v_mov_b32_e32 v23, v5
	s_and_saveexec_b64 s[4:5], vcc
; %bb.124:                              ;   in Loop: Header=BB252_68 Depth=1
	v_cmp_lt_f32_e32 vcc, v21, v22
	v_cndmask_b32_e32 v23, v11, v5, vcc
	v_lshlrev_b32_e32 v22, 16, v23
; %bb.125:                              ;   in Loop: Header=BB252_68 Depth=1
	s_or_b64 exec, exec, s[4:5]
	v_mov_b32_e32 v21, v22
	v_mov_b32_e32 v11, v23
	s_or_b64 exec, exec, s[2:3]
	v_cmp_o_f32_e32 vcc, v21, v21
	s_and_saveexec_b64 s[2:3], vcc
	s_cbranch_execz .LBB252_83
.LBB252_126:                            ;   in Loop: Header=BB252_68 Depth=1
	s_waitcnt vmcnt(1)
	v_lshlrev_b32_e32 v22, 16, v4
	v_cmp_o_f32_e32 vcc, v22, v22
	v_mov_b32_e32 v23, v4
	s_and_saveexec_b64 s[4:5], vcc
; %bb.127:                              ;   in Loop: Header=BB252_68 Depth=1
	v_cmp_lt_f32_e32 vcc, v21, v22
	v_cndmask_b32_e32 v23, v11, v4, vcc
	v_lshlrev_b32_e32 v22, 16, v23
; %bb.128:                              ;   in Loop: Header=BB252_68 Depth=1
	s_or_b64 exec, exec, s[4:5]
	v_mov_b32_e32 v21, v22
	v_mov_b32_e32 v11, v23
	s_or_b64 exec, exec, s[2:3]
	v_cmp_o_f32_e32 vcc, v21, v21
	s_and_saveexec_b64 s[2:3], vcc
	s_cbranch_execz .LBB252_132
.LBB252_129:                            ;   in Loop: Header=BB252_68 Depth=1
	s_waitcnt vmcnt(0)
	v_lshlrev_b32_e32 v23, 16, v3
	v_cmp_o_f32_e32 vcc, v23, v23
	v_mov_b32_e32 v22, v3
	s_and_saveexec_b64 s[4:5], vcc
; %bb.130:                              ;   in Loop: Header=BB252_68 Depth=1
	v_cmp_lt_f32_e32 vcc, v21, v23
	v_cndmask_b32_e32 v22, v11, v3, vcc
; %bb.131:                              ;   in Loop: Header=BB252_68 Depth=1
	s_or_b64 exec, exec, s[4:5]
	v_mov_b32_e32 v11, v22
.LBB252_132:                            ;   in Loop: Header=BB252_68 Depth=1
	s_or_b64 exec, exec, s[2:3]
	s_add_u32 s2, s0, 0x1000
	s_addc_u32 s3, s1, 0
	s_add_u32 s0, s0, 0x2000
	v_mov_b32_e32 v21, s42
	s_addc_u32 s1, s1, 0
	v_mov_b32_e32 v22, s43
	v_add_co_u32_e32 v1, vcc, 0x2000, v1
	v_cmp_lt_i64_e64 s[0:1], s[0:1], v[21:22]
	v_addc_co_u32_e32 v2, vcc, 0, v2, vcc
	s_and_b64 vcc, exec, s[0:1]
	s_cbranch_vccz .LBB252_135
; %bb.133:                              ;   in Loop: Header=BB252_68 Depth=1
	s_mov_b64 s[0:1], s[2:3]
	s_branch .LBB252_68
.LBB252_134:
	s_mov_b64 s[2:3], s[0:1]
.LBB252_135:
	s_sub_i32 s50, s42, s2
	s_lshl_b64 s[0:1], s[2:3], 1
	s_add_u32 s46, s36, s0
	s_addc_u32 s47, s37, s1
	v_cmp_gt_u32_e64 s[30:31], s50, v0
	s_and_saveexec_b64 s[0:1], s[30:31]
	s_cbranch_execz .LBB252_137
; %bb.136:
	global_load_ushort v19, v20, s[46:47]
.LBB252_137:
	s_or_b64 exec, exec, s[0:1]
	v_or_b32_e32 v1, 0x100, v0
	v_cmp_gt_u32_e64 s[28:29], s50, v1
	s_and_saveexec_b64 s[0:1], s[28:29]
	s_cbranch_execz .LBB252_139
; %bb.138:
	global_load_ushort v18, v20, s[46:47] offset:512
.LBB252_139:
	s_or_b64 exec, exec, s[0:1]
	v_or_b32_e32 v1, 0x200, v0
	v_cmp_gt_u32_e64 s[26:27], s50, v1
	s_and_saveexec_b64 s[0:1], s[26:27]
	s_cbranch_execz .LBB252_141
; %bb.140:
	global_load_ushort v17, v20, s[46:47] offset:1024
.LBB252_141:
	;; [unrolled: 8-line block ×7, first 2 shown]
	s_or_b64 exec, exec, s[0:1]
	v_or_b32_e32 v1, 0x800, v0
	v_cmp_gt_u32_e64 s[14:15], s50, v1
	s_and_saveexec_b64 s[0:1], s[14:15]
	s_cbranch_execz .LBB252_153
; %bb.152:
	v_lshlrev_b32_e32 v1, 1, v1
	global_load_ushort v10, v1, s[46:47]
.LBB252_153:
	s_or_b64 exec, exec, s[0:1]
	v_or_b32_e32 v1, 0x900, v0
	v_cmp_gt_u32_e64 s[12:13], s50, v1
	s_and_saveexec_b64 s[0:1], s[12:13]
	s_cbranch_execz .LBB252_155
; %bb.154:
	v_lshlrev_b32_e32 v1, 1, v1
	global_load_ushort v9, v1, s[46:47]
.LBB252_155:
	;; [unrolled: 9-line block ×7, first 2 shown]
	s_or_b64 exec, exec, s[48:49]
	v_or_b32_e32 v1, 0xf00, v0
	v_cmp_gt_u32_e32 vcc, s50, v1
	s_and_saveexec_b64 s[48:49], vcc
	s_cbranch_execnz .LBB252_182
; %bb.166:
	s_or_b64 exec, exec, s[48:49]
	s_and_saveexec_b64 s[46:47], s[30:31]
	s_cbranch_execnz .LBB252_183
.LBB252_167:
	s_or_b64 exec, exec, s[46:47]
	s_and_saveexec_b64 s[30:31], s[28:29]
	s_cbranch_execnz .LBB252_188
.LBB252_168:
	s_or_b64 exec, exec, s[30:31]
	s_and_saveexec_b64 s[28:29], s[26:27]
	s_cbranch_execnz .LBB252_193
.LBB252_169:
	s_or_b64 exec, exec, s[28:29]
	s_and_saveexec_b64 s[26:27], s[24:25]
	s_cbranch_execnz .LBB252_198
.LBB252_170:
	s_or_b64 exec, exec, s[26:27]
	s_and_saveexec_b64 s[24:25], s[22:23]
	s_cbranch_execnz .LBB252_203
.LBB252_171:
	s_or_b64 exec, exec, s[24:25]
	s_and_saveexec_b64 s[22:23], s[20:21]
	s_cbranch_execnz .LBB252_208
.LBB252_172:
	s_or_b64 exec, exec, s[22:23]
	s_and_saveexec_b64 s[20:21], s[18:19]
	s_cbranch_execnz .LBB252_213
.LBB252_173:
	s_or_b64 exec, exec, s[20:21]
	s_and_saveexec_b64 s[18:19], s[16:17]
	s_cbranch_execnz .LBB252_218
.LBB252_174:
	s_or_b64 exec, exec, s[18:19]
	s_and_saveexec_b64 s[16:17], s[14:15]
	s_cbranch_execnz .LBB252_223
.LBB252_175:
	s_or_b64 exec, exec, s[16:17]
	s_and_saveexec_b64 s[14:15], s[12:13]
	s_cbranch_execnz .LBB252_228
.LBB252_176:
	s_or_b64 exec, exec, s[14:15]
	s_and_saveexec_b64 s[12:13], s[10:11]
	s_cbranch_execnz .LBB252_233
.LBB252_177:
	s_or_b64 exec, exec, s[12:13]
	s_and_saveexec_b64 s[10:11], s[8:9]
	s_cbranch_execnz .LBB252_238
.LBB252_178:
	s_or_b64 exec, exec, s[10:11]
	s_and_saveexec_b64 s[8:9], s[4:5]
	s_cbranch_execnz .LBB252_243
.LBB252_179:
	s_or_b64 exec, exec, s[8:9]
	s_and_saveexec_b64 s[4:5], s[2:3]
	s_cbranch_execnz .LBB252_248
.LBB252_180:
	s_or_b64 exec, exec, s[4:5]
	s_and_saveexec_b64 s[2:3], s[0:1]
	s_cbranch_execnz .LBB252_253
.LBB252_181:
	s_or_b64 exec, exec, s[2:3]
	s_and_saveexec_b64 s[0:1], vcc
	s_cbranch_execnz .LBB252_258
	s_branch .LBB252_263
.LBB252_182:
	v_lshlrev_b32_e32 v1, 1, v1
	global_load_ushort v3, v1, s[46:47]
	s_or_b64 exec, exec, s[48:49]
	s_and_saveexec_b64 s[46:47], s[30:31]
	s_cbranch_execz .LBB252_167
.LBB252_183:
	v_lshlrev_b32_e32 v1, 16, v11
	v_cmp_o_f32_e64 s[30:31], v1, v1
	s_and_saveexec_b64 s[48:49], s[30:31]
	s_cbranch_execz .LBB252_187
; %bb.184:
	s_waitcnt vmcnt(0)
	v_lshlrev_b32_e32 v2, 16, v19
	v_cmp_o_f32_e64 s[30:31], v2, v2
	s_and_saveexec_b64 s[50:51], s[30:31]
; %bb.185:
	v_cmp_lt_f32_e64 s[30:31], v1, v2
	v_cndmask_b32_e64 v19, v11, v19, s[30:31]
; %bb.186:
	s_or_b64 exec, exec, s[50:51]
	v_mov_b32_e32 v11, v19
.LBB252_187:
	s_or_b64 exec, exec, s[48:49]
	s_or_b64 exec, exec, s[46:47]
	s_and_saveexec_b64 s[30:31], s[28:29]
	s_cbranch_execz .LBB252_168
.LBB252_188:
	v_lshlrev_b32_e32 v1, 16, v11
	v_cmp_o_f32_e64 s[28:29], v1, v1
	s_and_saveexec_b64 s[46:47], s[28:29]
	s_cbranch_execz .LBB252_192
; %bb.189:
	s_waitcnt vmcnt(0)
	v_lshlrev_b32_e32 v2, 16, v18
	v_cmp_o_f32_e64 s[28:29], v2, v2
	s_and_saveexec_b64 s[48:49], s[28:29]
; %bb.190:
	v_cmp_lt_f32_e64 s[28:29], v1, v2
	v_cndmask_b32_e64 v18, v11, v18, s[28:29]
; %bb.191:
	s_or_b64 exec, exec, s[48:49]
	v_mov_b32_e32 v11, v18
.LBB252_192:
	s_or_b64 exec, exec, s[46:47]
	s_or_b64 exec, exec, s[30:31]
	s_and_saveexec_b64 s[28:29], s[26:27]
	s_cbranch_execz .LBB252_169
.LBB252_193:
	v_lshlrev_b32_e32 v1, 16, v11
	v_cmp_o_f32_e64 s[26:27], v1, v1
	s_and_saveexec_b64 s[30:31], s[26:27]
	s_cbranch_execz .LBB252_197
; %bb.194:
	s_waitcnt vmcnt(0)
	v_lshlrev_b32_e32 v2, 16, v17
	v_cmp_o_f32_e64 s[26:27], v2, v2
	s_and_saveexec_b64 s[46:47], s[26:27]
; %bb.195:
	v_cmp_lt_f32_e64 s[26:27], v1, v2
	v_cndmask_b32_e64 v17, v11, v17, s[26:27]
; %bb.196:
	s_or_b64 exec, exec, s[46:47]
	v_mov_b32_e32 v11, v17
.LBB252_197:
	s_or_b64 exec, exec, s[30:31]
	s_or_b64 exec, exec, s[28:29]
	s_and_saveexec_b64 s[26:27], s[24:25]
	s_cbranch_execz .LBB252_170
.LBB252_198:
	v_lshlrev_b32_e32 v1, 16, v11
	v_cmp_o_f32_e64 s[24:25], v1, v1
	s_and_saveexec_b64 s[28:29], s[24:25]
	s_cbranch_execz .LBB252_202
; %bb.199:
	s_waitcnt vmcnt(0)
	v_lshlrev_b32_e32 v2, 16, v16
	v_cmp_o_f32_e64 s[24:25], v2, v2
	s_and_saveexec_b64 s[30:31], s[24:25]
; %bb.200:
	v_cmp_lt_f32_e64 s[24:25], v1, v2
	v_cndmask_b32_e64 v16, v11, v16, s[24:25]
; %bb.201:
	s_or_b64 exec, exec, s[30:31]
	v_mov_b32_e32 v11, v16
.LBB252_202:
	s_or_b64 exec, exec, s[28:29]
	s_or_b64 exec, exec, s[26:27]
	s_and_saveexec_b64 s[24:25], s[22:23]
	s_cbranch_execz .LBB252_171
.LBB252_203:
	v_lshlrev_b32_e32 v1, 16, v11
	v_cmp_o_f32_e64 s[22:23], v1, v1
	s_and_saveexec_b64 s[26:27], s[22:23]
	s_cbranch_execz .LBB252_207
; %bb.204:
	s_waitcnt vmcnt(0)
	v_lshlrev_b32_e32 v2, 16, v15
	v_cmp_o_f32_e64 s[22:23], v2, v2
	s_and_saveexec_b64 s[28:29], s[22:23]
; %bb.205:
	v_cmp_lt_f32_e64 s[22:23], v1, v2
	v_cndmask_b32_e64 v15, v11, v15, s[22:23]
; %bb.206:
	s_or_b64 exec, exec, s[28:29]
	v_mov_b32_e32 v11, v15
.LBB252_207:
	s_or_b64 exec, exec, s[26:27]
	s_or_b64 exec, exec, s[24:25]
	s_and_saveexec_b64 s[22:23], s[20:21]
	s_cbranch_execz .LBB252_172
.LBB252_208:
	v_lshlrev_b32_e32 v1, 16, v11
	v_cmp_o_f32_e64 s[20:21], v1, v1
	s_and_saveexec_b64 s[24:25], s[20:21]
	s_cbranch_execz .LBB252_212
; %bb.209:
	s_waitcnt vmcnt(0)
	v_lshlrev_b32_e32 v2, 16, v14
	v_cmp_o_f32_e64 s[20:21], v2, v2
	s_and_saveexec_b64 s[26:27], s[20:21]
; %bb.210:
	v_cmp_lt_f32_e64 s[20:21], v1, v2
	v_cndmask_b32_e64 v14, v11, v14, s[20:21]
; %bb.211:
	s_or_b64 exec, exec, s[26:27]
	v_mov_b32_e32 v11, v14
.LBB252_212:
	s_or_b64 exec, exec, s[24:25]
	s_or_b64 exec, exec, s[22:23]
	s_and_saveexec_b64 s[20:21], s[18:19]
	s_cbranch_execz .LBB252_173
.LBB252_213:
	v_lshlrev_b32_e32 v1, 16, v11
	v_cmp_o_f32_e64 s[18:19], v1, v1
	s_and_saveexec_b64 s[22:23], s[18:19]
	s_cbranch_execz .LBB252_217
; %bb.214:
	s_waitcnt vmcnt(0)
	v_lshlrev_b32_e32 v2, 16, v13
	v_cmp_o_f32_e64 s[18:19], v2, v2
	s_and_saveexec_b64 s[24:25], s[18:19]
; %bb.215:
	v_cmp_lt_f32_e64 s[18:19], v1, v2
	v_cndmask_b32_e64 v13, v11, v13, s[18:19]
; %bb.216:
	s_or_b64 exec, exec, s[24:25]
	v_mov_b32_e32 v11, v13
.LBB252_217:
	s_or_b64 exec, exec, s[22:23]
	s_or_b64 exec, exec, s[20:21]
	s_and_saveexec_b64 s[18:19], s[16:17]
	s_cbranch_execz .LBB252_174
.LBB252_218:
	v_lshlrev_b32_e32 v1, 16, v11
	v_cmp_o_f32_e64 s[16:17], v1, v1
	s_and_saveexec_b64 s[20:21], s[16:17]
	s_cbranch_execz .LBB252_222
; %bb.219:
	s_waitcnt vmcnt(0)
	v_lshlrev_b32_e32 v2, 16, v12
	v_cmp_o_f32_e64 s[16:17], v2, v2
	s_and_saveexec_b64 s[22:23], s[16:17]
; %bb.220:
	v_cmp_lt_f32_e64 s[16:17], v1, v2
	v_cndmask_b32_e64 v12, v11, v12, s[16:17]
; %bb.221:
	s_or_b64 exec, exec, s[22:23]
	v_mov_b32_e32 v11, v12
.LBB252_222:
	s_or_b64 exec, exec, s[20:21]
	s_or_b64 exec, exec, s[18:19]
	s_and_saveexec_b64 s[16:17], s[14:15]
	s_cbranch_execz .LBB252_175
.LBB252_223:
	v_lshlrev_b32_e32 v1, 16, v11
	v_cmp_o_f32_e64 s[14:15], v1, v1
	s_and_saveexec_b64 s[18:19], s[14:15]
	s_cbranch_execz .LBB252_227
; %bb.224:
	s_waitcnt vmcnt(0)
	v_lshlrev_b32_e32 v2, 16, v10
	v_cmp_o_f32_e64 s[14:15], v2, v2
	s_and_saveexec_b64 s[20:21], s[14:15]
; %bb.225:
	v_cmp_lt_f32_e64 s[14:15], v1, v2
	v_cndmask_b32_e64 v10, v11, v10, s[14:15]
; %bb.226:
	s_or_b64 exec, exec, s[20:21]
	v_mov_b32_e32 v11, v10
.LBB252_227:
	s_or_b64 exec, exec, s[18:19]
	s_or_b64 exec, exec, s[16:17]
	s_and_saveexec_b64 s[14:15], s[12:13]
	s_cbranch_execz .LBB252_176
.LBB252_228:
	v_lshlrev_b32_e32 v1, 16, v11
	v_cmp_o_f32_e64 s[12:13], v1, v1
	s_and_saveexec_b64 s[16:17], s[12:13]
	s_cbranch_execz .LBB252_232
; %bb.229:
	s_waitcnt vmcnt(0)
	v_lshlrev_b32_e32 v2, 16, v9
	v_cmp_o_f32_e64 s[12:13], v2, v2
	s_and_saveexec_b64 s[18:19], s[12:13]
; %bb.230:
	v_cmp_lt_f32_e64 s[12:13], v1, v2
	v_cndmask_b32_e64 v9, v11, v9, s[12:13]
; %bb.231:
	s_or_b64 exec, exec, s[18:19]
	v_mov_b32_e32 v11, v9
.LBB252_232:
	s_or_b64 exec, exec, s[16:17]
	s_or_b64 exec, exec, s[14:15]
	s_and_saveexec_b64 s[12:13], s[10:11]
	s_cbranch_execz .LBB252_177
.LBB252_233:
	v_lshlrev_b32_e32 v1, 16, v11
	v_cmp_o_f32_e64 s[10:11], v1, v1
	s_and_saveexec_b64 s[14:15], s[10:11]
	s_cbranch_execz .LBB252_237
; %bb.234:
	s_waitcnt vmcnt(0)
	v_lshlrev_b32_e32 v2, 16, v8
	v_cmp_o_f32_e64 s[10:11], v2, v2
	s_and_saveexec_b64 s[16:17], s[10:11]
; %bb.235:
	v_cmp_lt_f32_e64 s[10:11], v1, v2
	v_cndmask_b32_e64 v8, v11, v8, s[10:11]
; %bb.236:
	s_or_b64 exec, exec, s[16:17]
	v_mov_b32_e32 v11, v8
.LBB252_237:
	s_or_b64 exec, exec, s[14:15]
	s_or_b64 exec, exec, s[12:13]
	s_and_saveexec_b64 s[10:11], s[8:9]
	s_cbranch_execz .LBB252_178
.LBB252_238:
	v_lshlrev_b32_e32 v1, 16, v11
	v_cmp_o_f32_e64 s[8:9], v1, v1
	s_and_saveexec_b64 s[12:13], s[8:9]
	s_cbranch_execz .LBB252_242
; %bb.239:
	s_waitcnt vmcnt(0)
	v_lshlrev_b32_e32 v2, 16, v7
	v_cmp_o_f32_e64 s[8:9], v2, v2
	s_and_saveexec_b64 s[14:15], s[8:9]
; %bb.240:
	v_cmp_lt_f32_e64 s[8:9], v1, v2
	v_cndmask_b32_e64 v7, v11, v7, s[8:9]
; %bb.241:
	s_or_b64 exec, exec, s[14:15]
	v_mov_b32_e32 v11, v7
.LBB252_242:
	s_or_b64 exec, exec, s[12:13]
	s_or_b64 exec, exec, s[10:11]
	s_and_saveexec_b64 s[8:9], s[4:5]
	s_cbranch_execz .LBB252_179
.LBB252_243:
	v_lshlrev_b32_e32 v1, 16, v11
	v_cmp_o_f32_e64 s[4:5], v1, v1
	s_and_saveexec_b64 s[10:11], s[4:5]
	s_cbranch_execz .LBB252_247
; %bb.244:
	s_waitcnt vmcnt(0)
	v_lshlrev_b32_e32 v2, 16, v6
	v_cmp_o_f32_e64 s[4:5], v2, v2
	s_and_saveexec_b64 s[12:13], s[4:5]
; %bb.245:
	v_cmp_lt_f32_e64 s[4:5], v1, v2
	v_cndmask_b32_e64 v6, v11, v6, s[4:5]
; %bb.246:
	s_or_b64 exec, exec, s[12:13]
	v_mov_b32_e32 v11, v6
.LBB252_247:
	s_or_b64 exec, exec, s[10:11]
	s_or_b64 exec, exec, s[8:9]
	s_and_saveexec_b64 s[4:5], s[2:3]
	s_cbranch_execz .LBB252_180
.LBB252_248:
	v_lshlrev_b32_e32 v1, 16, v11
	v_cmp_o_f32_e64 s[2:3], v1, v1
	s_and_saveexec_b64 s[8:9], s[2:3]
	s_cbranch_execz .LBB252_252
; %bb.249:
	s_waitcnt vmcnt(0)
	v_lshlrev_b32_e32 v2, 16, v5
	v_cmp_o_f32_e64 s[2:3], v2, v2
	s_and_saveexec_b64 s[10:11], s[2:3]
; %bb.250:
	v_cmp_lt_f32_e64 s[2:3], v1, v2
	v_cndmask_b32_e64 v5, v11, v5, s[2:3]
; %bb.251:
	s_or_b64 exec, exec, s[10:11]
	v_mov_b32_e32 v11, v5
.LBB252_252:
	s_or_b64 exec, exec, s[8:9]
	s_or_b64 exec, exec, s[4:5]
	s_and_saveexec_b64 s[2:3], s[0:1]
	s_cbranch_execz .LBB252_181
.LBB252_253:
	v_lshlrev_b32_e32 v1, 16, v11
	v_cmp_o_f32_e64 s[0:1], v1, v1
	s_and_saveexec_b64 s[4:5], s[0:1]
	s_cbranch_execz .LBB252_257
; %bb.254:
	s_waitcnt vmcnt(0)
	v_lshlrev_b32_e32 v2, 16, v4
	v_cmp_o_f32_e64 s[0:1], v2, v2
	s_and_saveexec_b64 s[8:9], s[0:1]
; %bb.255:
	v_cmp_lt_f32_e64 s[0:1], v1, v2
	v_cndmask_b32_e64 v4, v11, v4, s[0:1]
; %bb.256:
	s_or_b64 exec, exec, s[8:9]
	v_mov_b32_e32 v11, v4
.LBB252_257:
	s_or_b64 exec, exec, s[4:5]
	s_or_b64 exec, exec, s[2:3]
	s_and_saveexec_b64 s[0:1], vcc
	s_cbranch_execz .LBB252_263
.LBB252_258:
	v_lshlrev_b32_e32 v1, 16, v11
	v_cmp_o_f32_e32 vcc, v1, v1
	s_and_saveexec_b64 s[2:3], vcc
	s_cbranch_execz .LBB252_262
; %bb.259:
	s_waitcnt vmcnt(0)
	v_lshlrev_b32_e32 v2, 16, v3
	v_cmp_o_f32_e32 vcc, v2, v2
	s_and_saveexec_b64 s[4:5], vcc
; %bb.260:
	v_cmp_lt_f32_e32 vcc, v1, v2
	v_cndmask_b32_e32 v3, v11, v3, vcc
; %bb.261:
	s_or_b64 exec, exec, s[4:5]
	v_mov_b32_e32 v11, v3
.LBB252_262:
	s_or_b64 exec, exec, s[2:3]
.LBB252_263:
	s_or_b64 exec, exec, s[0:1]
	s_waitcnt vmcnt(0)
	v_and_b32_e32 v3, 0xffff, v11
	s_nop 1
	v_mov_b32_dpp v1, v3 quad_perm:[1,0,3,2] row_mask:0xf bank_mask:0xf bound_ctrl:1
	v_lshlrev_b32_e32 v2, 16, v1
	v_cmp_o_f32_e32 vcc, v2, v2
	s_and_saveexec_b64 s[0:1], vcc
	s_xor_b64 s[0:1], exec, s[0:1]
	s_cbranch_execz .LBB252_267
; %bb.264:
	v_lshlrev_b32_e32 v3, 16, v3
	v_cmp_o_f32_e32 vcc, v3, v3
	s_and_saveexec_b64 s[2:3], vcc
; %bb.265:
	v_cmp_lt_f32_e32 vcc, v2, v3
	v_cndmask_b32_e32 v11, v1, v11, vcc
; %bb.266:
	s_or_b64 exec, exec, s[2:3]
	v_mov_b32_e32 v1, v11
.LBB252_267:
	s_or_b64 exec, exec, s[0:1]
	v_and_b32_e32 v4, 0xffff, v1
	s_nop 1
	v_mov_b32_dpp v2, v4 quad_perm:[2,3,0,1] row_mask:0xf bank_mask:0xf bound_ctrl:1
	v_lshlrev_b32_e32 v3, 16, v2
	v_cmp_o_f32_e32 vcc, v3, v3
	s_and_saveexec_b64 s[0:1], vcc
	s_cbranch_execz .LBB252_271
; %bb.268:
	v_lshlrev_b32_e32 v4, 16, v4
	v_cmp_o_f32_e32 vcc, v4, v4
	s_and_saveexec_b64 s[2:3], vcc
; %bb.269:
	v_cmp_lt_f32_e32 vcc, v3, v4
	v_cndmask_b32_e32 v1, v2, v1, vcc
; %bb.270:
	s_or_b64 exec, exec, s[2:3]
	v_mov_b32_e32 v2, v1
.LBB252_271:
	s_or_b64 exec, exec, s[0:1]
	v_and_b32_e32 v4, 0xffff, v2
	s_nop 1
	v_mov_b32_dpp v1, v4 row_ror:4 row_mask:0xf bank_mask:0xf bound_ctrl:1
	v_lshlrev_b32_e32 v3, 16, v1
	v_cmp_o_f32_e32 vcc, v3, v3
	s_and_saveexec_b64 s[0:1], vcc
	s_cbranch_execz .LBB252_275
; %bb.272:
	v_lshlrev_b32_e32 v4, 16, v4
	v_cmp_o_f32_e32 vcc, v4, v4
	s_and_saveexec_b64 s[2:3], vcc
; %bb.273:
	v_cmp_lt_f32_e32 vcc, v3, v4
	v_cndmask_b32_e32 v2, v1, v2, vcc
; %bb.274:
	s_or_b64 exec, exec, s[2:3]
	v_mov_b32_e32 v1, v2
.LBB252_275:
	s_or_b64 exec, exec, s[0:1]
	v_and_b32_e32 v4, 0xffff, v1
	s_nop 1
	v_mov_b32_dpp v2, v4 row_ror:8 row_mask:0xf bank_mask:0xf bound_ctrl:1
	v_lshlrev_b32_e32 v3, 16, v2
	v_cmp_o_f32_e32 vcc, v3, v3
	s_and_saveexec_b64 s[0:1], vcc
	s_cbranch_execz .LBB252_279
; %bb.276:
	v_lshlrev_b32_e32 v4, 16, v4
	v_cmp_o_f32_e32 vcc, v4, v4
	s_and_saveexec_b64 s[2:3], vcc
; %bb.277:
	v_cmp_lt_f32_e32 vcc, v3, v4
	v_cndmask_b32_e32 v1, v2, v1, vcc
; %bb.278:
	s_or_b64 exec, exec, s[2:3]
	v_mov_b32_e32 v2, v1
.LBB252_279:
	s_or_b64 exec, exec, s[0:1]
	v_and_b32_e32 v4, 0xffff, v2
	s_nop 1
	v_mov_b32_dpp v1, v4 row_bcast:15 row_mask:0xf bank_mask:0xf bound_ctrl:1
	v_lshlrev_b32_e32 v3, 16, v1
	v_cmp_o_f32_e32 vcc, v3, v3
	s_and_saveexec_b64 s[0:1], vcc
	s_cbranch_execz .LBB252_283
; %bb.280:
	v_lshlrev_b32_e32 v4, 16, v4
	v_cmp_o_f32_e32 vcc, v4, v4
	s_and_saveexec_b64 s[2:3], vcc
; %bb.281:
	v_cmp_lt_f32_e32 vcc, v3, v4
	v_cndmask_b32_e32 v2, v1, v2, vcc
; %bb.282:
	s_or_b64 exec, exec, s[2:3]
	v_mov_b32_e32 v1, v2
.LBB252_283:
	s_or_b64 exec, exec, s[0:1]
	v_and_b32_e32 v4, 0xffff, v1
	s_nop 1
	v_mov_b32_dpp v3, v4 row_bcast:31 row_mask:0xf bank_mask:0xf bound_ctrl:1
	v_lshlrev_b32_e32 v2, 16, v3
	v_cmp_o_f32_e32 vcc, v2, v2
	s_and_saveexec_b64 s[0:1], vcc
	s_cbranch_execz .LBB252_287
; %bb.284:
	v_lshlrev_b32_e32 v4, 16, v4
	v_cmp_o_f32_e32 vcc, v4, v4
	s_and_saveexec_b64 s[2:3], vcc
; %bb.285:
	v_cmp_lt_f32_e32 vcc, v2, v4
	v_cndmask_b32_e32 v1, v3, v1, vcc
; %bb.286:
	s_or_b64 exec, exec, s[2:3]
	v_mov_b32_e32 v3, v1
.LBB252_287:
	s_or_b64 exec, exec, s[0:1]
	v_mbcnt_lo_u32_b32 v1, -1, 0
	v_mbcnt_hi_u32_b32 v2, -1, v1
	v_lshlrev_b32_e32 v1, 2, v2
	v_or_b32_e32 v4, 0xfc, v1
	v_and_b32_e32 v3, 0xffff, v3
	ds_bpermute_b32 v3, v4, v3
	v_cmp_eq_u32_e32 vcc, 0, v2
	s_and_saveexec_b64 s[0:1], vcc
	s_cbranch_execz .LBB252_289
; %bb.288:
	v_lshrrev_b32_e32 v4, 5, v0
	v_and_b32_e32 v4, 6, v4
	s_waitcnt lgkmcnt(0)
	ds_write_b16 v4, v3
.LBB252_289:
	s_or_b64 exec, exec, s[0:1]
	v_cmp_gt_u32_e32 vcc, 64, v0
	s_waitcnt lgkmcnt(0)
	s_barrier
	s_and_saveexec_b64 s[0:1], vcc
	s_cbranch_execz .LBB252_299
; %bb.290:
	v_and_b32_e32 v4, 3, v2
	v_lshlrev_b32_e32 v3, 1, v4
	ds_read_u16 v3, v3
	v_cmp_ne_u32_e32 vcc, 3, v4
	v_addc_co_u32_e32 v2, vcc, 0, v2, vcc
	v_lshlrev_b32_e32 v2, 2, v2
	s_waitcnt lgkmcnt(0)
	v_and_b32_e32 v4, 0xffff, v3
	ds_bpermute_b32 v2, v2, v4
	v_lshlrev_b32_e32 v4, 16, v3
	v_cmp_o_f32_e32 vcc, v4, v4
	s_and_saveexec_b64 s[2:3], vcc
	s_cbranch_execz .LBB252_294
; %bb.291:
	s_waitcnt lgkmcnt(0)
	v_lshlrev_b32_e32 v5, 16, v2
	v_cmp_o_f32_e32 vcc, v5, v5
	s_and_saveexec_b64 s[4:5], vcc
; %bb.292:
	v_cmp_lt_f32_e32 vcc, v4, v5
	v_cndmask_b32_e32 v2, v3, v2, vcc
; %bb.293:
	s_or_b64 exec, exec, s[4:5]
	v_mov_b32_e32 v3, v2
.LBB252_294:
	s_or_b64 exec, exec, s[2:3]
	v_or_b32_e32 v1, 8, v1
	s_waitcnt lgkmcnt(0)
	v_and_b32_e32 v2, 0xffff, v3
	ds_bpermute_b32 v1, v1, v2
	v_lshlrev_b32_e32 v2, 16, v3
	v_cmp_o_f32_e32 vcc, v2, v2
	s_and_saveexec_b64 s[2:3], vcc
	s_cbranch_execz .LBB252_298
; %bb.295:
	s_waitcnt lgkmcnt(0)
	v_lshlrev_b32_e32 v4, 16, v1
	v_cmp_o_f32_e32 vcc, v4, v4
	s_and_saveexec_b64 s[4:5], vcc
; %bb.296:
	v_cmp_lt_f32_e32 vcc, v2, v4
	v_cndmask_b32_e32 v1, v3, v1, vcc
; %bb.297:
	s_or_b64 exec, exec, s[4:5]
	v_mov_b32_e32 v3, v1
.LBB252_298:
	s_or_b64 exec, exec, s[2:3]
.LBB252_299:
	s_or_b64 exec, exec, s[0:1]
	s_branch .LBB252_402
.LBB252_300:
	s_sub_i32 s12, s42, s44
	v_cmp_gt_u32_e32 vcc, s12, v0
                                        ; implicit-def: $vgpr5
	s_and_saveexec_b64 s[2:3], vcc
	s_cbranch_execz .LBB252_310
; %bb.301:
	s_waitcnt lgkmcnt(0)
	v_mov_b32_e32 v1, s45
	v_add_co_u32_e32 v6, vcc, s44, v0
	v_addc_co_u32_e32 v7, vcc, 0, v1, vcc
	v_lshlrev_b64 v[2:3], 1, v[6:7]
	v_mov_b32_e32 v1, s37
	v_add_co_u32_e64 v4, s[0:1], s36, v2
	v_addc_co_u32_e64 v5, vcc, v1, v3, s[0:1]
	global_load_ushort v5, v[4:5], off
	v_add_co_u32_e32 v1, vcc, 0x100, v6
	v_addc_co_u32_e32 v2, vcc, 0, v7, vcc
	v_cmp_gt_i64_e32 vcc, s[42:43], v[1:2]
	s_and_saveexec_b64 s[4:5], vcc
	s_cbranch_execz .LBB252_309
; %bb.302:
	v_mov_b32_e32 v6, s37
	v_addc_co_u32_e64 v6, vcc, v6, v3, s[0:1]
	v_add_co_u32_e32 v3, vcc, 0x200, v4
	v_addc_co_u32_e32 v4, vcc, 0, v6, vcc
	s_mov_b64 s[8:9], 0
	s_branch .LBB252_305
.LBB252_303:                            ;   in Loop: Header=BB252_305 Depth=1
	s_or_b64 exec, exec, s[10:11]
	v_mov_b32_e32 v5, v7
.LBB252_304:                            ;   in Loop: Header=BB252_305 Depth=1
	s_or_b64 exec, exec, s[0:1]
	v_add_co_u32_e32 v1, vcc, 0x100, v1
	v_addc_co_u32_e32 v2, vcc, 0, v2, vcc
	v_cmp_le_i64_e64 s[0:1], s[42:43], v[1:2]
	v_add_co_u32_e32 v3, vcc, 0x200, v3
	s_or_b64 s[8:9], s[0:1], s[8:9]
	v_addc_co_u32_e32 v4, vcc, 0, v4, vcc
	s_andn2_b64 exec, exec, s[8:9]
	s_cbranch_execz .LBB252_308
.LBB252_305:                            ; =>This Inner Loop Header: Depth=1
	s_waitcnt vmcnt(0)
	v_lshlrev_b32_e32 v6, 16, v5
	v_cmp_o_f32_e32 vcc, v6, v6
	s_and_saveexec_b64 s[0:1], vcc
	s_cbranch_execz .LBB252_304
; %bb.306:                              ;   in Loop: Header=BB252_305 Depth=1
	global_load_ushort v7, v[3:4], off
	s_waitcnt vmcnt(0)
	v_lshlrev_b32_e32 v8, 16, v7
	v_cmp_o_f32_e32 vcc, v8, v8
	s_and_saveexec_b64 s[10:11], vcc
	s_cbranch_execz .LBB252_303
; %bb.307:                              ;   in Loop: Header=BB252_305 Depth=1
	v_cmp_lt_f32_e32 vcc, v6, v8
	v_cndmask_b32_e32 v7, v5, v7, vcc
	s_branch .LBB252_303
.LBB252_308:
	s_or_b64 exec, exec, s[8:9]
.LBB252_309:
	s_or_b64 exec, exec, s[4:5]
.LBB252_310:
	s_or_b64 exec, exec, s[2:3]
	s_waitcnt lgkmcnt(0)
	v_mbcnt_lo_u32_b32 v1, -1, 0
	s_cmpk_lt_u32 s12, 0x100
	v_lshrrev_b32_e32 v2, 6, v0
	v_mbcnt_hi_u32_b32 v1, -1, v1
	s_cbranch_scc0 .LBB252_364
; %bb.311:
	v_and_b32_e32 v4, 63, v1
	v_cmp_ne_u32_e32 vcc, 63, v4
	v_addc_co_u32_e32 v6, vcc, 0, v1, vcc
	v_lshlrev_b32_e32 v6, 2, v6
	s_waitcnt vmcnt(0)
	v_and_b32_e32 v7, 0xffff, v5
	ds_bpermute_b32 v8, v6, v7
	v_and_b32_e32 v3, 0xc0, v0
	v_sub_u32_e64 v6, s12, v3 clamp
	v_add_u32_e32 v3, 1, v4
	v_cmp_lt_u32_e32 vcc, v3, v6
	v_mov_b32_e32 v3, v5
	s_and_saveexec_b64 s[0:1], vcc
	s_cbranch_execz .LBB252_317
; %bb.312:
	v_lshlrev_b32_e32 v7, 16, v7
	v_cmp_o_f32_e32 vcc, v7, v7
	v_mov_b32_e32 v3, v5
	s_and_saveexec_b64 s[2:3], vcc
	s_cbranch_execz .LBB252_316
; %bb.313:
	s_waitcnt lgkmcnt(0)
	v_lshlrev_b32_e32 v3, 16, v8
	v_cmp_o_f32_e32 vcc, v3, v3
	s_and_saveexec_b64 s[4:5], vcc
; %bb.314:
	v_cmp_lt_f32_e32 vcc, v7, v3
	v_cndmask_b32_e32 v8, v5, v8, vcc
; %bb.315:
	s_or_b64 exec, exec, s[4:5]
	v_mov_b32_e32 v3, v8
.LBB252_316:
	s_or_b64 exec, exec, s[2:3]
	v_and_b32_e32 v7, 0xffff, v3
.LBB252_317:
	s_or_b64 exec, exec, s[0:1]
	v_cmp_gt_u32_e32 vcc, 62, v4
	s_waitcnt lgkmcnt(0)
	v_cndmask_b32_e64 v8, 0, 2, vcc
	v_add_lshl_u32 v8, v8, v1, 2
	ds_bpermute_b32 v8, v8, v7
	v_add_u32_e32 v9, 2, v4
	v_cmp_lt_u32_e32 vcc, v9, v6
	s_and_saveexec_b64 s[0:1], vcc
	s_cbranch_execz .LBB252_323
; %bb.318:
	v_lshlrev_b32_e32 v7, 16, v7
	v_cmp_o_f32_e32 vcc, v7, v7
	s_and_saveexec_b64 s[2:3], vcc
	s_cbranch_execz .LBB252_322
; %bb.319:
	s_waitcnt lgkmcnt(0)
	v_lshlrev_b32_e32 v9, 16, v8
	v_cmp_o_f32_e32 vcc, v9, v9
	s_and_saveexec_b64 s[4:5], vcc
; %bb.320:
	v_cmp_lt_f32_e32 vcc, v7, v9
	v_cndmask_b32_e32 v8, v3, v8, vcc
; %bb.321:
	s_or_b64 exec, exec, s[4:5]
	v_mov_b32_e32 v3, v8
.LBB252_322:
	s_or_b64 exec, exec, s[2:3]
	v_and_b32_e32 v7, 0xffff, v3
.LBB252_323:
	s_or_b64 exec, exec, s[0:1]
	v_cmp_gt_u32_e32 vcc, 60, v4
	s_waitcnt lgkmcnt(0)
	v_cndmask_b32_e64 v8, 0, 4, vcc
	v_add_lshl_u32 v8, v8, v1, 2
	ds_bpermute_b32 v8, v8, v7
	v_add_u32_e32 v9, 4, v4
	v_cmp_lt_u32_e32 vcc, v9, v6
	s_and_saveexec_b64 s[0:1], vcc
	s_cbranch_execz .LBB252_329
; %bb.324:
	v_lshlrev_b32_e32 v7, 16, v7
	v_cmp_o_f32_e32 vcc, v7, v7
	s_and_saveexec_b64 s[2:3], vcc
	s_cbranch_execz .LBB252_328
; %bb.325:
	s_waitcnt lgkmcnt(0)
	v_lshlrev_b32_e32 v9, 16, v8
	v_cmp_o_f32_e32 vcc, v9, v9
	s_and_saveexec_b64 s[4:5], vcc
; %bb.326:
	v_cmp_lt_f32_e32 vcc, v7, v9
	v_cndmask_b32_e32 v8, v3, v8, vcc
; %bb.327:
	s_or_b64 exec, exec, s[4:5]
	v_mov_b32_e32 v3, v8
.LBB252_328:
	s_or_b64 exec, exec, s[2:3]
	v_and_b32_e32 v7, 0xffff, v3
.LBB252_329:
	;; [unrolled: 30-line block ×4, first 2 shown]
	s_or_b64 exec, exec, s[0:1]
	s_waitcnt lgkmcnt(0)
	v_lshlrev_b32_e32 v8, 2, v1
	v_or_b32_e32 v9, 0x80, v8
	ds_bpermute_b32 v9, v9, v7
	v_add_u32_e32 v4, 32, v4
	v_cmp_lt_u32_e32 vcc, v4, v6
	s_and_saveexec_b64 s[0:1], vcc
	s_cbranch_execz .LBB252_347
; %bb.342:
	v_lshlrev_b32_e32 v4, 16, v7
	v_cmp_o_f32_e32 vcc, v4, v4
	s_and_saveexec_b64 s[2:3], vcc
	s_cbranch_execz .LBB252_346
; %bb.343:
	s_waitcnt lgkmcnt(0)
	v_lshlrev_b32_e32 v6, 16, v9
	v_cmp_o_f32_e32 vcc, v6, v6
	s_and_saveexec_b64 s[4:5], vcc
; %bb.344:
	v_cmp_lt_f32_e32 vcc, v4, v6
	v_cndmask_b32_e32 v9, v3, v9, vcc
; %bb.345:
	s_or_b64 exec, exec, s[4:5]
	v_mov_b32_e32 v3, v9
.LBB252_346:
	s_or_b64 exec, exec, s[2:3]
.LBB252_347:
	s_or_b64 exec, exec, s[0:1]
	v_cmp_eq_u32_e32 vcc, 0, v1
	s_and_saveexec_b64 s[0:1], vcc
; %bb.348:
	v_lshlrev_b32_e32 v4, 1, v2
	ds_write_b16 v4, v3
; %bb.349:
	s_or_b64 exec, exec, s[0:1]
	v_cmp_gt_u32_e32 vcc, 4, v0
	s_waitcnt lgkmcnt(0)
	s_barrier
	s_and_saveexec_b64 s[0:1], vcc
	s_cbranch_execz .LBB252_363
; %bb.350:
	v_lshlrev_b32_e32 v3, 1, v1
	ds_read_u16 v3, v3
	v_and_b32_e32 v4, 3, v1
	v_cmp_ne_u32_e32 vcc, 3, v4
	v_addc_co_u32_e32 v6, vcc, 0, v1, vcc
	v_lshlrev_b32_e32 v6, 2, v6
	s_waitcnt lgkmcnt(0)
	v_and_b32_e32 v7, 0xffff, v3
	ds_bpermute_b32 v6, v6, v7
	s_add_i32 s12, s12, 63
	s_lshr_b32 s10, s12, 6
	v_add_u32_e32 v9, 1, v4
	v_cmp_gt_u32_e32 vcc, s10, v9
	s_and_saveexec_b64 s[2:3], vcc
	s_cbranch_execz .LBB252_356
; %bb.351:
	v_lshlrev_b32_e32 v7, 16, v7
	v_cmp_o_f32_e32 vcc, v7, v7
	s_and_saveexec_b64 s[4:5], vcc
	s_cbranch_execz .LBB252_355
; %bb.352:
	s_waitcnt lgkmcnt(0)
	v_lshlrev_b32_e32 v9, 16, v6
	v_cmp_o_f32_e32 vcc, v9, v9
	s_and_saveexec_b64 s[8:9], vcc
; %bb.353:
	v_cmp_lt_f32_e32 vcc, v7, v9
	v_cndmask_b32_e32 v6, v3, v6, vcc
; %bb.354:
	s_or_b64 exec, exec, s[8:9]
	v_mov_b32_e32 v3, v6
.LBB252_355:
	s_or_b64 exec, exec, s[4:5]
	v_and_b32_e32 v7, 0xffff, v3
.LBB252_356:
	s_or_b64 exec, exec, s[2:3]
	s_waitcnt lgkmcnt(0)
	v_or_b32_e32 v6, 8, v8
	ds_bpermute_b32 v6, v6, v7
	v_add_u32_e32 v4, 2, v4
	v_cmp_gt_u32_e32 vcc, s10, v4
	s_and_saveexec_b64 s[2:3], vcc
	s_cbranch_execz .LBB252_362
; %bb.357:
	v_lshlrev_b32_e32 v4, 16, v7
	v_cmp_o_f32_e32 vcc, v4, v4
	s_and_saveexec_b64 s[4:5], vcc
	s_cbranch_execz .LBB252_361
; %bb.358:
	s_waitcnt lgkmcnt(0)
	v_lshlrev_b32_e32 v7, 16, v6
	v_cmp_o_f32_e32 vcc, v7, v7
	s_and_saveexec_b64 s[8:9], vcc
; %bb.359:
	v_cmp_lt_f32_e32 vcc, v4, v7
	v_cndmask_b32_e32 v6, v3, v6, vcc
; %bb.360:
	s_or_b64 exec, exec, s[8:9]
	v_mov_b32_e32 v3, v6
.LBB252_361:
	s_or_b64 exec, exec, s[4:5]
.LBB252_362:
	s_or_b64 exec, exec, s[2:3]
.LBB252_363:
	s_or_b64 exec, exec, s[0:1]
	s_branch .LBB252_402
.LBB252_364:
                                        ; implicit-def: $vgpr3
	s_cbranch_execz .LBB252_402
; %bb.365:
	s_waitcnt vmcnt(0) lgkmcnt(0)
	v_and_b32_e32 v6, 0xffff, v5
	s_nop 1
	v_mov_b32_dpp v3, v6 quad_perm:[1,0,3,2] row_mask:0xf bank_mask:0xf bound_ctrl:1
	v_lshlrev_b32_e32 v4, 16, v3
	v_cmp_o_f32_e32 vcc, v4, v4
	s_and_saveexec_b64 s[0:1], vcc
	s_cbranch_execz .LBB252_369
; %bb.366:
	v_lshlrev_b32_e32 v6, 16, v6
	v_cmp_o_f32_e32 vcc, v6, v6
	s_and_saveexec_b64 s[2:3], vcc
; %bb.367:
	v_cmp_lt_f32_e32 vcc, v4, v6
	v_cndmask_b32_e32 v5, v3, v5, vcc
; %bb.368:
	s_or_b64 exec, exec, s[2:3]
	v_mov_b32_e32 v3, v5
.LBB252_369:
	s_or_b64 exec, exec, s[0:1]
	v_and_b32_e32 v6, 0xffff, v3
	s_nop 1
	v_mov_b32_dpp v4, v6 quad_perm:[2,3,0,1] row_mask:0xf bank_mask:0xf bound_ctrl:1
	v_lshlrev_b32_e32 v5, 16, v4
	v_cmp_o_f32_e32 vcc, v5, v5
	s_and_saveexec_b64 s[0:1], vcc
	s_cbranch_execz .LBB252_373
; %bb.370:
	v_lshlrev_b32_e32 v6, 16, v6
	v_cmp_o_f32_e32 vcc, v6, v6
	s_and_saveexec_b64 s[2:3], vcc
; %bb.371:
	v_cmp_lt_f32_e32 vcc, v5, v6
	v_cndmask_b32_e32 v3, v4, v3, vcc
; %bb.372:
	s_or_b64 exec, exec, s[2:3]
	v_mov_b32_e32 v4, v3
.LBB252_373:
	s_or_b64 exec, exec, s[0:1]
	v_and_b32_e32 v6, 0xffff, v4
	s_nop 1
	v_mov_b32_dpp v3, v6 row_ror:4 row_mask:0xf bank_mask:0xf bound_ctrl:1
	v_lshlrev_b32_e32 v5, 16, v3
	v_cmp_o_f32_e32 vcc, v5, v5
	s_and_saveexec_b64 s[0:1], vcc
	s_cbranch_execz .LBB252_377
; %bb.374:
	v_lshlrev_b32_e32 v6, 16, v6
	v_cmp_o_f32_e32 vcc, v6, v6
	s_and_saveexec_b64 s[2:3], vcc
; %bb.375:
	v_cmp_lt_f32_e32 vcc, v5, v6
	v_cndmask_b32_e32 v4, v3, v4, vcc
; %bb.376:
	s_or_b64 exec, exec, s[2:3]
	v_mov_b32_e32 v3, v4
.LBB252_377:
	s_or_b64 exec, exec, s[0:1]
	v_and_b32_e32 v6, 0xffff, v3
	s_nop 1
	v_mov_b32_dpp v4, v6 row_ror:8 row_mask:0xf bank_mask:0xf bound_ctrl:1
	v_lshlrev_b32_e32 v5, 16, v4
	v_cmp_o_f32_e32 vcc, v5, v5
	s_and_saveexec_b64 s[0:1], vcc
	s_cbranch_execz .LBB252_381
; %bb.378:
	v_lshlrev_b32_e32 v6, 16, v6
	v_cmp_o_f32_e32 vcc, v6, v6
	s_and_saveexec_b64 s[2:3], vcc
; %bb.379:
	v_cmp_lt_f32_e32 vcc, v5, v6
	v_cndmask_b32_e32 v3, v4, v3, vcc
; %bb.380:
	s_or_b64 exec, exec, s[2:3]
	v_mov_b32_e32 v4, v3
.LBB252_381:
	s_or_b64 exec, exec, s[0:1]
	v_and_b32_e32 v6, 0xffff, v4
	s_nop 1
	v_mov_b32_dpp v3, v6 row_bcast:15 row_mask:0xf bank_mask:0xf bound_ctrl:1
	v_lshlrev_b32_e32 v5, 16, v3
	v_cmp_o_f32_e32 vcc, v5, v5
	s_and_saveexec_b64 s[0:1], vcc
	s_cbranch_execz .LBB252_385
; %bb.382:
	v_lshlrev_b32_e32 v6, 16, v6
	v_cmp_o_f32_e32 vcc, v6, v6
	s_and_saveexec_b64 s[2:3], vcc
; %bb.383:
	v_cmp_lt_f32_e32 vcc, v5, v6
	v_cndmask_b32_e32 v4, v3, v4, vcc
; %bb.384:
	s_or_b64 exec, exec, s[2:3]
	v_mov_b32_e32 v3, v4
.LBB252_385:
	s_or_b64 exec, exec, s[0:1]
	v_and_b32_e32 v6, 0xffff, v3
	s_nop 1
	v_mov_b32_dpp v5, v6 row_bcast:31 row_mask:0xf bank_mask:0xf bound_ctrl:1
	v_lshlrev_b32_e32 v4, 16, v5
	v_cmp_o_f32_e32 vcc, v4, v4
	s_and_saveexec_b64 s[0:1], vcc
	s_cbranch_execz .LBB252_389
; %bb.386:
	v_lshlrev_b32_e32 v6, 16, v6
	v_cmp_o_f32_e32 vcc, v6, v6
	s_and_saveexec_b64 s[2:3], vcc
; %bb.387:
	v_cmp_lt_f32_e32 vcc, v4, v6
	v_cndmask_b32_e32 v3, v5, v3, vcc
; %bb.388:
	s_or_b64 exec, exec, s[2:3]
	v_mov_b32_e32 v5, v3
.LBB252_389:
	s_or_b64 exec, exec, s[0:1]
	v_lshlrev_b32_e32 v4, 2, v1
	v_or_b32_e32 v3, 0xfc, v4
	v_and_b32_e32 v5, 0xffff, v5
	ds_bpermute_b32 v3, v3, v5
	v_cmp_eq_u32_e32 vcc, 0, v1
	s_and_saveexec_b64 s[0:1], vcc
	s_cbranch_execz .LBB252_391
; %bb.390:
	v_lshlrev_b32_e32 v2, 1, v2
	s_waitcnt lgkmcnt(0)
	ds_write_b16 v2, v3
.LBB252_391:
	s_or_b64 exec, exec, s[0:1]
	v_cmp_gt_u32_e32 vcc, 64, v0
	s_waitcnt lgkmcnt(0)
	s_barrier
	s_and_saveexec_b64 s[0:1], vcc
	s_cbranch_execz .LBB252_401
; %bb.392:
	v_and_b32_e32 v2, 3, v1
	v_lshlrev_b32_e32 v3, 1, v2
	ds_read_u16 v3, v3
	v_cmp_ne_u32_e32 vcc, 3, v2
	v_addc_co_u32_e32 v1, vcc, 0, v1, vcc
	v_lshlrev_b32_e32 v1, 2, v1
	s_waitcnt lgkmcnt(0)
	v_and_b32_e32 v2, 0xffff, v3
	ds_bpermute_b32 v1, v1, v2
	v_lshlrev_b32_e32 v2, 16, v3
	v_cmp_o_f32_e32 vcc, v2, v2
	s_and_saveexec_b64 s[2:3], vcc
	s_cbranch_execz .LBB252_396
; %bb.393:
	s_waitcnt lgkmcnt(0)
	v_lshlrev_b32_e32 v5, 16, v1
	v_cmp_o_f32_e32 vcc, v5, v5
	s_and_saveexec_b64 s[4:5], vcc
; %bb.394:
	v_cmp_lt_f32_e32 vcc, v2, v5
	v_cndmask_b32_e32 v1, v3, v1, vcc
; %bb.395:
	s_or_b64 exec, exec, s[4:5]
	v_mov_b32_e32 v3, v1
.LBB252_396:
	s_or_b64 exec, exec, s[2:3]
	s_waitcnt lgkmcnt(0)
	v_or_b32_e32 v1, 8, v4
	v_and_b32_e32 v2, 0xffff, v3
	ds_bpermute_b32 v1, v1, v2
	v_lshlrev_b32_e32 v2, 16, v3
	v_cmp_o_f32_e32 vcc, v2, v2
	s_and_saveexec_b64 s[2:3], vcc
	s_cbranch_execz .LBB252_400
; %bb.397:
	s_waitcnt lgkmcnt(0)
	v_lshlrev_b32_e32 v4, 16, v1
	v_cmp_o_f32_e32 vcc, v4, v4
	s_and_saveexec_b64 s[4:5], vcc
; %bb.398:
	v_cmp_lt_f32_e32 vcc, v2, v4
	v_cndmask_b32_e32 v1, v3, v1, vcc
; %bb.399:
	s_or_b64 exec, exec, s[4:5]
	v_mov_b32_e32 v3, v1
.LBB252_400:
	s_or_b64 exec, exec, s[2:3]
.LBB252_401:
	s_or_b64 exec, exec, s[0:1]
.LBB252_402:
	v_cmp_eq_u32_e32 vcc, 0, v0
                                        ; implicit-def: $vgpr1
	s_and_saveexec_b64 s[0:1], vcc
	s_cbranch_execz .LBB252_408
; %bb.403:
	s_lshl_b32 s4, s33, 16
	v_cmp_u_f32_e64 s[2:3], s4, s4
	s_and_b64 vcc, exec, s[2:3]
	s_waitcnt lgkmcnt(0)
	v_mov_b32_e32 v1, s33
	s_cbranch_vccnz .LBB252_407
; %bb.404:
	v_lshlrev_b32_e32 v0, 16, v3
	v_cmp_o_f32_e32 vcc, v0, v0
	s_and_saveexec_b64 s[2:3], vcc
; %bb.405:
	v_mov_b32_e32 v1, s33
	v_cmp_lt_f32_e32 vcc, s4, v0
	v_cndmask_b32_e32 v3, v1, v3, vcc
; %bb.406:
	s_or_b64 exec, exec, s[2:3]
	v_mov_b32_e32 v1, v3
.LBB252_407:
	s_or_b64 s[34:35], s[34:35], exec
.LBB252_408:
	s_or_b64 exec, exec, s[0:1]
	s_and_saveexec_b64 s[0:1], s[34:35]
	s_cbranch_execz .LBB252_410
.LBB252_409:
	s_lshl_b64 s[0:1], s[40:41], 1
	s_add_u32 s2, s38, s0
	s_addc_u32 s3, s39, s1
	s_lshl_b64 s[0:1], s[6:7], 1
	s_add_u32 s0, s2, s0
	s_addc_u32 s1, s3, s1
	v_mov_b32_e32 v0, 0
	s_waitcnt lgkmcnt(0)
	global_store_short v0, v1, s[0:1]
.LBB252_410:
	s_endpgm
	.section	.rodata,"a",@progbits
	.p2align	6, 0x0
	.amdhsa_kernel _ZN7rocprim17ROCPRIM_400000_NS6detail17trampoline_kernelINS0_14default_configENS1_32segmented_reduce_config_selectorIN3c108BFloat16EEEZNS1_21segmented_reduce_implIS3_PKS6_PS6_PKlS6_N6hipcub16HIPCUB_304000_NS6detail27convert_result_type_wrapperISA_SB_N2at6native12_GLOBAL__N_19CustomMaxEEEEE10hipError_tPvRmT0_T1_jT2_SS_T4_T3_P12ihipStream_tbEUlT_E_NS1_11comp_targetILNS1_3genE2ELNS1_11target_archE906ELNS1_3gpuE6ELNS1_3repE0EEENS1_30default_config_static_selectorELNS0_4arch9wavefront6targetE1EEEvSR_
		.amdhsa_group_segment_fixed_size 8
		.amdhsa_private_segment_fixed_size 0
		.amdhsa_kernarg_size 48
		.amdhsa_user_sgpr_count 6
		.amdhsa_user_sgpr_private_segment_buffer 1
		.amdhsa_user_sgpr_dispatch_ptr 0
		.amdhsa_user_sgpr_queue_ptr 0
		.amdhsa_user_sgpr_kernarg_segment_ptr 1
		.amdhsa_user_sgpr_dispatch_id 0
		.amdhsa_user_sgpr_flat_scratch_init 0
		.amdhsa_user_sgpr_private_segment_size 0
		.amdhsa_uses_dynamic_stack 0
		.amdhsa_system_sgpr_private_segment_wavefront_offset 0
		.amdhsa_system_sgpr_workgroup_id_x 1
		.amdhsa_system_sgpr_workgroup_id_y 0
		.amdhsa_system_sgpr_workgroup_id_z 0
		.amdhsa_system_sgpr_workgroup_info 0
		.amdhsa_system_vgpr_workitem_id 0
		.amdhsa_next_free_vgpr 24
		.amdhsa_next_free_sgpr 52
		.amdhsa_reserve_vcc 1
		.amdhsa_reserve_flat_scratch 0
		.amdhsa_float_round_mode_32 0
		.amdhsa_float_round_mode_16_64 0
		.amdhsa_float_denorm_mode_32 3
		.amdhsa_float_denorm_mode_16_64 3
		.amdhsa_dx10_clamp 1
		.amdhsa_ieee_mode 1
		.amdhsa_fp16_overflow 0
		.amdhsa_exception_fp_ieee_invalid_op 0
		.amdhsa_exception_fp_denorm_src 0
		.amdhsa_exception_fp_ieee_div_zero 0
		.amdhsa_exception_fp_ieee_overflow 0
		.amdhsa_exception_fp_ieee_underflow 0
		.amdhsa_exception_fp_ieee_inexact 0
		.amdhsa_exception_int_div_zero 0
	.end_amdhsa_kernel
	.section	.text._ZN7rocprim17ROCPRIM_400000_NS6detail17trampoline_kernelINS0_14default_configENS1_32segmented_reduce_config_selectorIN3c108BFloat16EEEZNS1_21segmented_reduce_implIS3_PKS6_PS6_PKlS6_N6hipcub16HIPCUB_304000_NS6detail27convert_result_type_wrapperISA_SB_N2at6native12_GLOBAL__N_19CustomMaxEEEEE10hipError_tPvRmT0_T1_jT2_SS_T4_T3_P12ihipStream_tbEUlT_E_NS1_11comp_targetILNS1_3genE2ELNS1_11target_archE906ELNS1_3gpuE6ELNS1_3repE0EEENS1_30default_config_static_selectorELNS0_4arch9wavefront6targetE1EEEvSR_,"axG",@progbits,_ZN7rocprim17ROCPRIM_400000_NS6detail17trampoline_kernelINS0_14default_configENS1_32segmented_reduce_config_selectorIN3c108BFloat16EEEZNS1_21segmented_reduce_implIS3_PKS6_PS6_PKlS6_N6hipcub16HIPCUB_304000_NS6detail27convert_result_type_wrapperISA_SB_N2at6native12_GLOBAL__N_19CustomMaxEEEEE10hipError_tPvRmT0_T1_jT2_SS_T4_T3_P12ihipStream_tbEUlT_E_NS1_11comp_targetILNS1_3genE2ELNS1_11target_archE906ELNS1_3gpuE6ELNS1_3repE0EEENS1_30default_config_static_selectorELNS0_4arch9wavefront6targetE1EEEvSR_,comdat
.Lfunc_end252:
	.size	_ZN7rocprim17ROCPRIM_400000_NS6detail17trampoline_kernelINS0_14default_configENS1_32segmented_reduce_config_selectorIN3c108BFloat16EEEZNS1_21segmented_reduce_implIS3_PKS6_PS6_PKlS6_N6hipcub16HIPCUB_304000_NS6detail27convert_result_type_wrapperISA_SB_N2at6native12_GLOBAL__N_19CustomMaxEEEEE10hipError_tPvRmT0_T1_jT2_SS_T4_T3_P12ihipStream_tbEUlT_E_NS1_11comp_targetILNS1_3genE2ELNS1_11target_archE906ELNS1_3gpuE6ELNS1_3repE0EEENS1_30default_config_static_selectorELNS0_4arch9wavefront6targetE1EEEvSR_, .Lfunc_end252-_ZN7rocprim17ROCPRIM_400000_NS6detail17trampoline_kernelINS0_14default_configENS1_32segmented_reduce_config_selectorIN3c108BFloat16EEEZNS1_21segmented_reduce_implIS3_PKS6_PS6_PKlS6_N6hipcub16HIPCUB_304000_NS6detail27convert_result_type_wrapperISA_SB_N2at6native12_GLOBAL__N_19CustomMaxEEEEE10hipError_tPvRmT0_T1_jT2_SS_T4_T3_P12ihipStream_tbEUlT_E_NS1_11comp_targetILNS1_3genE2ELNS1_11target_archE906ELNS1_3gpuE6ELNS1_3repE0EEENS1_30default_config_static_selectorELNS0_4arch9wavefront6targetE1EEEvSR_
                                        ; -- End function
	.set _ZN7rocprim17ROCPRIM_400000_NS6detail17trampoline_kernelINS0_14default_configENS1_32segmented_reduce_config_selectorIN3c108BFloat16EEEZNS1_21segmented_reduce_implIS3_PKS6_PS6_PKlS6_N6hipcub16HIPCUB_304000_NS6detail27convert_result_type_wrapperISA_SB_N2at6native12_GLOBAL__N_19CustomMaxEEEEE10hipError_tPvRmT0_T1_jT2_SS_T4_T3_P12ihipStream_tbEUlT_E_NS1_11comp_targetILNS1_3genE2ELNS1_11target_archE906ELNS1_3gpuE6ELNS1_3repE0EEENS1_30default_config_static_selectorELNS0_4arch9wavefront6targetE1EEEvSR_.num_vgpr, 24
	.set _ZN7rocprim17ROCPRIM_400000_NS6detail17trampoline_kernelINS0_14default_configENS1_32segmented_reduce_config_selectorIN3c108BFloat16EEEZNS1_21segmented_reduce_implIS3_PKS6_PS6_PKlS6_N6hipcub16HIPCUB_304000_NS6detail27convert_result_type_wrapperISA_SB_N2at6native12_GLOBAL__N_19CustomMaxEEEEE10hipError_tPvRmT0_T1_jT2_SS_T4_T3_P12ihipStream_tbEUlT_E_NS1_11comp_targetILNS1_3genE2ELNS1_11target_archE906ELNS1_3gpuE6ELNS1_3repE0EEENS1_30default_config_static_selectorELNS0_4arch9wavefront6targetE1EEEvSR_.num_agpr, 0
	.set _ZN7rocprim17ROCPRIM_400000_NS6detail17trampoline_kernelINS0_14default_configENS1_32segmented_reduce_config_selectorIN3c108BFloat16EEEZNS1_21segmented_reduce_implIS3_PKS6_PS6_PKlS6_N6hipcub16HIPCUB_304000_NS6detail27convert_result_type_wrapperISA_SB_N2at6native12_GLOBAL__N_19CustomMaxEEEEE10hipError_tPvRmT0_T1_jT2_SS_T4_T3_P12ihipStream_tbEUlT_E_NS1_11comp_targetILNS1_3genE2ELNS1_11target_archE906ELNS1_3gpuE6ELNS1_3repE0EEENS1_30default_config_static_selectorELNS0_4arch9wavefront6targetE1EEEvSR_.numbered_sgpr, 52
	.set _ZN7rocprim17ROCPRIM_400000_NS6detail17trampoline_kernelINS0_14default_configENS1_32segmented_reduce_config_selectorIN3c108BFloat16EEEZNS1_21segmented_reduce_implIS3_PKS6_PS6_PKlS6_N6hipcub16HIPCUB_304000_NS6detail27convert_result_type_wrapperISA_SB_N2at6native12_GLOBAL__N_19CustomMaxEEEEE10hipError_tPvRmT0_T1_jT2_SS_T4_T3_P12ihipStream_tbEUlT_E_NS1_11comp_targetILNS1_3genE2ELNS1_11target_archE906ELNS1_3gpuE6ELNS1_3repE0EEENS1_30default_config_static_selectorELNS0_4arch9wavefront6targetE1EEEvSR_.num_named_barrier, 0
	.set _ZN7rocprim17ROCPRIM_400000_NS6detail17trampoline_kernelINS0_14default_configENS1_32segmented_reduce_config_selectorIN3c108BFloat16EEEZNS1_21segmented_reduce_implIS3_PKS6_PS6_PKlS6_N6hipcub16HIPCUB_304000_NS6detail27convert_result_type_wrapperISA_SB_N2at6native12_GLOBAL__N_19CustomMaxEEEEE10hipError_tPvRmT0_T1_jT2_SS_T4_T3_P12ihipStream_tbEUlT_E_NS1_11comp_targetILNS1_3genE2ELNS1_11target_archE906ELNS1_3gpuE6ELNS1_3repE0EEENS1_30default_config_static_selectorELNS0_4arch9wavefront6targetE1EEEvSR_.private_seg_size, 0
	.set _ZN7rocprim17ROCPRIM_400000_NS6detail17trampoline_kernelINS0_14default_configENS1_32segmented_reduce_config_selectorIN3c108BFloat16EEEZNS1_21segmented_reduce_implIS3_PKS6_PS6_PKlS6_N6hipcub16HIPCUB_304000_NS6detail27convert_result_type_wrapperISA_SB_N2at6native12_GLOBAL__N_19CustomMaxEEEEE10hipError_tPvRmT0_T1_jT2_SS_T4_T3_P12ihipStream_tbEUlT_E_NS1_11comp_targetILNS1_3genE2ELNS1_11target_archE906ELNS1_3gpuE6ELNS1_3repE0EEENS1_30default_config_static_selectorELNS0_4arch9wavefront6targetE1EEEvSR_.uses_vcc, 1
	.set _ZN7rocprim17ROCPRIM_400000_NS6detail17trampoline_kernelINS0_14default_configENS1_32segmented_reduce_config_selectorIN3c108BFloat16EEEZNS1_21segmented_reduce_implIS3_PKS6_PS6_PKlS6_N6hipcub16HIPCUB_304000_NS6detail27convert_result_type_wrapperISA_SB_N2at6native12_GLOBAL__N_19CustomMaxEEEEE10hipError_tPvRmT0_T1_jT2_SS_T4_T3_P12ihipStream_tbEUlT_E_NS1_11comp_targetILNS1_3genE2ELNS1_11target_archE906ELNS1_3gpuE6ELNS1_3repE0EEENS1_30default_config_static_selectorELNS0_4arch9wavefront6targetE1EEEvSR_.uses_flat_scratch, 0
	.set _ZN7rocprim17ROCPRIM_400000_NS6detail17trampoline_kernelINS0_14default_configENS1_32segmented_reduce_config_selectorIN3c108BFloat16EEEZNS1_21segmented_reduce_implIS3_PKS6_PS6_PKlS6_N6hipcub16HIPCUB_304000_NS6detail27convert_result_type_wrapperISA_SB_N2at6native12_GLOBAL__N_19CustomMaxEEEEE10hipError_tPvRmT0_T1_jT2_SS_T4_T3_P12ihipStream_tbEUlT_E_NS1_11comp_targetILNS1_3genE2ELNS1_11target_archE906ELNS1_3gpuE6ELNS1_3repE0EEENS1_30default_config_static_selectorELNS0_4arch9wavefront6targetE1EEEvSR_.has_dyn_sized_stack, 0
	.set _ZN7rocprim17ROCPRIM_400000_NS6detail17trampoline_kernelINS0_14default_configENS1_32segmented_reduce_config_selectorIN3c108BFloat16EEEZNS1_21segmented_reduce_implIS3_PKS6_PS6_PKlS6_N6hipcub16HIPCUB_304000_NS6detail27convert_result_type_wrapperISA_SB_N2at6native12_GLOBAL__N_19CustomMaxEEEEE10hipError_tPvRmT0_T1_jT2_SS_T4_T3_P12ihipStream_tbEUlT_E_NS1_11comp_targetILNS1_3genE2ELNS1_11target_archE906ELNS1_3gpuE6ELNS1_3repE0EEENS1_30default_config_static_selectorELNS0_4arch9wavefront6targetE1EEEvSR_.has_recursion, 0
	.set _ZN7rocprim17ROCPRIM_400000_NS6detail17trampoline_kernelINS0_14default_configENS1_32segmented_reduce_config_selectorIN3c108BFloat16EEEZNS1_21segmented_reduce_implIS3_PKS6_PS6_PKlS6_N6hipcub16HIPCUB_304000_NS6detail27convert_result_type_wrapperISA_SB_N2at6native12_GLOBAL__N_19CustomMaxEEEEE10hipError_tPvRmT0_T1_jT2_SS_T4_T3_P12ihipStream_tbEUlT_E_NS1_11comp_targetILNS1_3genE2ELNS1_11target_archE906ELNS1_3gpuE6ELNS1_3repE0EEENS1_30default_config_static_selectorELNS0_4arch9wavefront6targetE1EEEvSR_.has_indirect_call, 0
	.section	.AMDGPU.csdata,"",@progbits
; Kernel info:
; codeLenInByte = 7780
; TotalNumSgprs: 56
; NumVgprs: 24
; ScratchSize: 0
; MemoryBound: 0
; FloatMode: 240
; IeeeMode: 1
; LDSByteSize: 8 bytes/workgroup (compile time only)
; SGPRBlocks: 6
; VGPRBlocks: 5
; NumSGPRsForWavesPerEU: 56
; NumVGPRsForWavesPerEU: 24
; Occupancy: 10
; WaveLimiterHint : 1
; COMPUTE_PGM_RSRC2:SCRATCH_EN: 0
; COMPUTE_PGM_RSRC2:USER_SGPR: 6
; COMPUTE_PGM_RSRC2:TRAP_HANDLER: 0
; COMPUTE_PGM_RSRC2:TGID_X_EN: 1
; COMPUTE_PGM_RSRC2:TGID_Y_EN: 0
; COMPUTE_PGM_RSRC2:TGID_Z_EN: 0
; COMPUTE_PGM_RSRC2:TIDIG_COMP_CNT: 0
	.section	.text._ZN7rocprim17ROCPRIM_400000_NS6detail17trampoline_kernelINS0_14default_configENS1_32segmented_reduce_config_selectorIN3c108BFloat16EEEZNS1_21segmented_reduce_implIS3_PKS6_PS6_PKlS6_N6hipcub16HIPCUB_304000_NS6detail27convert_result_type_wrapperISA_SB_N2at6native12_GLOBAL__N_19CustomMaxEEEEE10hipError_tPvRmT0_T1_jT2_SS_T4_T3_P12ihipStream_tbEUlT_E_NS1_11comp_targetILNS1_3genE9ELNS1_11target_archE1100ELNS1_3gpuE3ELNS1_3repE0EEENS1_30default_config_static_selectorELNS0_4arch9wavefront6targetE1EEEvSR_,"axG",@progbits,_ZN7rocprim17ROCPRIM_400000_NS6detail17trampoline_kernelINS0_14default_configENS1_32segmented_reduce_config_selectorIN3c108BFloat16EEEZNS1_21segmented_reduce_implIS3_PKS6_PS6_PKlS6_N6hipcub16HIPCUB_304000_NS6detail27convert_result_type_wrapperISA_SB_N2at6native12_GLOBAL__N_19CustomMaxEEEEE10hipError_tPvRmT0_T1_jT2_SS_T4_T3_P12ihipStream_tbEUlT_E_NS1_11comp_targetILNS1_3genE9ELNS1_11target_archE1100ELNS1_3gpuE3ELNS1_3repE0EEENS1_30default_config_static_selectorELNS0_4arch9wavefront6targetE1EEEvSR_,comdat
	.globl	_ZN7rocprim17ROCPRIM_400000_NS6detail17trampoline_kernelINS0_14default_configENS1_32segmented_reduce_config_selectorIN3c108BFloat16EEEZNS1_21segmented_reduce_implIS3_PKS6_PS6_PKlS6_N6hipcub16HIPCUB_304000_NS6detail27convert_result_type_wrapperISA_SB_N2at6native12_GLOBAL__N_19CustomMaxEEEEE10hipError_tPvRmT0_T1_jT2_SS_T4_T3_P12ihipStream_tbEUlT_E_NS1_11comp_targetILNS1_3genE9ELNS1_11target_archE1100ELNS1_3gpuE3ELNS1_3repE0EEENS1_30default_config_static_selectorELNS0_4arch9wavefront6targetE1EEEvSR_ ; -- Begin function _ZN7rocprim17ROCPRIM_400000_NS6detail17trampoline_kernelINS0_14default_configENS1_32segmented_reduce_config_selectorIN3c108BFloat16EEEZNS1_21segmented_reduce_implIS3_PKS6_PS6_PKlS6_N6hipcub16HIPCUB_304000_NS6detail27convert_result_type_wrapperISA_SB_N2at6native12_GLOBAL__N_19CustomMaxEEEEE10hipError_tPvRmT0_T1_jT2_SS_T4_T3_P12ihipStream_tbEUlT_E_NS1_11comp_targetILNS1_3genE9ELNS1_11target_archE1100ELNS1_3gpuE3ELNS1_3repE0EEENS1_30default_config_static_selectorELNS0_4arch9wavefront6targetE1EEEvSR_
	.p2align	8
	.type	_ZN7rocprim17ROCPRIM_400000_NS6detail17trampoline_kernelINS0_14default_configENS1_32segmented_reduce_config_selectorIN3c108BFloat16EEEZNS1_21segmented_reduce_implIS3_PKS6_PS6_PKlS6_N6hipcub16HIPCUB_304000_NS6detail27convert_result_type_wrapperISA_SB_N2at6native12_GLOBAL__N_19CustomMaxEEEEE10hipError_tPvRmT0_T1_jT2_SS_T4_T3_P12ihipStream_tbEUlT_E_NS1_11comp_targetILNS1_3genE9ELNS1_11target_archE1100ELNS1_3gpuE3ELNS1_3repE0EEENS1_30default_config_static_selectorELNS0_4arch9wavefront6targetE1EEEvSR_,@function
_ZN7rocprim17ROCPRIM_400000_NS6detail17trampoline_kernelINS0_14default_configENS1_32segmented_reduce_config_selectorIN3c108BFloat16EEEZNS1_21segmented_reduce_implIS3_PKS6_PS6_PKlS6_N6hipcub16HIPCUB_304000_NS6detail27convert_result_type_wrapperISA_SB_N2at6native12_GLOBAL__N_19CustomMaxEEEEE10hipError_tPvRmT0_T1_jT2_SS_T4_T3_P12ihipStream_tbEUlT_E_NS1_11comp_targetILNS1_3genE9ELNS1_11target_archE1100ELNS1_3gpuE3ELNS1_3repE0EEENS1_30default_config_static_selectorELNS0_4arch9wavefront6targetE1EEEvSR_: ; @_ZN7rocprim17ROCPRIM_400000_NS6detail17trampoline_kernelINS0_14default_configENS1_32segmented_reduce_config_selectorIN3c108BFloat16EEEZNS1_21segmented_reduce_implIS3_PKS6_PS6_PKlS6_N6hipcub16HIPCUB_304000_NS6detail27convert_result_type_wrapperISA_SB_N2at6native12_GLOBAL__N_19CustomMaxEEEEE10hipError_tPvRmT0_T1_jT2_SS_T4_T3_P12ihipStream_tbEUlT_E_NS1_11comp_targetILNS1_3genE9ELNS1_11target_archE1100ELNS1_3gpuE3ELNS1_3repE0EEENS1_30default_config_static_selectorELNS0_4arch9wavefront6targetE1EEEvSR_
; %bb.0:
	.section	.rodata,"a",@progbits
	.p2align	6, 0x0
	.amdhsa_kernel _ZN7rocprim17ROCPRIM_400000_NS6detail17trampoline_kernelINS0_14default_configENS1_32segmented_reduce_config_selectorIN3c108BFloat16EEEZNS1_21segmented_reduce_implIS3_PKS6_PS6_PKlS6_N6hipcub16HIPCUB_304000_NS6detail27convert_result_type_wrapperISA_SB_N2at6native12_GLOBAL__N_19CustomMaxEEEEE10hipError_tPvRmT0_T1_jT2_SS_T4_T3_P12ihipStream_tbEUlT_E_NS1_11comp_targetILNS1_3genE9ELNS1_11target_archE1100ELNS1_3gpuE3ELNS1_3repE0EEENS1_30default_config_static_selectorELNS0_4arch9wavefront6targetE1EEEvSR_
		.amdhsa_group_segment_fixed_size 0
		.amdhsa_private_segment_fixed_size 0
		.amdhsa_kernarg_size 48
		.amdhsa_user_sgpr_count 6
		.amdhsa_user_sgpr_private_segment_buffer 1
		.amdhsa_user_sgpr_dispatch_ptr 0
		.amdhsa_user_sgpr_queue_ptr 0
		.amdhsa_user_sgpr_kernarg_segment_ptr 1
		.amdhsa_user_sgpr_dispatch_id 0
		.amdhsa_user_sgpr_flat_scratch_init 0
		.amdhsa_user_sgpr_private_segment_size 0
		.amdhsa_uses_dynamic_stack 0
		.amdhsa_system_sgpr_private_segment_wavefront_offset 0
		.amdhsa_system_sgpr_workgroup_id_x 1
		.amdhsa_system_sgpr_workgroup_id_y 0
		.amdhsa_system_sgpr_workgroup_id_z 0
		.amdhsa_system_sgpr_workgroup_info 0
		.amdhsa_system_vgpr_workitem_id 0
		.amdhsa_next_free_vgpr 1
		.amdhsa_next_free_sgpr 0
		.amdhsa_reserve_vcc 0
		.amdhsa_reserve_flat_scratch 0
		.amdhsa_float_round_mode_32 0
		.amdhsa_float_round_mode_16_64 0
		.amdhsa_float_denorm_mode_32 3
		.amdhsa_float_denorm_mode_16_64 3
		.amdhsa_dx10_clamp 1
		.amdhsa_ieee_mode 1
		.amdhsa_fp16_overflow 0
		.amdhsa_exception_fp_ieee_invalid_op 0
		.amdhsa_exception_fp_denorm_src 0
		.amdhsa_exception_fp_ieee_div_zero 0
		.amdhsa_exception_fp_ieee_overflow 0
		.amdhsa_exception_fp_ieee_underflow 0
		.amdhsa_exception_fp_ieee_inexact 0
		.amdhsa_exception_int_div_zero 0
	.end_amdhsa_kernel
	.section	.text._ZN7rocprim17ROCPRIM_400000_NS6detail17trampoline_kernelINS0_14default_configENS1_32segmented_reduce_config_selectorIN3c108BFloat16EEEZNS1_21segmented_reduce_implIS3_PKS6_PS6_PKlS6_N6hipcub16HIPCUB_304000_NS6detail27convert_result_type_wrapperISA_SB_N2at6native12_GLOBAL__N_19CustomMaxEEEEE10hipError_tPvRmT0_T1_jT2_SS_T4_T3_P12ihipStream_tbEUlT_E_NS1_11comp_targetILNS1_3genE9ELNS1_11target_archE1100ELNS1_3gpuE3ELNS1_3repE0EEENS1_30default_config_static_selectorELNS0_4arch9wavefront6targetE1EEEvSR_,"axG",@progbits,_ZN7rocprim17ROCPRIM_400000_NS6detail17trampoline_kernelINS0_14default_configENS1_32segmented_reduce_config_selectorIN3c108BFloat16EEEZNS1_21segmented_reduce_implIS3_PKS6_PS6_PKlS6_N6hipcub16HIPCUB_304000_NS6detail27convert_result_type_wrapperISA_SB_N2at6native12_GLOBAL__N_19CustomMaxEEEEE10hipError_tPvRmT0_T1_jT2_SS_T4_T3_P12ihipStream_tbEUlT_E_NS1_11comp_targetILNS1_3genE9ELNS1_11target_archE1100ELNS1_3gpuE3ELNS1_3repE0EEENS1_30default_config_static_selectorELNS0_4arch9wavefront6targetE1EEEvSR_,comdat
.Lfunc_end253:
	.size	_ZN7rocprim17ROCPRIM_400000_NS6detail17trampoline_kernelINS0_14default_configENS1_32segmented_reduce_config_selectorIN3c108BFloat16EEEZNS1_21segmented_reduce_implIS3_PKS6_PS6_PKlS6_N6hipcub16HIPCUB_304000_NS6detail27convert_result_type_wrapperISA_SB_N2at6native12_GLOBAL__N_19CustomMaxEEEEE10hipError_tPvRmT0_T1_jT2_SS_T4_T3_P12ihipStream_tbEUlT_E_NS1_11comp_targetILNS1_3genE9ELNS1_11target_archE1100ELNS1_3gpuE3ELNS1_3repE0EEENS1_30default_config_static_selectorELNS0_4arch9wavefront6targetE1EEEvSR_, .Lfunc_end253-_ZN7rocprim17ROCPRIM_400000_NS6detail17trampoline_kernelINS0_14default_configENS1_32segmented_reduce_config_selectorIN3c108BFloat16EEEZNS1_21segmented_reduce_implIS3_PKS6_PS6_PKlS6_N6hipcub16HIPCUB_304000_NS6detail27convert_result_type_wrapperISA_SB_N2at6native12_GLOBAL__N_19CustomMaxEEEEE10hipError_tPvRmT0_T1_jT2_SS_T4_T3_P12ihipStream_tbEUlT_E_NS1_11comp_targetILNS1_3genE9ELNS1_11target_archE1100ELNS1_3gpuE3ELNS1_3repE0EEENS1_30default_config_static_selectorELNS0_4arch9wavefront6targetE1EEEvSR_
                                        ; -- End function
	.set _ZN7rocprim17ROCPRIM_400000_NS6detail17trampoline_kernelINS0_14default_configENS1_32segmented_reduce_config_selectorIN3c108BFloat16EEEZNS1_21segmented_reduce_implIS3_PKS6_PS6_PKlS6_N6hipcub16HIPCUB_304000_NS6detail27convert_result_type_wrapperISA_SB_N2at6native12_GLOBAL__N_19CustomMaxEEEEE10hipError_tPvRmT0_T1_jT2_SS_T4_T3_P12ihipStream_tbEUlT_E_NS1_11comp_targetILNS1_3genE9ELNS1_11target_archE1100ELNS1_3gpuE3ELNS1_3repE0EEENS1_30default_config_static_selectorELNS0_4arch9wavefront6targetE1EEEvSR_.num_vgpr, 0
	.set _ZN7rocprim17ROCPRIM_400000_NS6detail17trampoline_kernelINS0_14default_configENS1_32segmented_reduce_config_selectorIN3c108BFloat16EEEZNS1_21segmented_reduce_implIS3_PKS6_PS6_PKlS6_N6hipcub16HIPCUB_304000_NS6detail27convert_result_type_wrapperISA_SB_N2at6native12_GLOBAL__N_19CustomMaxEEEEE10hipError_tPvRmT0_T1_jT2_SS_T4_T3_P12ihipStream_tbEUlT_E_NS1_11comp_targetILNS1_3genE9ELNS1_11target_archE1100ELNS1_3gpuE3ELNS1_3repE0EEENS1_30default_config_static_selectorELNS0_4arch9wavefront6targetE1EEEvSR_.num_agpr, 0
	.set _ZN7rocprim17ROCPRIM_400000_NS6detail17trampoline_kernelINS0_14default_configENS1_32segmented_reduce_config_selectorIN3c108BFloat16EEEZNS1_21segmented_reduce_implIS3_PKS6_PS6_PKlS6_N6hipcub16HIPCUB_304000_NS6detail27convert_result_type_wrapperISA_SB_N2at6native12_GLOBAL__N_19CustomMaxEEEEE10hipError_tPvRmT0_T1_jT2_SS_T4_T3_P12ihipStream_tbEUlT_E_NS1_11comp_targetILNS1_3genE9ELNS1_11target_archE1100ELNS1_3gpuE3ELNS1_3repE0EEENS1_30default_config_static_selectorELNS0_4arch9wavefront6targetE1EEEvSR_.numbered_sgpr, 0
	.set _ZN7rocprim17ROCPRIM_400000_NS6detail17trampoline_kernelINS0_14default_configENS1_32segmented_reduce_config_selectorIN3c108BFloat16EEEZNS1_21segmented_reduce_implIS3_PKS6_PS6_PKlS6_N6hipcub16HIPCUB_304000_NS6detail27convert_result_type_wrapperISA_SB_N2at6native12_GLOBAL__N_19CustomMaxEEEEE10hipError_tPvRmT0_T1_jT2_SS_T4_T3_P12ihipStream_tbEUlT_E_NS1_11comp_targetILNS1_3genE9ELNS1_11target_archE1100ELNS1_3gpuE3ELNS1_3repE0EEENS1_30default_config_static_selectorELNS0_4arch9wavefront6targetE1EEEvSR_.num_named_barrier, 0
	.set _ZN7rocprim17ROCPRIM_400000_NS6detail17trampoline_kernelINS0_14default_configENS1_32segmented_reduce_config_selectorIN3c108BFloat16EEEZNS1_21segmented_reduce_implIS3_PKS6_PS6_PKlS6_N6hipcub16HIPCUB_304000_NS6detail27convert_result_type_wrapperISA_SB_N2at6native12_GLOBAL__N_19CustomMaxEEEEE10hipError_tPvRmT0_T1_jT2_SS_T4_T3_P12ihipStream_tbEUlT_E_NS1_11comp_targetILNS1_3genE9ELNS1_11target_archE1100ELNS1_3gpuE3ELNS1_3repE0EEENS1_30default_config_static_selectorELNS0_4arch9wavefront6targetE1EEEvSR_.private_seg_size, 0
	.set _ZN7rocprim17ROCPRIM_400000_NS6detail17trampoline_kernelINS0_14default_configENS1_32segmented_reduce_config_selectorIN3c108BFloat16EEEZNS1_21segmented_reduce_implIS3_PKS6_PS6_PKlS6_N6hipcub16HIPCUB_304000_NS6detail27convert_result_type_wrapperISA_SB_N2at6native12_GLOBAL__N_19CustomMaxEEEEE10hipError_tPvRmT0_T1_jT2_SS_T4_T3_P12ihipStream_tbEUlT_E_NS1_11comp_targetILNS1_3genE9ELNS1_11target_archE1100ELNS1_3gpuE3ELNS1_3repE0EEENS1_30default_config_static_selectorELNS0_4arch9wavefront6targetE1EEEvSR_.uses_vcc, 0
	.set _ZN7rocprim17ROCPRIM_400000_NS6detail17trampoline_kernelINS0_14default_configENS1_32segmented_reduce_config_selectorIN3c108BFloat16EEEZNS1_21segmented_reduce_implIS3_PKS6_PS6_PKlS6_N6hipcub16HIPCUB_304000_NS6detail27convert_result_type_wrapperISA_SB_N2at6native12_GLOBAL__N_19CustomMaxEEEEE10hipError_tPvRmT0_T1_jT2_SS_T4_T3_P12ihipStream_tbEUlT_E_NS1_11comp_targetILNS1_3genE9ELNS1_11target_archE1100ELNS1_3gpuE3ELNS1_3repE0EEENS1_30default_config_static_selectorELNS0_4arch9wavefront6targetE1EEEvSR_.uses_flat_scratch, 0
	.set _ZN7rocprim17ROCPRIM_400000_NS6detail17trampoline_kernelINS0_14default_configENS1_32segmented_reduce_config_selectorIN3c108BFloat16EEEZNS1_21segmented_reduce_implIS3_PKS6_PS6_PKlS6_N6hipcub16HIPCUB_304000_NS6detail27convert_result_type_wrapperISA_SB_N2at6native12_GLOBAL__N_19CustomMaxEEEEE10hipError_tPvRmT0_T1_jT2_SS_T4_T3_P12ihipStream_tbEUlT_E_NS1_11comp_targetILNS1_3genE9ELNS1_11target_archE1100ELNS1_3gpuE3ELNS1_3repE0EEENS1_30default_config_static_selectorELNS0_4arch9wavefront6targetE1EEEvSR_.has_dyn_sized_stack, 0
	.set _ZN7rocprim17ROCPRIM_400000_NS6detail17trampoline_kernelINS0_14default_configENS1_32segmented_reduce_config_selectorIN3c108BFloat16EEEZNS1_21segmented_reduce_implIS3_PKS6_PS6_PKlS6_N6hipcub16HIPCUB_304000_NS6detail27convert_result_type_wrapperISA_SB_N2at6native12_GLOBAL__N_19CustomMaxEEEEE10hipError_tPvRmT0_T1_jT2_SS_T4_T3_P12ihipStream_tbEUlT_E_NS1_11comp_targetILNS1_3genE9ELNS1_11target_archE1100ELNS1_3gpuE3ELNS1_3repE0EEENS1_30default_config_static_selectorELNS0_4arch9wavefront6targetE1EEEvSR_.has_recursion, 0
	.set _ZN7rocprim17ROCPRIM_400000_NS6detail17trampoline_kernelINS0_14default_configENS1_32segmented_reduce_config_selectorIN3c108BFloat16EEEZNS1_21segmented_reduce_implIS3_PKS6_PS6_PKlS6_N6hipcub16HIPCUB_304000_NS6detail27convert_result_type_wrapperISA_SB_N2at6native12_GLOBAL__N_19CustomMaxEEEEE10hipError_tPvRmT0_T1_jT2_SS_T4_T3_P12ihipStream_tbEUlT_E_NS1_11comp_targetILNS1_3genE9ELNS1_11target_archE1100ELNS1_3gpuE3ELNS1_3repE0EEENS1_30default_config_static_selectorELNS0_4arch9wavefront6targetE1EEEvSR_.has_indirect_call, 0
	.section	.AMDGPU.csdata,"",@progbits
; Kernel info:
; codeLenInByte = 0
; TotalNumSgprs: 4
; NumVgprs: 0
; ScratchSize: 0
; MemoryBound: 0
; FloatMode: 240
; IeeeMode: 1
; LDSByteSize: 0 bytes/workgroup (compile time only)
; SGPRBlocks: 0
; VGPRBlocks: 0
; NumSGPRsForWavesPerEU: 4
; NumVGPRsForWavesPerEU: 1
; Occupancy: 10
; WaveLimiterHint : 0
; COMPUTE_PGM_RSRC2:SCRATCH_EN: 0
; COMPUTE_PGM_RSRC2:USER_SGPR: 6
; COMPUTE_PGM_RSRC2:TRAP_HANDLER: 0
; COMPUTE_PGM_RSRC2:TGID_X_EN: 1
; COMPUTE_PGM_RSRC2:TGID_Y_EN: 0
; COMPUTE_PGM_RSRC2:TGID_Z_EN: 0
; COMPUTE_PGM_RSRC2:TIDIG_COMP_CNT: 0
	.section	.text._ZN7rocprim17ROCPRIM_400000_NS6detail17trampoline_kernelINS0_14default_configENS1_32segmented_reduce_config_selectorIN3c108BFloat16EEEZNS1_21segmented_reduce_implIS3_PKS6_PS6_PKlS6_N6hipcub16HIPCUB_304000_NS6detail27convert_result_type_wrapperISA_SB_N2at6native12_GLOBAL__N_19CustomMaxEEEEE10hipError_tPvRmT0_T1_jT2_SS_T4_T3_P12ihipStream_tbEUlT_E_NS1_11comp_targetILNS1_3genE8ELNS1_11target_archE1030ELNS1_3gpuE2ELNS1_3repE0EEENS1_30default_config_static_selectorELNS0_4arch9wavefront6targetE1EEEvSR_,"axG",@progbits,_ZN7rocprim17ROCPRIM_400000_NS6detail17trampoline_kernelINS0_14default_configENS1_32segmented_reduce_config_selectorIN3c108BFloat16EEEZNS1_21segmented_reduce_implIS3_PKS6_PS6_PKlS6_N6hipcub16HIPCUB_304000_NS6detail27convert_result_type_wrapperISA_SB_N2at6native12_GLOBAL__N_19CustomMaxEEEEE10hipError_tPvRmT0_T1_jT2_SS_T4_T3_P12ihipStream_tbEUlT_E_NS1_11comp_targetILNS1_3genE8ELNS1_11target_archE1030ELNS1_3gpuE2ELNS1_3repE0EEENS1_30default_config_static_selectorELNS0_4arch9wavefront6targetE1EEEvSR_,comdat
	.globl	_ZN7rocprim17ROCPRIM_400000_NS6detail17trampoline_kernelINS0_14default_configENS1_32segmented_reduce_config_selectorIN3c108BFloat16EEEZNS1_21segmented_reduce_implIS3_PKS6_PS6_PKlS6_N6hipcub16HIPCUB_304000_NS6detail27convert_result_type_wrapperISA_SB_N2at6native12_GLOBAL__N_19CustomMaxEEEEE10hipError_tPvRmT0_T1_jT2_SS_T4_T3_P12ihipStream_tbEUlT_E_NS1_11comp_targetILNS1_3genE8ELNS1_11target_archE1030ELNS1_3gpuE2ELNS1_3repE0EEENS1_30default_config_static_selectorELNS0_4arch9wavefront6targetE1EEEvSR_ ; -- Begin function _ZN7rocprim17ROCPRIM_400000_NS6detail17trampoline_kernelINS0_14default_configENS1_32segmented_reduce_config_selectorIN3c108BFloat16EEEZNS1_21segmented_reduce_implIS3_PKS6_PS6_PKlS6_N6hipcub16HIPCUB_304000_NS6detail27convert_result_type_wrapperISA_SB_N2at6native12_GLOBAL__N_19CustomMaxEEEEE10hipError_tPvRmT0_T1_jT2_SS_T4_T3_P12ihipStream_tbEUlT_E_NS1_11comp_targetILNS1_3genE8ELNS1_11target_archE1030ELNS1_3gpuE2ELNS1_3repE0EEENS1_30default_config_static_selectorELNS0_4arch9wavefront6targetE1EEEvSR_
	.p2align	8
	.type	_ZN7rocprim17ROCPRIM_400000_NS6detail17trampoline_kernelINS0_14default_configENS1_32segmented_reduce_config_selectorIN3c108BFloat16EEEZNS1_21segmented_reduce_implIS3_PKS6_PS6_PKlS6_N6hipcub16HIPCUB_304000_NS6detail27convert_result_type_wrapperISA_SB_N2at6native12_GLOBAL__N_19CustomMaxEEEEE10hipError_tPvRmT0_T1_jT2_SS_T4_T3_P12ihipStream_tbEUlT_E_NS1_11comp_targetILNS1_3genE8ELNS1_11target_archE1030ELNS1_3gpuE2ELNS1_3repE0EEENS1_30default_config_static_selectorELNS0_4arch9wavefront6targetE1EEEvSR_,@function
_ZN7rocprim17ROCPRIM_400000_NS6detail17trampoline_kernelINS0_14default_configENS1_32segmented_reduce_config_selectorIN3c108BFloat16EEEZNS1_21segmented_reduce_implIS3_PKS6_PS6_PKlS6_N6hipcub16HIPCUB_304000_NS6detail27convert_result_type_wrapperISA_SB_N2at6native12_GLOBAL__N_19CustomMaxEEEEE10hipError_tPvRmT0_T1_jT2_SS_T4_T3_P12ihipStream_tbEUlT_E_NS1_11comp_targetILNS1_3genE8ELNS1_11target_archE1030ELNS1_3gpuE2ELNS1_3repE0EEENS1_30default_config_static_selectorELNS0_4arch9wavefront6targetE1EEEvSR_: ; @_ZN7rocprim17ROCPRIM_400000_NS6detail17trampoline_kernelINS0_14default_configENS1_32segmented_reduce_config_selectorIN3c108BFloat16EEEZNS1_21segmented_reduce_implIS3_PKS6_PS6_PKlS6_N6hipcub16HIPCUB_304000_NS6detail27convert_result_type_wrapperISA_SB_N2at6native12_GLOBAL__N_19CustomMaxEEEEE10hipError_tPvRmT0_T1_jT2_SS_T4_T3_P12ihipStream_tbEUlT_E_NS1_11comp_targetILNS1_3genE8ELNS1_11target_archE1030ELNS1_3gpuE2ELNS1_3repE0EEENS1_30default_config_static_selectorELNS0_4arch9wavefront6targetE1EEEvSR_
; %bb.0:
	.section	.rodata,"a",@progbits
	.p2align	6, 0x0
	.amdhsa_kernel _ZN7rocprim17ROCPRIM_400000_NS6detail17trampoline_kernelINS0_14default_configENS1_32segmented_reduce_config_selectorIN3c108BFloat16EEEZNS1_21segmented_reduce_implIS3_PKS6_PS6_PKlS6_N6hipcub16HIPCUB_304000_NS6detail27convert_result_type_wrapperISA_SB_N2at6native12_GLOBAL__N_19CustomMaxEEEEE10hipError_tPvRmT0_T1_jT2_SS_T4_T3_P12ihipStream_tbEUlT_E_NS1_11comp_targetILNS1_3genE8ELNS1_11target_archE1030ELNS1_3gpuE2ELNS1_3repE0EEENS1_30default_config_static_selectorELNS0_4arch9wavefront6targetE1EEEvSR_
		.amdhsa_group_segment_fixed_size 0
		.amdhsa_private_segment_fixed_size 0
		.amdhsa_kernarg_size 48
		.amdhsa_user_sgpr_count 6
		.amdhsa_user_sgpr_private_segment_buffer 1
		.amdhsa_user_sgpr_dispatch_ptr 0
		.amdhsa_user_sgpr_queue_ptr 0
		.amdhsa_user_sgpr_kernarg_segment_ptr 1
		.amdhsa_user_sgpr_dispatch_id 0
		.amdhsa_user_sgpr_flat_scratch_init 0
		.amdhsa_user_sgpr_private_segment_size 0
		.amdhsa_uses_dynamic_stack 0
		.amdhsa_system_sgpr_private_segment_wavefront_offset 0
		.amdhsa_system_sgpr_workgroup_id_x 1
		.amdhsa_system_sgpr_workgroup_id_y 0
		.amdhsa_system_sgpr_workgroup_id_z 0
		.amdhsa_system_sgpr_workgroup_info 0
		.amdhsa_system_vgpr_workitem_id 0
		.amdhsa_next_free_vgpr 1
		.amdhsa_next_free_sgpr 0
		.amdhsa_reserve_vcc 0
		.amdhsa_reserve_flat_scratch 0
		.amdhsa_float_round_mode_32 0
		.amdhsa_float_round_mode_16_64 0
		.amdhsa_float_denorm_mode_32 3
		.amdhsa_float_denorm_mode_16_64 3
		.amdhsa_dx10_clamp 1
		.amdhsa_ieee_mode 1
		.amdhsa_fp16_overflow 0
		.amdhsa_exception_fp_ieee_invalid_op 0
		.amdhsa_exception_fp_denorm_src 0
		.amdhsa_exception_fp_ieee_div_zero 0
		.amdhsa_exception_fp_ieee_overflow 0
		.amdhsa_exception_fp_ieee_underflow 0
		.amdhsa_exception_fp_ieee_inexact 0
		.amdhsa_exception_int_div_zero 0
	.end_amdhsa_kernel
	.section	.text._ZN7rocprim17ROCPRIM_400000_NS6detail17trampoline_kernelINS0_14default_configENS1_32segmented_reduce_config_selectorIN3c108BFloat16EEEZNS1_21segmented_reduce_implIS3_PKS6_PS6_PKlS6_N6hipcub16HIPCUB_304000_NS6detail27convert_result_type_wrapperISA_SB_N2at6native12_GLOBAL__N_19CustomMaxEEEEE10hipError_tPvRmT0_T1_jT2_SS_T4_T3_P12ihipStream_tbEUlT_E_NS1_11comp_targetILNS1_3genE8ELNS1_11target_archE1030ELNS1_3gpuE2ELNS1_3repE0EEENS1_30default_config_static_selectorELNS0_4arch9wavefront6targetE1EEEvSR_,"axG",@progbits,_ZN7rocprim17ROCPRIM_400000_NS6detail17trampoline_kernelINS0_14default_configENS1_32segmented_reduce_config_selectorIN3c108BFloat16EEEZNS1_21segmented_reduce_implIS3_PKS6_PS6_PKlS6_N6hipcub16HIPCUB_304000_NS6detail27convert_result_type_wrapperISA_SB_N2at6native12_GLOBAL__N_19CustomMaxEEEEE10hipError_tPvRmT0_T1_jT2_SS_T4_T3_P12ihipStream_tbEUlT_E_NS1_11comp_targetILNS1_3genE8ELNS1_11target_archE1030ELNS1_3gpuE2ELNS1_3repE0EEENS1_30default_config_static_selectorELNS0_4arch9wavefront6targetE1EEEvSR_,comdat
.Lfunc_end254:
	.size	_ZN7rocprim17ROCPRIM_400000_NS6detail17trampoline_kernelINS0_14default_configENS1_32segmented_reduce_config_selectorIN3c108BFloat16EEEZNS1_21segmented_reduce_implIS3_PKS6_PS6_PKlS6_N6hipcub16HIPCUB_304000_NS6detail27convert_result_type_wrapperISA_SB_N2at6native12_GLOBAL__N_19CustomMaxEEEEE10hipError_tPvRmT0_T1_jT2_SS_T4_T3_P12ihipStream_tbEUlT_E_NS1_11comp_targetILNS1_3genE8ELNS1_11target_archE1030ELNS1_3gpuE2ELNS1_3repE0EEENS1_30default_config_static_selectorELNS0_4arch9wavefront6targetE1EEEvSR_, .Lfunc_end254-_ZN7rocprim17ROCPRIM_400000_NS6detail17trampoline_kernelINS0_14default_configENS1_32segmented_reduce_config_selectorIN3c108BFloat16EEEZNS1_21segmented_reduce_implIS3_PKS6_PS6_PKlS6_N6hipcub16HIPCUB_304000_NS6detail27convert_result_type_wrapperISA_SB_N2at6native12_GLOBAL__N_19CustomMaxEEEEE10hipError_tPvRmT0_T1_jT2_SS_T4_T3_P12ihipStream_tbEUlT_E_NS1_11comp_targetILNS1_3genE8ELNS1_11target_archE1030ELNS1_3gpuE2ELNS1_3repE0EEENS1_30default_config_static_selectorELNS0_4arch9wavefront6targetE1EEEvSR_
                                        ; -- End function
	.set _ZN7rocprim17ROCPRIM_400000_NS6detail17trampoline_kernelINS0_14default_configENS1_32segmented_reduce_config_selectorIN3c108BFloat16EEEZNS1_21segmented_reduce_implIS3_PKS6_PS6_PKlS6_N6hipcub16HIPCUB_304000_NS6detail27convert_result_type_wrapperISA_SB_N2at6native12_GLOBAL__N_19CustomMaxEEEEE10hipError_tPvRmT0_T1_jT2_SS_T4_T3_P12ihipStream_tbEUlT_E_NS1_11comp_targetILNS1_3genE8ELNS1_11target_archE1030ELNS1_3gpuE2ELNS1_3repE0EEENS1_30default_config_static_selectorELNS0_4arch9wavefront6targetE1EEEvSR_.num_vgpr, 0
	.set _ZN7rocprim17ROCPRIM_400000_NS6detail17trampoline_kernelINS0_14default_configENS1_32segmented_reduce_config_selectorIN3c108BFloat16EEEZNS1_21segmented_reduce_implIS3_PKS6_PS6_PKlS6_N6hipcub16HIPCUB_304000_NS6detail27convert_result_type_wrapperISA_SB_N2at6native12_GLOBAL__N_19CustomMaxEEEEE10hipError_tPvRmT0_T1_jT2_SS_T4_T3_P12ihipStream_tbEUlT_E_NS1_11comp_targetILNS1_3genE8ELNS1_11target_archE1030ELNS1_3gpuE2ELNS1_3repE0EEENS1_30default_config_static_selectorELNS0_4arch9wavefront6targetE1EEEvSR_.num_agpr, 0
	.set _ZN7rocprim17ROCPRIM_400000_NS6detail17trampoline_kernelINS0_14default_configENS1_32segmented_reduce_config_selectorIN3c108BFloat16EEEZNS1_21segmented_reduce_implIS3_PKS6_PS6_PKlS6_N6hipcub16HIPCUB_304000_NS6detail27convert_result_type_wrapperISA_SB_N2at6native12_GLOBAL__N_19CustomMaxEEEEE10hipError_tPvRmT0_T1_jT2_SS_T4_T3_P12ihipStream_tbEUlT_E_NS1_11comp_targetILNS1_3genE8ELNS1_11target_archE1030ELNS1_3gpuE2ELNS1_3repE0EEENS1_30default_config_static_selectorELNS0_4arch9wavefront6targetE1EEEvSR_.numbered_sgpr, 0
	.set _ZN7rocprim17ROCPRIM_400000_NS6detail17trampoline_kernelINS0_14default_configENS1_32segmented_reduce_config_selectorIN3c108BFloat16EEEZNS1_21segmented_reduce_implIS3_PKS6_PS6_PKlS6_N6hipcub16HIPCUB_304000_NS6detail27convert_result_type_wrapperISA_SB_N2at6native12_GLOBAL__N_19CustomMaxEEEEE10hipError_tPvRmT0_T1_jT2_SS_T4_T3_P12ihipStream_tbEUlT_E_NS1_11comp_targetILNS1_3genE8ELNS1_11target_archE1030ELNS1_3gpuE2ELNS1_3repE0EEENS1_30default_config_static_selectorELNS0_4arch9wavefront6targetE1EEEvSR_.num_named_barrier, 0
	.set _ZN7rocprim17ROCPRIM_400000_NS6detail17trampoline_kernelINS0_14default_configENS1_32segmented_reduce_config_selectorIN3c108BFloat16EEEZNS1_21segmented_reduce_implIS3_PKS6_PS6_PKlS6_N6hipcub16HIPCUB_304000_NS6detail27convert_result_type_wrapperISA_SB_N2at6native12_GLOBAL__N_19CustomMaxEEEEE10hipError_tPvRmT0_T1_jT2_SS_T4_T3_P12ihipStream_tbEUlT_E_NS1_11comp_targetILNS1_3genE8ELNS1_11target_archE1030ELNS1_3gpuE2ELNS1_3repE0EEENS1_30default_config_static_selectorELNS0_4arch9wavefront6targetE1EEEvSR_.private_seg_size, 0
	.set _ZN7rocprim17ROCPRIM_400000_NS6detail17trampoline_kernelINS0_14default_configENS1_32segmented_reduce_config_selectorIN3c108BFloat16EEEZNS1_21segmented_reduce_implIS3_PKS6_PS6_PKlS6_N6hipcub16HIPCUB_304000_NS6detail27convert_result_type_wrapperISA_SB_N2at6native12_GLOBAL__N_19CustomMaxEEEEE10hipError_tPvRmT0_T1_jT2_SS_T4_T3_P12ihipStream_tbEUlT_E_NS1_11comp_targetILNS1_3genE8ELNS1_11target_archE1030ELNS1_3gpuE2ELNS1_3repE0EEENS1_30default_config_static_selectorELNS0_4arch9wavefront6targetE1EEEvSR_.uses_vcc, 0
	.set _ZN7rocprim17ROCPRIM_400000_NS6detail17trampoline_kernelINS0_14default_configENS1_32segmented_reduce_config_selectorIN3c108BFloat16EEEZNS1_21segmented_reduce_implIS3_PKS6_PS6_PKlS6_N6hipcub16HIPCUB_304000_NS6detail27convert_result_type_wrapperISA_SB_N2at6native12_GLOBAL__N_19CustomMaxEEEEE10hipError_tPvRmT0_T1_jT2_SS_T4_T3_P12ihipStream_tbEUlT_E_NS1_11comp_targetILNS1_3genE8ELNS1_11target_archE1030ELNS1_3gpuE2ELNS1_3repE0EEENS1_30default_config_static_selectorELNS0_4arch9wavefront6targetE1EEEvSR_.uses_flat_scratch, 0
	.set _ZN7rocprim17ROCPRIM_400000_NS6detail17trampoline_kernelINS0_14default_configENS1_32segmented_reduce_config_selectorIN3c108BFloat16EEEZNS1_21segmented_reduce_implIS3_PKS6_PS6_PKlS6_N6hipcub16HIPCUB_304000_NS6detail27convert_result_type_wrapperISA_SB_N2at6native12_GLOBAL__N_19CustomMaxEEEEE10hipError_tPvRmT0_T1_jT2_SS_T4_T3_P12ihipStream_tbEUlT_E_NS1_11comp_targetILNS1_3genE8ELNS1_11target_archE1030ELNS1_3gpuE2ELNS1_3repE0EEENS1_30default_config_static_selectorELNS0_4arch9wavefront6targetE1EEEvSR_.has_dyn_sized_stack, 0
	.set _ZN7rocprim17ROCPRIM_400000_NS6detail17trampoline_kernelINS0_14default_configENS1_32segmented_reduce_config_selectorIN3c108BFloat16EEEZNS1_21segmented_reduce_implIS3_PKS6_PS6_PKlS6_N6hipcub16HIPCUB_304000_NS6detail27convert_result_type_wrapperISA_SB_N2at6native12_GLOBAL__N_19CustomMaxEEEEE10hipError_tPvRmT0_T1_jT2_SS_T4_T3_P12ihipStream_tbEUlT_E_NS1_11comp_targetILNS1_3genE8ELNS1_11target_archE1030ELNS1_3gpuE2ELNS1_3repE0EEENS1_30default_config_static_selectorELNS0_4arch9wavefront6targetE1EEEvSR_.has_recursion, 0
	.set _ZN7rocprim17ROCPRIM_400000_NS6detail17trampoline_kernelINS0_14default_configENS1_32segmented_reduce_config_selectorIN3c108BFloat16EEEZNS1_21segmented_reduce_implIS3_PKS6_PS6_PKlS6_N6hipcub16HIPCUB_304000_NS6detail27convert_result_type_wrapperISA_SB_N2at6native12_GLOBAL__N_19CustomMaxEEEEE10hipError_tPvRmT0_T1_jT2_SS_T4_T3_P12ihipStream_tbEUlT_E_NS1_11comp_targetILNS1_3genE8ELNS1_11target_archE1030ELNS1_3gpuE2ELNS1_3repE0EEENS1_30default_config_static_selectorELNS0_4arch9wavefront6targetE1EEEvSR_.has_indirect_call, 0
	.section	.AMDGPU.csdata,"",@progbits
; Kernel info:
; codeLenInByte = 0
; TotalNumSgprs: 4
; NumVgprs: 0
; ScratchSize: 0
; MemoryBound: 0
; FloatMode: 240
; IeeeMode: 1
; LDSByteSize: 0 bytes/workgroup (compile time only)
; SGPRBlocks: 0
; VGPRBlocks: 0
; NumSGPRsForWavesPerEU: 4
; NumVGPRsForWavesPerEU: 1
; Occupancy: 10
; WaveLimiterHint : 0
; COMPUTE_PGM_RSRC2:SCRATCH_EN: 0
; COMPUTE_PGM_RSRC2:USER_SGPR: 6
; COMPUTE_PGM_RSRC2:TRAP_HANDLER: 0
; COMPUTE_PGM_RSRC2:TGID_X_EN: 1
; COMPUTE_PGM_RSRC2:TGID_Y_EN: 0
; COMPUTE_PGM_RSRC2:TGID_Z_EN: 0
; COMPUTE_PGM_RSRC2:TIDIG_COMP_CNT: 0
	.section	.text._ZN7rocprim17ROCPRIM_400000_NS6detail17trampoline_kernelINS0_14default_configENS1_32segmented_reduce_config_selectorIN3c108BFloat16EEEZNS1_21segmented_reduce_implIS3_PKS6_PS6_PKlS6_N6hipcub16HIPCUB_304000_NS6detail27convert_result_type_wrapperISA_SB_N2at6native12_GLOBAL__N_19CustomSumEEEEE10hipError_tPvRmT0_T1_jT2_SS_T4_T3_P12ihipStream_tbEUlT_E_NS1_11comp_targetILNS1_3genE0ELNS1_11target_archE4294967295ELNS1_3gpuE0ELNS1_3repE0EEENS1_30default_config_static_selectorELNS0_4arch9wavefront6targetE1EEEvSR_,"axG",@progbits,_ZN7rocprim17ROCPRIM_400000_NS6detail17trampoline_kernelINS0_14default_configENS1_32segmented_reduce_config_selectorIN3c108BFloat16EEEZNS1_21segmented_reduce_implIS3_PKS6_PS6_PKlS6_N6hipcub16HIPCUB_304000_NS6detail27convert_result_type_wrapperISA_SB_N2at6native12_GLOBAL__N_19CustomSumEEEEE10hipError_tPvRmT0_T1_jT2_SS_T4_T3_P12ihipStream_tbEUlT_E_NS1_11comp_targetILNS1_3genE0ELNS1_11target_archE4294967295ELNS1_3gpuE0ELNS1_3repE0EEENS1_30default_config_static_selectorELNS0_4arch9wavefront6targetE1EEEvSR_,comdat
	.globl	_ZN7rocprim17ROCPRIM_400000_NS6detail17trampoline_kernelINS0_14default_configENS1_32segmented_reduce_config_selectorIN3c108BFloat16EEEZNS1_21segmented_reduce_implIS3_PKS6_PS6_PKlS6_N6hipcub16HIPCUB_304000_NS6detail27convert_result_type_wrapperISA_SB_N2at6native12_GLOBAL__N_19CustomSumEEEEE10hipError_tPvRmT0_T1_jT2_SS_T4_T3_P12ihipStream_tbEUlT_E_NS1_11comp_targetILNS1_3genE0ELNS1_11target_archE4294967295ELNS1_3gpuE0ELNS1_3repE0EEENS1_30default_config_static_selectorELNS0_4arch9wavefront6targetE1EEEvSR_ ; -- Begin function _ZN7rocprim17ROCPRIM_400000_NS6detail17trampoline_kernelINS0_14default_configENS1_32segmented_reduce_config_selectorIN3c108BFloat16EEEZNS1_21segmented_reduce_implIS3_PKS6_PS6_PKlS6_N6hipcub16HIPCUB_304000_NS6detail27convert_result_type_wrapperISA_SB_N2at6native12_GLOBAL__N_19CustomSumEEEEE10hipError_tPvRmT0_T1_jT2_SS_T4_T3_P12ihipStream_tbEUlT_E_NS1_11comp_targetILNS1_3genE0ELNS1_11target_archE4294967295ELNS1_3gpuE0ELNS1_3repE0EEENS1_30default_config_static_selectorELNS0_4arch9wavefront6targetE1EEEvSR_
	.p2align	8
	.type	_ZN7rocprim17ROCPRIM_400000_NS6detail17trampoline_kernelINS0_14default_configENS1_32segmented_reduce_config_selectorIN3c108BFloat16EEEZNS1_21segmented_reduce_implIS3_PKS6_PS6_PKlS6_N6hipcub16HIPCUB_304000_NS6detail27convert_result_type_wrapperISA_SB_N2at6native12_GLOBAL__N_19CustomSumEEEEE10hipError_tPvRmT0_T1_jT2_SS_T4_T3_P12ihipStream_tbEUlT_E_NS1_11comp_targetILNS1_3genE0ELNS1_11target_archE4294967295ELNS1_3gpuE0ELNS1_3repE0EEENS1_30default_config_static_selectorELNS0_4arch9wavefront6targetE1EEEvSR_,@function
_ZN7rocprim17ROCPRIM_400000_NS6detail17trampoline_kernelINS0_14default_configENS1_32segmented_reduce_config_selectorIN3c108BFloat16EEEZNS1_21segmented_reduce_implIS3_PKS6_PS6_PKlS6_N6hipcub16HIPCUB_304000_NS6detail27convert_result_type_wrapperISA_SB_N2at6native12_GLOBAL__N_19CustomSumEEEEE10hipError_tPvRmT0_T1_jT2_SS_T4_T3_P12ihipStream_tbEUlT_E_NS1_11comp_targetILNS1_3genE0ELNS1_11target_archE4294967295ELNS1_3gpuE0ELNS1_3repE0EEENS1_30default_config_static_selectorELNS0_4arch9wavefront6targetE1EEEvSR_: ; @_ZN7rocprim17ROCPRIM_400000_NS6detail17trampoline_kernelINS0_14default_configENS1_32segmented_reduce_config_selectorIN3c108BFloat16EEEZNS1_21segmented_reduce_implIS3_PKS6_PS6_PKlS6_N6hipcub16HIPCUB_304000_NS6detail27convert_result_type_wrapperISA_SB_N2at6native12_GLOBAL__N_19CustomSumEEEEE10hipError_tPvRmT0_T1_jT2_SS_T4_T3_P12ihipStream_tbEUlT_E_NS1_11comp_targetILNS1_3genE0ELNS1_11target_archE4294967295ELNS1_3gpuE0ELNS1_3repE0EEENS1_30default_config_static_selectorELNS0_4arch9wavefront6targetE1EEEvSR_
; %bb.0:
	.section	.rodata,"a",@progbits
	.p2align	6, 0x0
	.amdhsa_kernel _ZN7rocprim17ROCPRIM_400000_NS6detail17trampoline_kernelINS0_14default_configENS1_32segmented_reduce_config_selectorIN3c108BFloat16EEEZNS1_21segmented_reduce_implIS3_PKS6_PS6_PKlS6_N6hipcub16HIPCUB_304000_NS6detail27convert_result_type_wrapperISA_SB_N2at6native12_GLOBAL__N_19CustomSumEEEEE10hipError_tPvRmT0_T1_jT2_SS_T4_T3_P12ihipStream_tbEUlT_E_NS1_11comp_targetILNS1_3genE0ELNS1_11target_archE4294967295ELNS1_3gpuE0ELNS1_3repE0EEENS1_30default_config_static_selectorELNS0_4arch9wavefront6targetE1EEEvSR_
		.amdhsa_group_segment_fixed_size 0
		.amdhsa_private_segment_fixed_size 0
		.amdhsa_kernarg_size 48
		.amdhsa_user_sgpr_count 6
		.amdhsa_user_sgpr_private_segment_buffer 1
		.amdhsa_user_sgpr_dispatch_ptr 0
		.amdhsa_user_sgpr_queue_ptr 0
		.amdhsa_user_sgpr_kernarg_segment_ptr 1
		.amdhsa_user_sgpr_dispatch_id 0
		.amdhsa_user_sgpr_flat_scratch_init 0
		.amdhsa_user_sgpr_private_segment_size 0
		.amdhsa_uses_dynamic_stack 0
		.amdhsa_system_sgpr_private_segment_wavefront_offset 0
		.amdhsa_system_sgpr_workgroup_id_x 1
		.amdhsa_system_sgpr_workgroup_id_y 0
		.amdhsa_system_sgpr_workgroup_id_z 0
		.amdhsa_system_sgpr_workgroup_info 0
		.amdhsa_system_vgpr_workitem_id 0
		.amdhsa_next_free_vgpr 1
		.amdhsa_next_free_sgpr 0
		.amdhsa_reserve_vcc 0
		.amdhsa_reserve_flat_scratch 0
		.amdhsa_float_round_mode_32 0
		.amdhsa_float_round_mode_16_64 0
		.amdhsa_float_denorm_mode_32 3
		.amdhsa_float_denorm_mode_16_64 3
		.amdhsa_dx10_clamp 1
		.amdhsa_ieee_mode 1
		.amdhsa_fp16_overflow 0
		.amdhsa_exception_fp_ieee_invalid_op 0
		.amdhsa_exception_fp_denorm_src 0
		.amdhsa_exception_fp_ieee_div_zero 0
		.amdhsa_exception_fp_ieee_overflow 0
		.amdhsa_exception_fp_ieee_underflow 0
		.amdhsa_exception_fp_ieee_inexact 0
		.amdhsa_exception_int_div_zero 0
	.end_amdhsa_kernel
	.section	.text._ZN7rocprim17ROCPRIM_400000_NS6detail17trampoline_kernelINS0_14default_configENS1_32segmented_reduce_config_selectorIN3c108BFloat16EEEZNS1_21segmented_reduce_implIS3_PKS6_PS6_PKlS6_N6hipcub16HIPCUB_304000_NS6detail27convert_result_type_wrapperISA_SB_N2at6native12_GLOBAL__N_19CustomSumEEEEE10hipError_tPvRmT0_T1_jT2_SS_T4_T3_P12ihipStream_tbEUlT_E_NS1_11comp_targetILNS1_3genE0ELNS1_11target_archE4294967295ELNS1_3gpuE0ELNS1_3repE0EEENS1_30default_config_static_selectorELNS0_4arch9wavefront6targetE1EEEvSR_,"axG",@progbits,_ZN7rocprim17ROCPRIM_400000_NS6detail17trampoline_kernelINS0_14default_configENS1_32segmented_reduce_config_selectorIN3c108BFloat16EEEZNS1_21segmented_reduce_implIS3_PKS6_PS6_PKlS6_N6hipcub16HIPCUB_304000_NS6detail27convert_result_type_wrapperISA_SB_N2at6native12_GLOBAL__N_19CustomSumEEEEE10hipError_tPvRmT0_T1_jT2_SS_T4_T3_P12ihipStream_tbEUlT_E_NS1_11comp_targetILNS1_3genE0ELNS1_11target_archE4294967295ELNS1_3gpuE0ELNS1_3repE0EEENS1_30default_config_static_selectorELNS0_4arch9wavefront6targetE1EEEvSR_,comdat
.Lfunc_end255:
	.size	_ZN7rocprim17ROCPRIM_400000_NS6detail17trampoline_kernelINS0_14default_configENS1_32segmented_reduce_config_selectorIN3c108BFloat16EEEZNS1_21segmented_reduce_implIS3_PKS6_PS6_PKlS6_N6hipcub16HIPCUB_304000_NS6detail27convert_result_type_wrapperISA_SB_N2at6native12_GLOBAL__N_19CustomSumEEEEE10hipError_tPvRmT0_T1_jT2_SS_T4_T3_P12ihipStream_tbEUlT_E_NS1_11comp_targetILNS1_3genE0ELNS1_11target_archE4294967295ELNS1_3gpuE0ELNS1_3repE0EEENS1_30default_config_static_selectorELNS0_4arch9wavefront6targetE1EEEvSR_, .Lfunc_end255-_ZN7rocprim17ROCPRIM_400000_NS6detail17trampoline_kernelINS0_14default_configENS1_32segmented_reduce_config_selectorIN3c108BFloat16EEEZNS1_21segmented_reduce_implIS3_PKS6_PS6_PKlS6_N6hipcub16HIPCUB_304000_NS6detail27convert_result_type_wrapperISA_SB_N2at6native12_GLOBAL__N_19CustomSumEEEEE10hipError_tPvRmT0_T1_jT2_SS_T4_T3_P12ihipStream_tbEUlT_E_NS1_11comp_targetILNS1_3genE0ELNS1_11target_archE4294967295ELNS1_3gpuE0ELNS1_3repE0EEENS1_30default_config_static_selectorELNS0_4arch9wavefront6targetE1EEEvSR_
                                        ; -- End function
	.set _ZN7rocprim17ROCPRIM_400000_NS6detail17trampoline_kernelINS0_14default_configENS1_32segmented_reduce_config_selectorIN3c108BFloat16EEEZNS1_21segmented_reduce_implIS3_PKS6_PS6_PKlS6_N6hipcub16HIPCUB_304000_NS6detail27convert_result_type_wrapperISA_SB_N2at6native12_GLOBAL__N_19CustomSumEEEEE10hipError_tPvRmT0_T1_jT2_SS_T4_T3_P12ihipStream_tbEUlT_E_NS1_11comp_targetILNS1_3genE0ELNS1_11target_archE4294967295ELNS1_3gpuE0ELNS1_3repE0EEENS1_30default_config_static_selectorELNS0_4arch9wavefront6targetE1EEEvSR_.num_vgpr, 0
	.set _ZN7rocprim17ROCPRIM_400000_NS6detail17trampoline_kernelINS0_14default_configENS1_32segmented_reduce_config_selectorIN3c108BFloat16EEEZNS1_21segmented_reduce_implIS3_PKS6_PS6_PKlS6_N6hipcub16HIPCUB_304000_NS6detail27convert_result_type_wrapperISA_SB_N2at6native12_GLOBAL__N_19CustomSumEEEEE10hipError_tPvRmT0_T1_jT2_SS_T4_T3_P12ihipStream_tbEUlT_E_NS1_11comp_targetILNS1_3genE0ELNS1_11target_archE4294967295ELNS1_3gpuE0ELNS1_3repE0EEENS1_30default_config_static_selectorELNS0_4arch9wavefront6targetE1EEEvSR_.num_agpr, 0
	.set _ZN7rocprim17ROCPRIM_400000_NS6detail17trampoline_kernelINS0_14default_configENS1_32segmented_reduce_config_selectorIN3c108BFloat16EEEZNS1_21segmented_reduce_implIS3_PKS6_PS6_PKlS6_N6hipcub16HIPCUB_304000_NS6detail27convert_result_type_wrapperISA_SB_N2at6native12_GLOBAL__N_19CustomSumEEEEE10hipError_tPvRmT0_T1_jT2_SS_T4_T3_P12ihipStream_tbEUlT_E_NS1_11comp_targetILNS1_3genE0ELNS1_11target_archE4294967295ELNS1_3gpuE0ELNS1_3repE0EEENS1_30default_config_static_selectorELNS0_4arch9wavefront6targetE1EEEvSR_.numbered_sgpr, 0
	.set _ZN7rocprim17ROCPRIM_400000_NS6detail17trampoline_kernelINS0_14default_configENS1_32segmented_reduce_config_selectorIN3c108BFloat16EEEZNS1_21segmented_reduce_implIS3_PKS6_PS6_PKlS6_N6hipcub16HIPCUB_304000_NS6detail27convert_result_type_wrapperISA_SB_N2at6native12_GLOBAL__N_19CustomSumEEEEE10hipError_tPvRmT0_T1_jT2_SS_T4_T3_P12ihipStream_tbEUlT_E_NS1_11comp_targetILNS1_3genE0ELNS1_11target_archE4294967295ELNS1_3gpuE0ELNS1_3repE0EEENS1_30default_config_static_selectorELNS0_4arch9wavefront6targetE1EEEvSR_.num_named_barrier, 0
	.set _ZN7rocprim17ROCPRIM_400000_NS6detail17trampoline_kernelINS0_14default_configENS1_32segmented_reduce_config_selectorIN3c108BFloat16EEEZNS1_21segmented_reduce_implIS3_PKS6_PS6_PKlS6_N6hipcub16HIPCUB_304000_NS6detail27convert_result_type_wrapperISA_SB_N2at6native12_GLOBAL__N_19CustomSumEEEEE10hipError_tPvRmT0_T1_jT2_SS_T4_T3_P12ihipStream_tbEUlT_E_NS1_11comp_targetILNS1_3genE0ELNS1_11target_archE4294967295ELNS1_3gpuE0ELNS1_3repE0EEENS1_30default_config_static_selectorELNS0_4arch9wavefront6targetE1EEEvSR_.private_seg_size, 0
	.set _ZN7rocprim17ROCPRIM_400000_NS6detail17trampoline_kernelINS0_14default_configENS1_32segmented_reduce_config_selectorIN3c108BFloat16EEEZNS1_21segmented_reduce_implIS3_PKS6_PS6_PKlS6_N6hipcub16HIPCUB_304000_NS6detail27convert_result_type_wrapperISA_SB_N2at6native12_GLOBAL__N_19CustomSumEEEEE10hipError_tPvRmT0_T1_jT2_SS_T4_T3_P12ihipStream_tbEUlT_E_NS1_11comp_targetILNS1_3genE0ELNS1_11target_archE4294967295ELNS1_3gpuE0ELNS1_3repE0EEENS1_30default_config_static_selectorELNS0_4arch9wavefront6targetE1EEEvSR_.uses_vcc, 0
	.set _ZN7rocprim17ROCPRIM_400000_NS6detail17trampoline_kernelINS0_14default_configENS1_32segmented_reduce_config_selectorIN3c108BFloat16EEEZNS1_21segmented_reduce_implIS3_PKS6_PS6_PKlS6_N6hipcub16HIPCUB_304000_NS6detail27convert_result_type_wrapperISA_SB_N2at6native12_GLOBAL__N_19CustomSumEEEEE10hipError_tPvRmT0_T1_jT2_SS_T4_T3_P12ihipStream_tbEUlT_E_NS1_11comp_targetILNS1_3genE0ELNS1_11target_archE4294967295ELNS1_3gpuE0ELNS1_3repE0EEENS1_30default_config_static_selectorELNS0_4arch9wavefront6targetE1EEEvSR_.uses_flat_scratch, 0
	.set _ZN7rocprim17ROCPRIM_400000_NS6detail17trampoline_kernelINS0_14default_configENS1_32segmented_reduce_config_selectorIN3c108BFloat16EEEZNS1_21segmented_reduce_implIS3_PKS6_PS6_PKlS6_N6hipcub16HIPCUB_304000_NS6detail27convert_result_type_wrapperISA_SB_N2at6native12_GLOBAL__N_19CustomSumEEEEE10hipError_tPvRmT0_T1_jT2_SS_T4_T3_P12ihipStream_tbEUlT_E_NS1_11comp_targetILNS1_3genE0ELNS1_11target_archE4294967295ELNS1_3gpuE0ELNS1_3repE0EEENS1_30default_config_static_selectorELNS0_4arch9wavefront6targetE1EEEvSR_.has_dyn_sized_stack, 0
	.set _ZN7rocprim17ROCPRIM_400000_NS6detail17trampoline_kernelINS0_14default_configENS1_32segmented_reduce_config_selectorIN3c108BFloat16EEEZNS1_21segmented_reduce_implIS3_PKS6_PS6_PKlS6_N6hipcub16HIPCUB_304000_NS6detail27convert_result_type_wrapperISA_SB_N2at6native12_GLOBAL__N_19CustomSumEEEEE10hipError_tPvRmT0_T1_jT2_SS_T4_T3_P12ihipStream_tbEUlT_E_NS1_11comp_targetILNS1_3genE0ELNS1_11target_archE4294967295ELNS1_3gpuE0ELNS1_3repE0EEENS1_30default_config_static_selectorELNS0_4arch9wavefront6targetE1EEEvSR_.has_recursion, 0
	.set _ZN7rocprim17ROCPRIM_400000_NS6detail17trampoline_kernelINS0_14default_configENS1_32segmented_reduce_config_selectorIN3c108BFloat16EEEZNS1_21segmented_reduce_implIS3_PKS6_PS6_PKlS6_N6hipcub16HIPCUB_304000_NS6detail27convert_result_type_wrapperISA_SB_N2at6native12_GLOBAL__N_19CustomSumEEEEE10hipError_tPvRmT0_T1_jT2_SS_T4_T3_P12ihipStream_tbEUlT_E_NS1_11comp_targetILNS1_3genE0ELNS1_11target_archE4294967295ELNS1_3gpuE0ELNS1_3repE0EEENS1_30default_config_static_selectorELNS0_4arch9wavefront6targetE1EEEvSR_.has_indirect_call, 0
	.section	.AMDGPU.csdata,"",@progbits
; Kernel info:
; codeLenInByte = 0
; TotalNumSgprs: 4
; NumVgprs: 0
; ScratchSize: 0
; MemoryBound: 0
; FloatMode: 240
; IeeeMode: 1
; LDSByteSize: 0 bytes/workgroup (compile time only)
; SGPRBlocks: 0
; VGPRBlocks: 0
; NumSGPRsForWavesPerEU: 4
; NumVGPRsForWavesPerEU: 1
; Occupancy: 10
; WaveLimiterHint : 0
; COMPUTE_PGM_RSRC2:SCRATCH_EN: 0
; COMPUTE_PGM_RSRC2:USER_SGPR: 6
; COMPUTE_PGM_RSRC2:TRAP_HANDLER: 0
; COMPUTE_PGM_RSRC2:TGID_X_EN: 1
; COMPUTE_PGM_RSRC2:TGID_Y_EN: 0
; COMPUTE_PGM_RSRC2:TGID_Z_EN: 0
; COMPUTE_PGM_RSRC2:TIDIG_COMP_CNT: 0
	.section	.text._ZN7rocprim17ROCPRIM_400000_NS6detail17trampoline_kernelINS0_14default_configENS1_32segmented_reduce_config_selectorIN3c108BFloat16EEEZNS1_21segmented_reduce_implIS3_PKS6_PS6_PKlS6_N6hipcub16HIPCUB_304000_NS6detail27convert_result_type_wrapperISA_SB_N2at6native12_GLOBAL__N_19CustomSumEEEEE10hipError_tPvRmT0_T1_jT2_SS_T4_T3_P12ihipStream_tbEUlT_E_NS1_11comp_targetILNS1_3genE5ELNS1_11target_archE942ELNS1_3gpuE9ELNS1_3repE0EEENS1_30default_config_static_selectorELNS0_4arch9wavefront6targetE1EEEvSR_,"axG",@progbits,_ZN7rocprim17ROCPRIM_400000_NS6detail17trampoline_kernelINS0_14default_configENS1_32segmented_reduce_config_selectorIN3c108BFloat16EEEZNS1_21segmented_reduce_implIS3_PKS6_PS6_PKlS6_N6hipcub16HIPCUB_304000_NS6detail27convert_result_type_wrapperISA_SB_N2at6native12_GLOBAL__N_19CustomSumEEEEE10hipError_tPvRmT0_T1_jT2_SS_T4_T3_P12ihipStream_tbEUlT_E_NS1_11comp_targetILNS1_3genE5ELNS1_11target_archE942ELNS1_3gpuE9ELNS1_3repE0EEENS1_30default_config_static_selectorELNS0_4arch9wavefront6targetE1EEEvSR_,comdat
	.globl	_ZN7rocprim17ROCPRIM_400000_NS6detail17trampoline_kernelINS0_14default_configENS1_32segmented_reduce_config_selectorIN3c108BFloat16EEEZNS1_21segmented_reduce_implIS3_PKS6_PS6_PKlS6_N6hipcub16HIPCUB_304000_NS6detail27convert_result_type_wrapperISA_SB_N2at6native12_GLOBAL__N_19CustomSumEEEEE10hipError_tPvRmT0_T1_jT2_SS_T4_T3_P12ihipStream_tbEUlT_E_NS1_11comp_targetILNS1_3genE5ELNS1_11target_archE942ELNS1_3gpuE9ELNS1_3repE0EEENS1_30default_config_static_selectorELNS0_4arch9wavefront6targetE1EEEvSR_ ; -- Begin function _ZN7rocprim17ROCPRIM_400000_NS6detail17trampoline_kernelINS0_14default_configENS1_32segmented_reduce_config_selectorIN3c108BFloat16EEEZNS1_21segmented_reduce_implIS3_PKS6_PS6_PKlS6_N6hipcub16HIPCUB_304000_NS6detail27convert_result_type_wrapperISA_SB_N2at6native12_GLOBAL__N_19CustomSumEEEEE10hipError_tPvRmT0_T1_jT2_SS_T4_T3_P12ihipStream_tbEUlT_E_NS1_11comp_targetILNS1_3genE5ELNS1_11target_archE942ELNS1_3gpuE9ELNS1_3repE0EEENS1_30default_config_static_selectorELNS0_4arch9wavefront6targetE1EEEvSR_
	.p2align	8
	.type	_ZN7rocprim17ROCPRIM_400000_NS6detail17trampoline_kernelINS0_14default_configENS1_32segmented_reduce_config_selectorIN3c108BFloat16EEEZNS1_21segmented_reduce_implIS3_PKS6_PS6_PKlS6_N6hipcub16HIPCUB_304000_NS6detail27convert_result_type_wrapperISA_SB_N2at6native12_GLOBAL__N_19CustomSumEEEEE10hipError_tPvRmT0_T1_jT2_SS_T4_T3_P12ihipStream_tbEUlT_E_NS1_11comp_targetILNS1_3genE5ELNS1_11target_archE942ELNS1_3gpuE9ELNS1_3repE0EEENS1_30default_config_static_selectorELNS0_4arch9wavefront6targetE1EEEvSR_,@function
_ZN7rocprim17ROCPRIM_400000_NS6detail17trampoline_kernelINS0_14default_configENS1_32segmented_reduce_config_selectorIN3c108BFloat16EEEZNS1_21segmented_reduce_implIS3_PKS6_PS6_PKlS6_N6hipcub16HIPCUB_304000_NS6detail27convert_result_type_wrapperISA_SB_N2at6native12_GLOBAL__N_19CustomSumEEEEE10hipError_tPvRmT0_T1_jT2_SS_T4_T3_P12ihipStream_tbEUlT_E_NS1_11comp_targetILNS1_3genE5ELNS1_11target_archE942ELNS1_3gpuE9ELNS1_3repE0EEENS1_30default_config_static_selectorELNS0_4arch9wavefront6targetE1EEEvSR_: ; @_ZN7rocprim17ROCPRIM_400000_NS6detail17trampoline_kernelINS0_14default_configENS1_32segmented_reduce_config_selectorIN3c108BFloat16EEEZNS1_21segmented_reduce_implIS3_PKS6_PS6_PKlS6_N6hipcub16HIPCUB_304000_NS6detail27convert_result_type_wrapperISA_SB_N2at6native12_GLOBAL__N_19CustomSumEEEEE10hipError_tPvRmT0_T1_jT2_SS_T4_T3_P12ihipStream_tbEUlT_E_NS1_11comp_targetILNS1_3genE5ELNS1_11target_archE942ELNS1_3gpuE9ELNS1_3repE0EEENS1_30default_config_static_selectorELNS0_4arch9wavefront6targetE1EEEvSR_
; %bb.0:
	.section	.rodata,"a",@progbits
	.p2align	6, 0x0
	.amdhsa_kernel _ZN7rocprim17ROCPRIM_400000_NS6detail17trampoline_kernelINS0_14default_configENS1_32segmented_reduce_config_selectorIN3c108BFloat16EEEZNS1_21segmented_reduce_implIS3_PKS6_PS6_PKlS6_N6hipcub16HIPCUB_304000_NS6detail27convert_result_type_wrapperISA_SB_N2at6native12_GLOBAL__N_19CustomSumEEEEE10hipError_tPvRmT0_T1_jT2_SS_T4_T3_P12ihipStream_tbEUlT_E_NS1_11comp_targetILNS1_3genE5ELNS1_11target_archE942ELNS1_3gpuE9ELNS1_3repE0EEENS1_30default_config_static_selectorELNS0_4arch9wavefront6targetE1EEEvSR_
		.amdhsa_group_segment_fixed_size 0
		.amdhsa_private_segment_fixed_size 0
		.amdhsa_kernarg_size 48
		.amdhsa_user_sgpr_count 6
		.amdhsa_user_sgpr_private_segment_buffer 1
		.amdhsa_user_sgpr_dispatch_ptr 0
		.amdhsa_user_sgpr_queue_ptr 0
		.amdhsa_user_sgpr_kernarg_segment_ptr 1
		.amdhsa_user_sgpr_dispatch_id 0
		.amdhsa_user_sgpr_flat_scratch_init 0
		.amdhsa_user_sgpr_private_segment_size 0
		.amdhsa_uses_dynamic_stack 0
		.amdhsa_system_sgpr_private_segment_wavefront_offset 0
		.amdhsa_system_sgpr_workgroup_id_x 1
		.amdhsa_system_sgpr_workgroup_id_y 0
		.amdhsa_system_sgpr_workgroup_id_z 0
		.amdhsa_system_sgpr_workgroup_info 0
		.amdhsa_system_vgpr_workitem_id 0
		.amdhsa_next_free_vgpr 1
		.amdhsa_next_free_sgpr 0
		.amdhsa_reserve_vcc 0
		.amdhsa_reserve_flat_scratch 0
		.amdhsa_float_round_mode_32 0
		.amdhsa_float_round_mode_16_64 0
		.amdhsa_float_denorm_mode_32 3
		.amdhsa_float_denorm_mode_16_64 3
		.amdhsa_dx10_clamp 1
		.amdhsa_ieee_mode 1
		.amdhsa_fp16_overflow 0
		.amdhsa_exception_fp_ieee_invalid_op 0
		.amdhsa_exception_fp_denorm_src 0
		.amdhsa_exception_fp_ieee_div_zero 0
		.amdhsa_exception_fp_ieee_overflow 0
		.amdhsa_exception_fp_ieee_underflow 0
		.amdhsa_exception_fp_ieee_inexact 0
		.amdhsa_exception_int_div_zero 0
	.end_amdhsa_kernel
	.section	.text._ZN7rocprim17ROCPRIM_400000_NS6detail17trampoline_kernelINS0_14default_configENS1_32segmented_reduce_config_selectorIN3c108BFloat16EEEZNS1_21segmented_reduce_implIS3_PKS6_PS6_PKlS6_N6hipcub16HIPCUB_304000_NS6detail27convert_result_type_wrapperISA_SB_N2at6native12_GLOBAL__N_19CustomSumEEEEE10hipError_tPvRmT0_T1_jT2_SS_T4_T3_P12ihipStream_tbEUlT_E_NS1_11comp_targetILNS1_3genE5ELNS1_11target_archE942ELNS1_3gpuE9ELNS1_3repE0EEENS1_30default_config_static_selectorELNS0_4arch9wavefront6targetE1EEEvSR_,"axG",@progbits,_ZN7rocprim17ROCPRIM_400000_NS6detail17trampoline_kernelINS0_14default_configENS1_32segmented_reduce_config_selectorIN3c108BFloat16EEEZNS1_21segmented_reduce_implIS3_PKS6_PS6_PKlS6_N6hipcub16HIPCUB_304000_NS6detail27convert_result_type_wrapperISA_SB_N2at6native12_GLOBAL__N_19CustomSumEEEEE10hipError_tPvRmT0_T1_jT2_SS_T4_T3_P12ihipStream_tbEUlT_E_NS1_11comp_targetILNS1_3genE5ELNS1_11target_archE942ELNS1_3gpuE9ELNS1_3repE0EEENS1_30default_config_static_selectorELNS0_4arch9wavefront6targetE1EEEvSR_,comdat
.Lfunc_end256:
	.size	_ZN7rocprim17ROCPRIM_400000_NS6detail17trampoline_kernelINS0_14default_configENS1_32segmented_reduce_config_selectorIN3c108BFloat16EEEZNS1_21segmented_reduce_implIS3_PKS6_PS6_PKlS6_N6hipcub16HIPCUB_304000_NS6detail27convert_result_type_wrapperISA_SB_N2at6native12_GLOBAL__N_19CustomSumEEEEE10hipError_tPvRmT0_T1_jT2_SS_T4_T3_P12ihipStream_tbEUlT_E_NS1_11comp_targetILNS1_3genE5ELNS1_11target_archE942ELNS1_3gpuE9ELNS1_3repE0EEENS1_30default_config_static_selectorELNS0_4arch9wavefront6targetE1EEEvSR_, .Lfunc_end256-_ZN7rocprim17ROCPRIM_400000_NS6detail17trampoline_kernelINS0_14default_configENS1_32segmented_reduce_config_selectorIN3c108BFloat16EEEZNS1_21segmented_reduce_implIS3_PKS6_PS6_PKlS6_N6hipcub16HIPCUB_304000_NS6detail27convert_result_type_wrapperISA_SB_N2at6native12_GLOBAL__N_19CustomSumEEEEE10hipError_tPvRmT0_T1_jT2_SS_T4_T3_P12ihipStream_tbEUlT_E_NS1_11comp_targetILNS1_3genE5ELNS1_11target_archE942ELNS1_3gpuE9ELNS1_3repE0EEENS1_30default_config_static_selectorELNS0_4arch9wavefront6targetE1EEEvSR_
                                        ; -- End function
	.set _ZN7rocprim17ROCPRIM_400000_NS6detail17trampoline_kernelINS0_14default_configENS1_32segmented_reduce_config_selectorIN3c108BFloat16EEEZNS1_21segmented_reduce_implIS3_PKS6_PS6_PKlS6_N6hipcub16HIPCUB_304000_NS6detail27convert_result_type_wrapperISA_SB_N2at6native12_GLOBAL__N_19CustomSumEEEEE10hipError_tPvRmT0_T1_jT2_SS_T4_T3_P12ihipStream_tbEUlT_E_NS1_11comp_targetILNS1_3genE5ELNS1_11target_archE942ELNS1_3gpuE9ELNS1_3repE0EEENS1_30default_config_static_selectorELNS0_4arch9wavefront6targetE1EEEvSR_.num_vgpr, 0
	.set _ZN7rocprim17ROCPRIM_400000_NS6detail17trampoline_kernelINS0_14default_configENS1_32segmented_reduce_config_selectorIN3c108BFloat16EEEZNS1_21segmented_reduce_implIS3_PKS6_PS6_PKlS6_N6hipcub16HIPCUB_304000_NS6detail27convert_result_type_wrapperISA_SB_N2at6native12_GLOBAL__N_19CustomSumEEEEE10hipError_tPvRmT0_T1_jT2_SS_T4_T3_P12ihipStream_tbEUlT_E_NS1_11comp_targetILNS1_3genE5ELNS1_11target_archE942ELNS1_3gpuE9ELNS1_3repE0EEENS1_30default_config_static_selectorELNS0_4arch9wavefront6targetE1EEEvSR_.num_agpr, 0
	.set _ZN7rocprim17ROCPRIM_400000_NS6detail17trampoline_kernelINS0_14default_configENS1_32segmented_reduce_config_selectorIN3c108BFloat16EEEZNS1_21segmented_reduce_implIS3_PKS6_PS6_PKlS6_N6hipcub16HIPCUB_304000_NS6detail27convert_result_type_wrapperISA_SB_N2at6native12_GLOBAL__N_19CustomSumEEEEE10hipError_tPvRmT0_T1_jT2_SS_T4_T3_P12ihipStream_tbEUlT_E_NS1_11comp_targetILNS1_3genE5ELNS1_11target_archE942ELNS1_3gpuE9ELNS1_3repE0EEENS1_30default_config_static_selectorELNS0_4arch9wavefront6targetE1EEEvSR_.numbered_sgpr, 0
	.set _ZN7rocprim17ROCPRIM_400000_NS6detail17trampoline_kernelINS0_14default_configENS1_32segmented_reduce_config_selectorIN3c108BFloat16EEEZNS1_21segmented_reduce_implIS3_PKS6_PS6_PKlS6_N6hipcub16HIPCUB_304000_NS6detail27convert_result_type_wrapperISA_SB_N2at6native12_GLOBAL__N_19CustomSumEEEEE10hipError_tPvRmT0_T1_jT2_SS_T4_T3_P12ihipStream_tbEUlT_E_NS1_11comp_targetILNS1_3genE5ELNS1_11target_archE942ELNS1_3gpuE9ELNS1_3repE0EEENS1_30default_config_static_selectorELNS0_4arch9wavefront6targetE1EEEvSR_.num_named_barrier, 0
	.set _ZN7rocprim17ROCPRIM_400000_NS6detail17trampoline_kernelINS0_14default_configENS1_32segmented_reduce_config_selectorIN3c108BFloat16EEEZNS1_21segmented_reduce_implIS3_PKS6_PS6_PKlS6_N6hipcub16HIPCUB_304000_NS6detail27convert_result_type_wrapperISA_SB_N2at6native12_GLOBAL__N_19CustomSumEEEEE10hipError_tPvRmT0_T1_jT2_SS_T4_T3_P12ihipStream_tbEUlT_E_NS1_11comp_targetILNS1_3genE5ELNS1_11target_archE942ELNS1_3gpuE9ELNS1_3repE0EEENS1_30default_config_static_selectorELNS0_4arch9wavefront6targetE1EEEvSR_.private_seg_size, 0
	.set _ZN7rocprim17ROCPRIM_400000_NS6detail17trampoline_kernelINS0_14default_configENS1_32segmented_reduce_config_selectorIN3c108BFloat16EEEZNS1_21segmented_reduce_implIS3_PKS6_PS6_PKlS6_N6hipcub16HIPCUB_304000_NS6detail27convert_result_type_wrapperISA_SB_N2at6native12_GLOBAL__N_19CustomSumEEEEE10hipError_tPvRmT0_T1_jT2_SS_T4_T3_P12ihipStream_tbEUlT_E_NS1_11comp_targetILNS1_3genE5ELNS1_11target_archE942ELNS1_3gpuE9ELNS1_3repE0EEENS1_30default_config_static_selectorELNS0_4arch9wavefront6targetE1EEEvSR_.uses_vcc, 0
	.set _ZN7rocprim17ROCPRIM_400000_NS6detail17trampoline_kernelINS0_14default_configENS1_32segmented_reduce_config_selectorIN3c108BFloat16EEEZNS1_21segmented_reduce_implIS3_PKS6_PS6_PKlS6_N6hipcub16HIPCUB_304000_NS6detail27convert_result_type_wrapperISA_SB_N2at6native12_GLOBAL__N_19CustomSumEEEEE10hipError_tPvRmT0_T1_jT2_SS_T4_T3_P12ihipStream_tbEUlT_E_NS1_11comp_targetILNS1_3genE5ELNS1_11target_archE942ELNS1_3gpuE9ELNS1_3repE0EEENS1_30default_config_static_selectorELNS0_4arch9wavefront6targetE1EEEvSR_.uses_flat_scratch, 0
	.set _ZN7rocprim17ROCPRIM_400000_NS6detail17trampoline_kernelINS0_14default_configENS1_32segmented_reduce_config_selectorIN3c108BFloat16EEEZNS1_21segmented_reduce_implIS3_PKS6_PS6_PKlS6_N6hipcub16HIPCUB_304000_NS6detail27convert_result_type_wrapperISA_SB_N2at6native12_GLOBAL__N_19CustomSumEEEEE10hipError_tPvRmT0_T1_jT2_SS_T4_T3_P12ihipStream_tbEUlT_E_NS1_11comp_targetILNS1_3genE5ELNS1_11target_archE942ELNS1_3gpuE9ELNS1_3repE0EEENS1_30default_config_static_selectorELNS0_4arch9wavefront6targetE1EEEvSR_.has_dyn_sized_stack, 0
	.set _ZN7rocprim17ROCPRIM_400000_NS6detail17trampoline_kernelINS0_14default_configENS1_32segmented_reduce_config_selectorIN3c108BFloat16EEEZNS1_21segmented_reduce_implIS3_PKS6_PS6_PKlS6_N6hipcub16HIPCUB_304000_NS6detail27convert_result_type_wrapperISA_SB_N2at6native12_GLOBAL__N_19CustomSumEEEEE10hipError_tPvRmT0_T1_jT2_SS_T4_T3_P12ihipStream_tbEUlT_E_NS1_11comp_targetILNS1_3genE5ELNS1_11target_archE942ELNS1_3gpuE9ELNS1_3repE0EEENS1_30default_config_static_selectorELNS0_4arch9wavefront6targetE1EEEvSR_.has_recursion, 0
	.set _ZN7rocprim17ROCPRIM_400000_NS6detail17trampoline_kernelINS0_14default_configENS1_32segmented_reduce_config_selectorIN3c108BFloat16EEEZNS1_21segmented_reduce_implIS3_PKS6_PS6_PKlS6_N6hipcub16HIPCUB_304000_NS6detail27convert_result_type_wrapperISA_SB_N2at6native12_GLOBAL__N_19CustomSumEEEEE10hipError_tPvRmT0_T1_jT2_SS_T4_T3_P12ihipStream_tbEUlT_E_NS1_11comp_targetILNS1_3genE5ELNS1_11target_archE942ELNS1_3gpuE9ELNS1_3repE0EEENS1_30default_config_static_selectorELNS0_4arch9wavefront6targetE1EEEvSR_.has_indirect_call, 0
	.section	.AMDGPU.csdata,"",@progbits
; Kernel info:
; codeLenInByte = 0
; TotalNumSgprs: 4
; NumVgprs: 0
; ScratchSize: 0
; MemoryBound: 0
; FloatMode: 240
; IeeeMode: 1
; LDSByteSize: 0 bytes/workgroup (compile time only)
; SGPRBlocks: 0
; VGPRBlocks: 0
; NumSGPRsForWavesPerEU: 4
; NumVGPRsForWavesPerEU: 1
; Occupancy: 10
; WaveLimiterHint : 0
; COMPUTE_PGM_RSRC2:SCRATCH_EN: 0
; COMPUTE_PGM_RSRC2:USER_SGPR: 6
; COMPUTE_PGM_RSRC2:TRAP_HANDLER: 0
; COMPUTE_PGM_RSRC2:TGID_X_EN: 1
; COMPUTE_PGM_RSRC2:TGID_Y_EN: 0
; COMPUTE_PGM_RSRC2:TGID_Z_EN: 0
; COMPUTE_PGM_RSRC2:TIDIG_COMP_CNT: 0
	.section	.text._ZN7rocprim17ROCPRIM_400000_NS6detail17trampoline_kernelINS0_14default_configENS1_32segmented_reduce_config_selectorIN3c108BFloat16EEEZNS1_21segmented_reduce_implIS3_PKS6_PS6_PKlS6_N6hipcub16HIPCUB_304000_NS6detail27convert_result_type_wrapperISA_SB_N2at6native12_GLOBAL__N_19CustomSumEEEEE10hipError_tPvRmT0_T1_jT2_SS_T4_T3_P12ihipStream_tbEUlT_E_NS1_11comp_targetILNS1_3genE10ELNS1_11target_archE1201ELNS1_3gpuE5ELNS1_3repE0EEENS1_30default_config_static_selectorELNS0_4arch9wavefront6targetE1EEEvSR_,"axG",@progbits,_ZN7rocprim17ROCPRIM_400000_NS6detail17trampoline_kernelINS0_14default_configENS1_32segmented_reduce_config_selectorIN3c108BFloat16EEEZNS1_21segmented_reduce_implIS3_PKS6_PS6_PKlS6_N6hipcub16HIPCUB_304000_NS6detail27convert_result_type_wrapperISA_SB_N2at6native12_GLOBAL__N_19CustomSumEEEEE10hipError_tPvRmT0_T1_jT2_SS_T4_T3_P12ihipStream_tbEUlT_E_NS1_11comp_targetILNS1_3genE10ELNS1_11target_archE1201ELNS1_3gpuE5ELNS1_3repE0EEENS1_30default_config_static_selectorELNS0_4arch9wavefront6targetE1EEEvSR_,comdat
	.globl	_ZN7rocprim17ROCPRIM_400000_NS6detail17trampoline_kernelINS0_14default_configENS1_32segmented_reduce_config_selectorIN3c108BFloat16EEEZNS1_21segmented_reduce_implIS3_PKS6_PS6_PKlS6_N6hipcub16HIPCUB_304000_NS6detail27convert_result_type_wrapperISA_SB_N2at6native12_GLOBAL__N_19CustomSumEEEEE10hipError_tPvRmT0_T1_jT2_SS_T4_T3_P12ihipStream_tbEUlT_E_NS1_11comp_targetILNS1_3genE10ELNS1_11target_archE1201ELNS1_3gpuE5ELNS1_3repE0EEENS1_30default_config_static_selectorELNS0_4arch9wavefront6targetE1EEEvSR_ ; -- Begin function _ZN7rocprim17ROCPRIM_400000_NS6detail17trampoline_kernelINS0_14default_configENS1_32segmented_reduce_config_selectorIN3c108BFloat16EEEZNS1_21segmented_reduce_implIS3_PKS6_PS6_PKlS6_N6hipcub16HIPCUB_304000_NS6detail27convert_result_type_wrapperISA_SB_N2at6native12_GLOBAL__N_19CustomSumEEEEE10hipError_tPvRmT0_T1_jT2_SS_T4_T3_P12ihipStream_tbEUlT_E_NS1_11comp_targetILNS1_3genE10ELNS1_11target_archE1201ELNS1_3gpuE5ELNS1_3repE0EEENS1_30default_config_static_selectorELNS0_4arch9wavefront6targetE1EEEvSR_
	.p2align	8
	.type	_ZN7rocprim17ROCPRIM_400000_NS6detail17trampoline_kernelINS0_14default_configENS1_32segmented_reduce_config_selectorIN3c108BFloat16EEEZNS1_21segmented_reduce_implIS3_PKS6_PS6_PKlS6_N6hipcub16HIPCUB_304000_NS6detail27convert_result_type_wrapperISA_SB_N2at6native12_GLOBAL__N_19CustomSumEEEEE10hipError_tPvRmT0_T1_jT2_SS_T4_T3_P12ihipStream_tbEUlT_E_NS1_11comp_targetILNS1_3genE10ELNS1_11target_archE1201ELNS1_3gpuE5ELNS1_3repE0EEENS1_30default_config_static_selectorELNS0_4arch9wavefront6targetE1EEEvSR_,@function
_ZN7rocprim17ROCPRIM_400000_NS6detail17trampoline_kernelINS0_14default_configENS1_32segmented_reduce_config_selectorIN3c108BFloat16EEEZNS1_21segmented_reduce_implIS3_PKS6_PS6_PKlS6_N6hipcub16HIPCUB_304000_NS6detail27convert_result_type_wrapperISA_SB_N2at6native12_GLOBAL__N_19CustomSumEEEEE10hipError_tPvRmT0_T1_jT2_SS_T4_T3_P12ihipStream_tbEUlT_E_NS1_11comp_targetILNS1_3genE10ELNS1_11target_archE1201ELNS1_3gpuE5ELNS1_3repE0EEENS1_30default_config_static_selectorELNS0_4arch9wavefront6targetE1EEEvSR_: ; @_ZN7rocprim17ROCPRIM_400000_NS6detail17trampoline_kernelINS0_14default_configENS1_32segmented_reduce_config_selectorIN3c108BFloat16EEEZNS1_21segmented_reduce_implIS3_PKS6_PS6_PKlS6_N6hipcub16HIPCUB_304000_NS6detail27convert_result_type_wrapperISA_SB_N2at6native12_GLOBAL__N_19CustomSumEEEEE10hipError_tPvRmT0_T1_jT2_SS_T4_T3_P12ihipStream_tbEUlT_E_NS1_11comp_targetILNS1_3genE10ELNS1_11target_archE1201ELNS1_3gpuE5ELNS1_3repE0EEENS1_30default_config_static_selectorELNS0_4arch9wavefront6targetE1EEEvSR_
; %bb.0:
	.section	.rodata,"a",@progbits
	.p2align	6, 0x0
	.amdhsa_kernel _ZN7rocprim17ROCPRIM_400000_NS6detail17trampoline_kernelINS0_14default_configENS1_32segmented_reduce_config_selectorIN3c108BFloat16EEEZNS1_21segmented_reduce_implIS3_PKS6_PS6_PKlS6_N6hipcub16HIPCUB_304000_NS6detail27convert_result_type_wrapperISA_SB_N2at6native12_GLOBAL__N_19CustomSumEEEEE10hipError_tPvRmT0_T1_jT2_SS_T4_T3_P12ihipStream_tbEUlT_E_NS1_11comp_targetILNS1_3genE10ELNS1_11target_archE1201ELNS1_3gpuE5ELNS1_3repE0EEENS1_30default_config_static_selectorELNS0_4arch9wavefront6targetE1EEEvSR_
		.amdhsa_group_segment_fixed_size 0
		.amdhsa_private_segment_fixed_size 0
		.amdhsa_kernarg_size 48
		.amdhsa_user_sgpr_count 6
		.amdhsa_user_sgpr_private_segment_buffer 1
		.amdhsa_user_sgpr_dispatch_ptr 0
		.amdhsa_user_sgpr_queue_ptr 0
		.amdhsa_user_sgpr_kernarg_segment_ptr 1
		.amdhsa_user_sgpr_dispatch_id 0
		.amdhsa_user_sgpr_flat_scratch_init 0
		.amdhsa_user_sgpr_private_segment_size 0
		.amdhsa_uses_dynamic_stack 0
		.amdhsa_system_sgpr_private_segment_wavefront_offset 0
		.amdhsa_system_sgpr_workgroup_id_x 1
		.amdhsa_system_sgpr_workgroup_id_y 0
		.amdhsa_system_sgpr_workgroup_id_z 0
		.amdhsa_system_sgpr_workgroup_info 0
		.amdhsa_system_vgpr_workitem_id 0
		.amdhsa_next_free_vgpr 1
		.amdhsa_next_free_sgpr 0
		.amdhsa_reserve_vcc 0
		.amdhsa_reserve_flat_scratch 0
		.amdhsa_float_round_mode_32 0
		.amdhsa_float_round_mode_16_64 0
		.amdhsa_float_denorm_mode_32 3
		.amdhsa_float_denorm_mode_16_64 3
		.amdhsa_dx10_clamp 1
		.amdhsa_ieee_mode 1
		.amdhsa_fp16_overflow 0
		.amdhsa_exception_fp_ieee_invalid_op 0
		.amdhsa_exception_fp_denorm_src 0
		.amdhsa_exception_fp_ieee_div_zero 0
		.amdhsa_exception_fp_ieee_overflow 0
		.amdhsa_exception_fp_ieee_underflow 0
		.amdhsa_exception_fp_ieee_inexact 0
		.amdhsa_exception_int_div_zero 0
	.end_amdhsa_kernel
	.section	.text._ZN7rocprim17ROCPRIM_400000_NS6detail17trampoline_kernelINS0_14default_configENS1_32segmented_reduce_config_selectorIN3c108BFloat16EEEZNS1_21segmented_reduce_implIS3_PKS6_PS6_PKlS6_N6hipcub16HIPCUB_304000_NS6detail27convert_result_type_wrapperISA_SB_N2at6native12_GLOBAL__N_19CustomSumEEEEE10hipError_tPvRmT0_T1_jT2_SS_T4_T3_P12ihipStream_tbEUlT_E_NS1_11comp_targetILNS1_3genE10ELNS1_11target_archE1201ELNS1_3gpuE5ELNS1_3repE0EEENS1_30default_config_static_selectorELNS0_4arch9wavefront6targetE1EEEvSR_,"axG",@progbits,_ZN7rocprim17ROCPRIM_400000_NS6detail17trampoline_kernelINS0_14default_configENS1_32segmented_reduce_config_selectorIN3c108BFloat16EEEZNS1_21segmented_reduce_implIS3_PKS6_PS6_PKlS6_N6hipcub16HIPCUB_304000_NS6detail27convert_result_type_wrapperISA_SB_N2at6native12_GLOBAL__N_19CustomSumEEEEE10hipError_tPvRmT0_T1_jT2_SS_T4_T3_P12ihipStream_tbEUlT_E_NS1_11comp_targetILNS1_3genE10ELNS1_11target_archE1201ELNS1_3gpuE5ELNS1_3repE0EEENS1_30default_config_static_selectorELNS0_4arch9wavefront6targetE1EEEvSR_,comdat
.Lfunc_end257:
	.size	_ZN7rocprim17ROCPRIM_400000_NS6detail17trampoline_kernelINS0_14default_configENS1_32segmented_reduce_config_selectorIN3c108BFloat16EEEZNS1_21segmented_reduce_implIS3_PKS6_PS6_PKlS6_N6hipcub16HIPCUB_304000_NS6detail27convert_result_type_wrapperISA_SB_N2at6native12_GLOBAL__N_19CustomSumEEEEE10hipError_tPvRmT0_T1_jT2_SS_T4_T3_P12ihipStream_tbEUlT_E_NS1_11comp_targetILNS1_3genE10ELNS1_11target_archE1201ELNS1_3gpuE5ELNS1_3repE0EEENS1_30default_config_static_selectorELNS0_4arch9wavefront6targetE1EEEvSR_, .Lfunc_end257-_ZN7rocprim17ROCPRIM_400000_NS6detail17trampoline_kernelINS0_14default_configENS1_32segmented_reduce_config_selectorIN3c108BFloat16EEEZNS1_21segmented_reduce_implIS3_PKS6_PS6_PKlS6_N6hipcub16HIPCUB_304000_NS6detail27convert_result_type_wrapperISA_SB_N2at6native12_GLOBAL__N_19CustomSumEEEEE10hipError_tPvRmT0_T1_jT2_SS_T4_T3_P12ihipStream_tbEUlT_E_NS1_11comp_targetILNS1_3genE10ELNS1_11target_archE1201ELNS1_3gpuE5ELNS1_3repE0EEENS1_30default_config_static_selectorELNS0_4arch9wavefront6targetE1EEEvSR_
                                        ; -- End function
	.set _ZN7rocprim17ROCPRIM_400000_NS6detail17trampoline_kernelINS0_14default_configENS1_32segmented_reduce_config_selectorIN3c108BFloat16EEEZNS1_21segmented_reduce_implIS3_PKS6_PS6_PKlS6_N6hipcub16HIPCUB_304000_NS6detail27convert_result_type_wrapperISA_SB_N2at6native12_GLOBAL__N_19CustomSumEEEEE10hipError_tPvRmT0_T1_jT2_SS_T4_T3_P12ihipStream_tbEUlT_E_NS1_11comp_targetILNS1_3genE10ELNS1_11target_archE1201ELNS1_3gpuE5ELNS1_3repE0EEENS1_30default_config_static_selectorELNS0_4arch9wavefront6targetE1EEEvSR_.num_vgpr, 0
	.set _ZN7rocprim17ROCPRIM_400000_NS6detail17trampoline_kernelINS0_14default_configENS1_32segmented_reduce_config_selectorIN3c108BFloat16EEEZNS1_21segmented_reduce_implIS3_PKS6_PS6_PKlS6_N6hipcub16HIPCUB_304000_NS6detail27convert_result_type_wrapperISA_SB_N2at6native12_GLOBAL__N_19CustomSumEEEEE10hipError_tPvRmT0_T1_jT2_SS_T4_T3_P12ihipStream_tbEUlT_E_NS1_11comp_targetILNS1_3genE10ELNS1_11target_archE1201ELNS1_3gpuE5ELNS1_3repE0EEENS1_30default_config_static_selectorELNS0_4arch9wavefront6targetE1EEEvSR_.num_agpr, 0
	.set _ZN7rocprim17ROCPRIM_400000_NS6detail17trampoline_kernelINS0_14default_configENS1_32segmented_reduce_config_selectorIN3c108BFloat16EEEZNS1_21segmented_reduce_implIS3_PKS6_PS6_PKlS6_N6hipcub16HIPCUB_304000_NS6detail27convert_result_type_wrapperISA_SB_N2at6native12_GLOBAL__N_19CustomSumEEEEE10hipError_tPvRmT0_T1_jT2_SS_T4_T3_P12ihipStream_tbEUlT_E_NS1_11comp_targetILNS1_3genE10ELNS1_11target_archE1201ELNS1_3gpuE5ELNS1_3repE0EEENS1_30default_config_static_selectorELNS0_4arch9wavefront6targetE1EEEvSR_.numbered_sgpr, 0
	.set _ZN7rocprim17ROCPRIM_400000_NS6detail17trampoline_kernelINS0_14default_configENS1_32segmented_reduce_config_selectorIN3c108BFloat16EEEZNS1_21segmented_reduce_implIS3_PKS6_PS6_PKlS6_N6hipcub16HIPCUB_304000_NS6detail27convert_result_type_wrapperISA_SB_N2at6native12_GLOBAL__N_19CustomSumEEEEE10hipError_tPvRmT0_T1_jT2_SS_T4_T3_P12ihipStream_tbEUlT_E_NS1_11comp_targetILNS1_3genE10ELNS1_11target_archE1201ELNS1_3gpuE5ELNS1_3repE0EEENS1_30default_config_static_selectorELNS0_4arch9wavefront6targetE1EEEvSR_.num_named_barrier, 0
	.set _ZN7rocprim17ROCPRIM_400000_NS6detail17trampoline_kernelINS0_14default_configENS1_32segmented_reduce_config_selectorIN3c108BFloat16EEEZNS1_21segmented_reduce_implIS3_PKS6_PS6_PKlS6_N6hipcub16HIPCUB_304000_NS6detail27convert_result_type_wrapperISA_SB_N2at6native12_GLOBAL__N_19CustomSumEEEEE10hipError_tPvRmT0_T1_jT2_SS_T4_T3_P12ihipStream_tbEUlT_E_NS1_11comp_targetILNS1_3genE10ELNS1_11target_archE1201ELNS1_3gpuE5ELNS1_3repE0EEENS1_30default_config_static_selectorELNS0_4arch9wavefront6targetE1EEEvSR_.private_seg_size, 0
	.set _ZN7rocprim17ROCPRIM_400000_NS6detail17trampoline_kernelINS0_14default_configENS1_32segmented_reduce_config_selectorIN3c108BFloat16EEEZNS1_21segmented_reduce_implIS3_PKS6_PS6_PKlS6_N6hipcub16HIPCUB_304000_NS6detail27convert_result_type_wrapperISA_SB_N2at6native12_GLOBAL__N_19CustomSumEEEEE10hipError_tPvRmT0_T1_jT2_SS_T4_T3_P12ihipStream_tbEUlT_E_NS1_11comp_targetILNS1_3genE10ELNS1_11target_archE1201ELNS1_3gpuE5ELNS1_3repE0EEENS1_30default_config_static_selectorELNS0_4arch9wavefront6targetE1EEEvSR_.uses_vcc, 0
	.set _ZN7rocprim17ROCPRIM_400000_NS6detail17trampoline_kernelINS0_14default_configENS1_32segmented_reduce_config_selectorIN3c108BFloat16EEEZNS1_21segmented_reduce_implIS3_PKS6_PS6_PKlS6_N6hipcub16HIPCUB_304000_NS6detail27convert_result_type_wrapperISA_SB_N2at6native12_GLOBAL__N_19CustomSumEEEEE10hipError_tPvRmT0_T1_jT2_SS_T4_T3_P12ihipStream_tbEUlT_E_NS1_11comp_targetILNS1_3genE10ELNS1_11target_archE1201ELNS1_3gpuE5ELNS1_3repE0EEENS1_30default_config_static_selectorELNS0_4arch9wavefront6targetE1EEEvSR_.uses_flat_scratch, 0
	.set _ZN7rocprim17ROCPRIM_400000_NS6detail17trampoline_kernelINS0_14default_configENS1_32segmented_reduce_config_selectorIN3c108BFloat16EEEZNS1_21segmented_reduce_implIS3_PKS6_PS6_PKlS6_N6hipcub16HIPCUB_304000_NS6detail27convert_result_type_wrapperISA_SB_N2at6native12_GLOBAL__N_19CustomSumEEEEE10hipError_tPvRmT0_T1_jT2_SS_T4_T3_P12ihipStream_tbEUlT_E_NS1_11comp_targetILNS1_3genE10ELNS1_11target_archE1201ELNS1_3gpuE5ELNS1_3repE0EEENS1_30default_config_static_selectorELNS0_4arch9wavefront6targetE1EEEvSR_.has_dyn_sized_stack, 0
	.set _ZN7rocprim17ROCPRIM_400000_NS6detail17trampoline_kernelINS0_14default_configENS1_32segmented_reduce_config_selectorIN3c108BFloat16EEEZNS1_21segmented_reduce_implIS3_PKS6_PS6_PKlS6_N6hipcub16HIPCUB_304000_NS6detail27convert_result_type_wrapperISA_SB_N2at6native12_GLOBAL__N_19CustomSumEEEEE10hipError_tPvRmT0_T1_jT2_SS_T4_T3_P12ihipStream_tbEUlT_E_NS1_11comp_targetILNS1_3genE10ELNS1_11target_archE1201ELNS1_3gpuE5ELNS1_3repE0EEENS1_30default_config_static_selectorELNS0_4arch9wavefront6targetE1EEEvSR_.has_recursion, 0
	.set _ZN7rocprim17ROCPRIM_400000_NS6detail17trampoline_kernelINS0_14default_configENS1_32segmented_reduce_config_selectorIN3c108BFloat16EEEZNS1_21segmented_reduce_implIS3_PKS6_PS6_PKlS6_N6hipcub16HIPCUB_304000_NS6detail27convert_result_type_wrapperISA_SB_N2at6native12_GLOBAL__N_19CustomSumEEEEE10hipError_tPvRmT0_T1_jT2_SS_T4_T3_P12ihipStream_tbEUlT_E_NS1_11comp_targetILNS1_3genE10ELNS1_11target_archE1201ELNS1_3gpuE5ELNS1_3repE0EEENS1_30default_config_static_selectorELNS0_4arch9wavefront6targetE1EEEvSR_.has_indirect_call, 0
	.section	.AMDGPU.csdata,"",@progbits
; Kernel info:
; codeLenInByte = 0
; TotalNumSgprs: 4
; NumVgprs: 0
; ScratchSize: 0
; MemoryBound: 0
; FloatMode: 240
; IeeeMode: 1
; LDSByteSize: 0 bytes/workgroup (compile time only)
; SGPRBlocks: 0
; VGPRBlocks: 0
; NumSGPRsForWavesPerEU: 4
; NumVGPRsForWavesPerEU: 1
; Occupancy: 10
; WaveLimiterHint : 0
; COMPUTE_PGM_RSRC2:SCRATCH_EN: 0
; COMPUTE_PGM_RSRC2:USER_SGPR: 6
; COMPUTE_PGM_RSRC2:TRAP_HANDLER: 0
; COMPUTE_PGM_RSRC2:TGID_X_EN: 1
; COMPUTE_PGM_RSRC2:TGID_Y_EN: 0
; COMPUTE_PGM_RSRC2:TGID_Z_EN: 0
; COMPUTE_PGM_RSRC2:TIDIG_COMP_CNT: 0
	.section	.text._ZN7rocprim17ROCPRIM_400000_NS6detail17trampoline_kernelINS0_14default_configENS1_32segmented_reduce_config_selectorIN3c108BFloat16EEEZNS1_21segmented_reduce_implIS3_PKS6_PS6_PKlS6_N6hipcub16HIPCUB_304000_NS6detail27convert_result_type_wrapperISA_SB_N2at6native12_GLOBAL__N_19CustomSumEEEEE10hipError_tPvRmT0_T1_jT2_SS_T4_T3_P12ihipStream_tbEUlT_E_NS1_11comp_targetILNS1_3genE4ELNS1_11target_archE910ELNS1_3gpuE8ELNS1_3repE0EEENS1_30default_config_static_selectorELNS0_4arch9wavefront6targetE1EEEvSR_,"axG",@progbits,_ZN7rocprim17ROCPRIM_400000_NS6detail17trampoline_kernelINS0_14default_configENS1_32segmented_reduce_config_selectorIN3c108BFloat16EEEZNS1_21segmented_reduce_implIS3_PKS6_PS6_PKlS6_N6hipcub16HIPCUB_304000_NS6detail27convert_result_type_wrapperISA_SB_N2at6native12_GLOBAL__N_19CustomSumEEEEE10hipError_tPvRmT0_T1_jT2_SS_T4_T3_P12ihipStream_tbEUlT_E_NS1_11comp_targetILNS1_3genE4ELNS1_11target_archE910ELNS1_3gpuE8ELNS1_3repE0EEENS1_30default_config_static_selectorELNS0_4arch9wavefront6targetE1EEEvSR_,comdat
	.globl	_ZN7rocprim17ROCPRIM_400000_NS6detail17trampoline_kernelINS0_14default_configENS1_32segmented_reduce_config_selectorIN3c108BFloat16EEEZNS1_21segmented_reduce_implIS3_PKS6_PS6_PKlS6_N6hipcub16HIPCUB_304000_NS6detail27convert_result_type_wrapperISA_SB_N2at6native12_GLOBAL__N_19CustomSumEEEEE10hipError_tPvRmT0_T1_jT2_SS_T4_T3_P12ihipStream_tbEUlT_E_NS1_11comp_targetILNS1_3genE4ELNS1_11target_archE910ELNS1_3gpuE8ELNS1_3repE0EEENS1_30default_config_static_selectorELNS0_4arch9wavefront6targetE1EEEvSR_ ; -- Begin function _ZN7rocprim17ROCPRIM_400000_NS6detail17trampoline_kernelINS0_14default_configENS1_32segmented_reduce_config_selectorIN3c108BFloat16EEEZNS1_21segmented_reduce_implIS3_PKS6_PS6_PKlS6_N6hipcub16HIPCUB_304000_NS6detail27convert_result_type_wrapperISA_SB_N2at6native12_GLOBAL__N_19CustomSumEEEEE10hipError_tPvRmT0_T1_jT2_SS_T4_T3_P12ihipStream_tbEUlT_E_NS1_11comp_targetILNS1_3genE4ELNS1_11target_archE910ELNS1_3gpuE8ELNS1_3repE0EEENS1_30default_config_static_selectorELNS0_4arch9wavefront6targetE1EEEvSR_
	.p2align	8
	.type	_ZN7rocprim17ROCPRIM_400000_NS6detail17trampoline_kernelINS0_14default_configENS1_32segmented_reduce_config_selectorIN3c108BFloat16EEEZNS1_21segmented_reduce_implIS3_PKS6_PS6_PKlS6_N6hipcub16HIPCUB_304000_NS6detail27convert_result_type_wrapperISA_SB_N2at6native12_GLOBAL__N_19CustomSumEEEEE10hipError_tPvRmT0_T1_jT2_SS_T4_T3_P12ihipStream_tbEUlT_E_NS1_11comp_targetILNS1_3genE4ELNS1_11target_archE910ELNS1_3gpuE8ELNS1_3repE0EEENS1_30default_config_static_selectorELNS0_4arch9wavefront6targetE1EEEvSR_,@function
_ZN7rocprim17ROCPRIM_400000_NS6detail17trampoline_kernelINS0_14default_configENS1_32segmented_reduce_config_selectorIN3c108BFloat16EEEZNS1_21segmented_reduce_implIS3_PKS6_PS6_PKlS6_N6hipcub16HIPCUB_304000_NS6detail27convert_result_type_wrapperISA_SB_N2at6native12_GLOBAL__N_19CustomSumEEEEE10hipError_tPvRmT0_T1_jT2_SS_T4_T3_P12ihipStream_tbEUlT_E_NS1_11comp_targetILNS1_3genE4ELNS1_11target_archE910ELNS1_3gpuE8ELNS1_3repE0EEENS1_30default_config_static_selectorELNS0_4arch9wavefront6targetE1EEEvSR_: ; @_ZN7rocprim17ROCPRIM_400000_NS6detail17trampoline_kernelINS0_14default_configENS1_32segmented_reduce_config_selectorIN3c108BFloat16EEEZNS1_21segmented_reduce_implIS3_PKS6_PS6_PKlS6_N6hipcub16HIPCUB_304000_NS6detail27convert_result_type_wrapperISA_SB_N2at6native12_GLOBAL__N_19CustomSumEEEEE10hipError_tPvRmT0_T1_jT2_SS_T4_T3_P12ihipStream_tbEUlT_E_NS1_11comp_targetILNS1_3genE4ELNS1_11target_archE910ELNS1_3gpuE8ELNS1_3repE0EEENS1_30default_config_static_selectorELNS0_4arch9wavefront6targetE1EEEvSR_
; %bb.0:
	.section	.rodata,"a",@progbits
	.p2align	6, 0x0
	.amdhsa_kernel _ZN7rocprim17ROCPRIM_400000_NS6detail17trampoline_kernelINS0_14default_configENS1_32segmented_reduce_config_selectorIN3c108BFloat16EEEZNS1_21segmented_reduce_implIS3_PKS6_PS6_PKlS6_N6hipcub16HIPCUB_304000_NS6detail27convert_result_type_wrapperISA_SB_N2at6native12_GLOBAL__N_19CustomSumEEEEE10hipError_tPvRmT0_T1_jT2_SS_T4_T3_P12ihipStream_tbEUlT_E_NS1_11comp_targetILNS1_3genE4ELNS1_11target_archE910ELNS1_3gpuE8ELNS1_3repE0EEENS1_30default_config_static_selectorELNS0_4arch9wavefront6targetE1EEEvSR_
		.amdhsa_group_segment_fixed_size 0
		.amdhsa_private_segment_fixed_size 0
		.amdhsa_kernarg_size 48
		.amdhsa_user_sgpr_count 6
		.amdhsa_user_sgpr_private_segment_buffer 1
		.amdhsa_user_sgpr_dispatch_ptr 0
		.amdhsa_user_sgpr_queue_ptr 0
		.amdhsa_user_sgpr_kernarg_segment_ptr 1
		.amdhsa_user_sgpr_dispatch_id 0
		.amdhsa_user_sgpr_flat_scratch_init 0
		.amdhsa_user_sgpr_private_segment_size 0
		.amdhsa_uses_dynamic_stack 0
		.amdhsa_system_sgpr_private_segment_wavefront_offset 0
		.amdhsa_system_sgpr_workgroup_id_x 1
		.amdhsa_system_sgpr_workgroup_id_y 0
		.amdhsa_system_sgpr_workgroup_id_z 0
		.amdhsa_system_sgpr_workgroup_info 0
		.amdhsa_system_vgpr_workitem_id 0
		.amdhsa_next_free_vgpr 1
		.amdhsa_next_free_sgpr 0
		.amdhsa_reserve_vcc 0
		.amdhsa_reserve_flat_scratch 0
		.amdhsa_float_round_mode_32 0
		.amdhsa_float_round_mode_16_64 0
		.amdhsa_float_denorm_mode_32 3
		.amdhsa_float_denorm_mode_16_64 3
		.amdhsa_dx10_clamp 1
		.amdhsa_ieee_mode 1
		.amdhsa_fp16_overflow 0
		.amdhsa_exception_fp_ieee_invalid_op 0
		.amdhsa_exception_fp_denorm_src 0
		.amdhsa_exception_fp_ieee_div_zero 0
		.amdhsa_exception_fp_ieee_overflow 0
		.amdhsa_exception_fp_ieee_underflow 0
		.amdhsa_exception_fp_ieee_inexact 0
		.amdhsa_exception_int_div_zero 0
	.end_amdhsa_kernel
	.section	.text._ZN7rocprim17ROCPRIM_400000_NS6detail17trampoline_kernelINS0_14default_configENS1_32segmented_reduce_config_selectorIN3c108BFloat16EEEZNS1_21segmented_reduce_implIS3_PKS6_PS6_PKlS6_N6hipcub16HIPCUB_304000_NS6detail27convert_result_type_wrapperISA_SB_N2at6native12_GLOBAL__N_19CustomSumEEEEE10hipError_tPvRmT0_T1_jT2_SS_T4_T3_P12ihipStream_tbEUlT_E_NS1_11comp_targetILNS1_3genE4ELNS1_11target_archE910ELNS1_3gpuE8ELNS1_3repE0EEENS1_30default_config_static_selectorELNS0_4arch9wavefront6targetE1EEEvSR_,"axG",@progbits,_ZN7rocprim17ROCPRIM_400000_NS6detail17trampoline_kernelINS0_14default_configENS1_32segmented_reduce_config_selectorIN3c108BFloat16EEEZNS1_21segmented_reduce_implIS3_PKS6_PS6_PKlS6_N6hipcub16HIPCUB_304000_NS6detail27convert_result_type_wrapperISA_SB_N2at6native12_GLOBAL__N_19CustomSumEEEEE10hipError_tPvRmT0_T1_jT2_SS_T4_T3_P12ihipStream_tbEUlT_E_NS1_11comp_targetILNS1_3genE4ELNS1_11target_archE910ELNS1_3gpuE8ELNS1_3repE0EEENS1_30default_config_static_selectorELNS0_4arch9wavefront6targetE1EEEvSR_,comdat
.Lfunc_end258:
	.size	_ZN7rocprim17ROCPRIM_400000_NS6detail17trampoline_kernelINS0_14default_configENS1_32segmented_reduce_config_selectorIN3c108BFloat16EEEZNS1_21segmented_reduce_implIS3_PKS6_PS6_PKlS6_N6hipcub16HIPCUB_304000_NS6detail27convert_result_type_wrapperISA_SB_N2at6native12_GLOBAL__N_19CustomSumEEEEE10hipError_tPvRmT0_T1_jT2_SS_T4_T3_P12ihipStream_tbEUlT_E_NS1_11comp_targetILNS1_3genE4ELNS1_11target_archE910ELNS1_3gpuE8ELNS1_3repE0EEENS1_30default_config_static_selectorELNS0_4arch9wavefront6targetE1EEEvSR_, .Lfunc_end258-_ZN7rocprim17ROCPRIM_400000_NS6detail17trampoline_kernelINS0_14default_configENS1_32segmented_reduce_config_selectorIN3c108BFloat16EEEZNS1_21segmented_reduce_implIS3_PKS6_PS6_PKlS6_N6hipcub16HIPCUB_304000_NS6detail27convert_result_type_wrapperISA_SB_N2at6native12_GLOBAL__N_19CustomSumEEEEE10hipError_tPvRmT0_T1_jT2_SS_T4_T3_P12ihipStream_tbEUlT_E_NS1_11comp_targetILNS1_3genE4ELNS1_11target_archE910ELNS1_3gpuE8ELNS1_3repE0EEENS1_30default_config_static_selectorELNS0_4arch9wavefront6targetE1EEEvSR_
                                        ; -- End function
	.set _ZN7rocprim17ROCPRIM_400000_NS6detail17trampoline_kernelINS0_14default_configENS1_32segmented_reduce_config_selectorIN3c108BFloat16EEEZNS1_21segmented_reduce_implIS3_PKS6_PS6_PKlS6_N6hipcub16HIPCUB_304000_NS6detail27convert_result_type_wrapperISA_SB_N2at6native12_GLOBAL__N_19CustomSumEEEEE10hipError_tPvRmT0_T1_jT2_SS_T4_T3_P12ihipStream_tbEUlT_E_NS1_11comp_targetILNS1_3genE4ELNS1_11target_archE910ELNS1_3gpuE8ELNS1_3repE0EEENS1_30default_config_static_selectorELNS0_4arch9wavefront6targetE1EEEvSR_.num_vgpr, 0
	.set _ZN7rocprim17ROCPRIM_400000_NS6detail17trampoline_kernelINS0_14default_configENS1_32segmented_reduce_config_selectorIN3c108BFloat16EEEZNS1_21segmented_reduce_implIS3_PKS6_PS6_PKlS6_N6hipcub16HIPCUB_304000_NS6detail27convert_result_type_wrapperISA_SB_N2at6native12_GLOBAL__N_19CustomSumEEEEE10hipError_tPvRmT0_T1_jT2_SS_T4_T3_P12ihipStream_tbEUlT_E_NS1_11comp_targetILNS1_3genE4ELNS1_11target_archE910ELNS1_3gpuE8ELNS1_3repE0EEENS1_30default_config_static_selectorELNS0_4arch9wavefront6targetE1EEEvSR_.num_agpr, 0
	.set _ZN7rocprim17ROCPRIM_400000_NS6detail17trampoline_kernelINS0_14default_configENS1_32segmented_reduce_config_selectorIN3c108BFloat16EEEZNS1_21segmented_reduce_implIS3_PKS6_PS6_PKlS6_N6hipcub16HIPCUB_304000_NS6detail27convert_result_type_wrapperISA_SB_N2at6native12_GLOBAL__N_19CustomSumEEEEE10hipError_tPvRmT0_T1_jT2_SS_T4_T3_P12ihipStream_tbEUlT_E_NS1_11comp_targetILNS1_3genE4ELNS1_11target_archE910ELNS1_3gpuE8ELNS1_3repE0EEENS1_30default_config_static_selectorELNS0_4arch9wavefront6targetE1EEEvSR_.numbered_sgpr, 0
	.set _ZN7rocprim17ROCPRIM_400000_NS6detail17trampoline_kernelINS0_14default_configENS1_32segmented_reduce_config_selectorIN3c108BFloat16EEEZNS1_21segmented_reduce_implIS3_PKS6_PS6_PKlS6_N6hipcub16HIPCUB_304000_NS6detail27convert_result_type_wrapperISA_SB_N2at6native12_GLOBAL__N_19CustomSumEEEEE10hipError_tPvRmT0_T1_jT2_SS_T4_T3_P12ihipStream_tbEUlT_E_NS1_11comp_targetILNS1_3genE4ELNS1_11target_archE910ELNS1_3gpuE8ELNS1_3repE0EEENS1_30default_config_static_selectorELNS0_4arch9wavefront6targetE1EEEvSR_.num_named_barrier, 0
	.set _ZN7rocprim17ROCPRIM_400000_NS6detail17trampoline_kernelINS0_14default_configENS1_32segmented_reduce_config_selectorIN3c108BFloat16EEEZNS1_21segmented_reduce_implIS3_PKS6_PS6_PKlS6_N6hipcub16HIPCUB_304000_NS6detail27convert_result_type_wrapperISA_SB_N2at6native12_GLOBAL__N_19CustomSumEEEEE10hipError_tPvRmT0_T1_jT2_SS_T4_T3_P12ihipStream_tbEUlT_E_NS1_11comp_targetILNS1_3genE4ELNS1_11target_archE910ELNS1_3gpuE8ELNS1_3repE0EEENS1_30default_config_static_selectorELNS0_4arch9wavefront6targetE1EEEvSR_.private_seg_size, 0
	.set _ZN7rocprim17ROCPRIM_400000_NS6detail17trampoline_kernelINS0_14default_configENS1_32segmented_reduce_config_selectorIN3c108BFloat16EEEZNS1_21segmented_reduce_implIS3_PKS6_PS6_PKlS6_N6hipcub16HIPCUB_304000_NS6detail27convert_result_type_wrapperISA_SB_N2at6native12_GLOBAL__N_19CustomSumEEEEE10hipError_tPvRmT0_T1_jT2_SS_T4_T3_P12ihipStream_tbEUlT_E_NS1_11comp_targetILNS1_3genE4ELNS1_11target_archE910ELNS1_3gpuE8ELNS1_3repE0EEENS1_30default_config_static_selectorELNS0_4arch9wavefront6targetE1EEEvSR_.uses_vcc, 0
	.set _ZN7rocprim17ROCPRIM_400000_NS6detail17trampoline_kernelINS0_14default_configENS1_32segmented_reduce_config_selectorIN3c108BFloat16EEEZNS1_21segmented_reduce_implIS3_PKS6_PS6_PKlS6_N6hipcub16HIPCUB_304000_NS6detail27convert_result_type_wrapperISA_SB_N2at6native12_GLOBAL__N_19CustomSumEEEEE10hipError_tPvRmT0_T1_jT2_SS_T4_T3_P12ihipStream_tbEUlT_E_NS1_11comp_targetILNS1_3genE4ELNS1_11target_archE910ELNS1_3gpuE8ELNS1_3repE0EEENS1_30default_config_static_selectorELNS0_4arch9wavefront6targetE1EEEvSR_.uses_flat_scratch, 0
	.set _ZN7rocprim17ROCPRIM_400000_NS6detail17trampoline_kernelINS0_14default_configENS1_32segmented_reduce_config_selectorIN3c108BFloat16EEEZNS1_21segmented_reduce_implIS3_PKS6_PS6_PKlS6_N6hipcub16HIPCUB_304000_NS6detail27convert_result_type_wrapperISA_SB_N2at6native12_GLOBAL__N_19CustomSumEEEEE10hipError_tPvRmT0_T1_jT2_SS_T4_T3_P12ihipStream_tbEUlT_E_NS1_11comp_targetILNS1_3genE4ELNS1_11target_archE910ELNS1_3gpuE8ELNS1_3repE0EEENS1_30default_config_static_selectorELNS0_4arch9wavefront6targetE1EEEvSR_.has_dyn_sized_stack, 0
	.set _ZN7rocprim17ROCPRIM_400000_NS6detail17trampoline_kernelINS0_14default_configENS1_32segmented_reduce_config_selectorIN3c108BFloat16EEEZNS1_21segmented_reduce_implIS3_PKS6_PS6_PKlS6_N6hipcub16HIPCUB_304000_NS6detail27convert_result_type_wrapperISA_SB_N2at6native12_GLOBAL__N_19CustomSumEEEEE10hipError_tPvRmT0_T1_jT2_SS_T4_T3_P12ihipStream_tbEUlT_E_NS1_11comp_targetILNS1_3genE4ELNS1_11target_archE910ELNS1_3gpuE8ELNS1_3repE0EEENS1_30default_config_static_selectorELNS0_4arch9wavefront6targetE1EEEvSR_.has_recursion, 0
	.set _ZN7rocprim17ROCPRIM_400000_NS6detail17trampoline_kernelINS0_14default_configENS1_32segmented_reduce_config_selectorIN3c108BFloat16EEEZNS1_21segmented_reduce_implIS3_PKS6_PS6_PKlS6_N6hipcub16HIPCUB_304000_NS6detail27convert_result_type_wrapperISA_SB_N2at6native12_GLOBAL__N_19CustomSumEEEEE10hipError_tPvRmT0_T1_jT2_SS_T4_T3_P12ihipStream_tbEUlT_E_NS1_11comp_targetILNS1_3genE4ELNS1_11target_archE910ELNS1_3gpuE8ELNS1_3repE0EEENS1_30default_config_static_selectorELNS0_4arch9wavefront6targetE1EEEvSR_.has_indirect_call, 0
	.section	.AMDGPU.csdata,"",@progbits
; Kernel info:
; codeLenInByte = 0
; TotalNumSgprs: 4
; NumVgprs: 0
; ScratchSize: 0
; MemoryBound: 0
; FloatMode: 240
; IeeeMode: 1
; LDSByteSize: 0 bytes/workgroup (compile time only)
; SGPRBlocks: 0
; VGPRBlocks: 0
; NumSGPRsForWavesPerEU: 4
; NumVGPRsForWavesPerEU: 1
; Occupancy: 10
; WaveLimiterHint : 0
; COMPUTE_PGM_RSRC2:SCRATCH_EN: 0
; COMPUTE_PGM_RSRC2:USER_SGPR: 6
; COMPUTE_PGM_RSRC2:TRAP_HANDLER: 0
; COMPUTE_PGM_RSRC2:TGID_X_EN: 1
; COMPUTE_PGM_RSRC2:TGID_Y_EN: 0
; COMPUTE_PGM_RSRC2:TGID_Z_EN: 0
; COMPUTE_PGM_RSRC2:TIDIG_COMP_CNT: 0
	.section	.text._ZN7rocprim17ROCPRIM_400000_NS6detail17trampoline_kernelINS0_14default_configENS1_32segmented_reduce_config_selectorIN3c108BFloat16EEEZNS1_21segmented_reduce_implIS3_PKS6_PS6_PKlS6_N6hipcub16HIPCUB_304000_NS6detail27convert_result_type_wrapperISA_SB_N2at6native12_GLOBAL__N_19CustomSumEEEEE10hipError_tPvRmT0_T1_jT2_SS_T4_T3_P12ihipStream_tbEUlT_E_NS1_11comp_targetILNS1_3genE3ELNS1_11target_archE908ELNS1_3gpuE7ELNS1_3repE0EEENS1_30default_config_static_selectorELNS0_4arch9wavefront6targetE1EEEvSR_,"axG",@progbits,_ZN7rocprim17ROCPRIM_400000_NS6detail17trampoline_kernelINS0_14default_configENS1_32segmented_reduce_config_selectorIN3c108BFloat16EEEZNS1_21segmented_reduce_implIS3_PKS6_PS6_PKlS6_N6hipcub16HIPCUB_304000_NS6detail27convert_result_type_wrapperISA_SB_N2at6native12_GLOBAL__N_19CustomSumEEEEE10hipError_tPvRmT0_T1_jT2_SS_T4_T3_P12ihipStream_tbEUlT_E_NS1_11comp_targetILNS1_3genE3ELNS1_11target_archE908ELNS1_3gpuE7ELNS1_3repE0EEENS1_30default_config_static_selectorELNS0_4arch9wavefront6targetE1EEEvSR_,comdat
	.globl	_ZN7rocprim17ROCPRIM_400000_NS6detail17trampoline_kernelINS0_14default_configENS1_32segmented_reduce_config_selectorIN3c108BFloat16EEEZNS1_21segmented_reduce_implIS3_PKS6_PS6_PKlS6_N6hipcub16HIPCUB_304000_NS6detail27convert_result_type_wrapperISA_SB_N2at6native12_GLOBAL__N_19CustomSumEEEEE10hipError_tPvRmT0_T1_jT2_SS_T4_T3_P12ihipStream_tbEUlT_E_NS1_11comp_targetILNS1_3genE3ELNS1_11target_archE908ELNS1_3gpuE7ELNS1_3repE0EEENS1_30default_config_static_selectorELNS0_4arch9wavefront6targetE1EEEvSR_ ; -- Begin function _ZN7rocprim17ROCPRIM_400000_NS6detail17trampoline_kernelINS0_14default_configENS1_32segmented_reduce_config_selectorIN3c108BFloat16EEEZNS1_21segmented_reduce_implIS3_PKS6_PS6_PKlS6_N6hipcub16HIPCUB_304000_NS6detail27convert_result_type_wrapperISA_SB_N2at6native12_GLOBAL__N_19CustomSumEEEEE10hipError_tPvRmT0_T1_jT2_SS_T4_T3_P12ihipStream_tbEUlT_E_NS1_11comp_targetILNS1_3genE3ELNS1_11target_archE908ELNS1_3gpuE7ELNS1_3repE0EEENS1_30default_config_static_selectorELNS0_4arch9wavefront6targetE1EEEvSR_
	.p2align	8
	.type	_ZN7rocprim17ROCPRIM_400000_NS6detail17trampoline_kernelINS0_14default_configENS1_32segmented_reduce_config_selectorIN3c108BFloat16EEEZNS1_21segmented_reduce_implIS3_PKS6_PS6_PKlS6_N6hipcub16HIPCUB_304000_NS6detail27convert_result_type_wrapperISA_SB_N2at6native12_GLOBAL__N_19CustomSumEEEEE10hipError_tPvRmT0_T1_jT2_SS_T4_T3_P12ihipStream_tbEUlT_E_NS1_11comp_targetILNS1_3genE3ELNS1_11target_archE908ELNS1_3gpuE7ELNS1_3repE0EEENS1_30default_config_static_selectorELNS0_4arch9wavefront6targetE1EEEvSR_,@function
_ZN7rocprim17ROCPRIM_400000_NS6detail17trampoline_kernelINS0_14default_configENS1_32segmented_reduce_config_selectorIN3c108BFloat16EEEZNS1_21segmented_reduce_implIS3_PKS6_PS6_PKlS6_N6hipcub16HIPCUB_304000_NS6detail27convert_result_type_wrapperISA_SB_N2at6native12_GLOBAL__N_19CustomSumEEEEE10hipError_tPvRmT0_T1_jT2_SS_T4_T3_P12ihipStream_tbEUlT_E_NS1_11comp_targetILNS1_3genE3ELNS1_11target_archE908ELNS1_3gpuE7ELNS1_3repE0EEENS1_30default_config_static_selectorELNS0_4arch9wavefront6targetE1EEEvSR_: ; @_ZN7rocprim17ROCPRIM_400000_NS6detail17trampoline_kernelINS0_14default_configENS1_32segmented_reduce_config_selectorIN3c108BFloat16EEEZNS1_21segmented_reduce_implIS3_PKS6_PS6_PKlS6_N6hipcub16HIPCUB_304000_NS6detail27convert_result_type_wrapperISA_SB_N2at6native12_GLOBAL__N_19CustomSumEEEEE10hipError_tPvRmT0_T1_jT2_SS_T4_T3_P12ihipStream_tbEUlT_E_NS1_11comp_targetILNS1_3genE3ELNS1_11target_archE908ELNS1_3gpuE7ELNS1_3repE0EEENS1_30default_config_static_selectorELNS0_4arch9wavefront6targetE1EEEvSR_
; %bb.0:
	.section	.rodata,"a",@progbits
	.p2align	6, 0x0
	.amdhsa_kernel _ZN7rocprim17ROCPRIM_400000_NS6detail17trampoline_kernelINS0_14default_configENS1_32segmented_reduce_config_selectorIN3c108BFloat16EEEZNS1_21segmented_reduce_implIS3_PKS6_PS6_PKlS6_N6hipcub16HIPCUB_304000_NS6detail27convert_result_type_wrapperISA_SB_N2at6native12_GLOBAL__N_19CustomSumEEEEE10hipError_tPvRmT0_T1_jT2_SS_T4_T3_P12ihipStream_tbEUlT_E_NS1_11comp_targetILNS1_3genE3ELNS1_11target_archE908ELNS1_3gpuE7ELNS1_3repE0EEENS1_30default_config_static_selectorELNS0_4arch9wavefront6targetE1EEEvSR_
		.amdhsa_group_segment_fixed_size 0
		.amdhsa_private_segment_fixed_size 0
		.amdhsa_kernarg_size 48
		.amdhsa_user_sgpr_count 6
		.amdhsa_user_sgpr_private_segment_buffer 1
		.amdhsa_user_sgpr_dispatch_ptr 0
		.amdhsa_user_sgpr_queue_ptr 0
		.amdhsa_user_sgpr_kernarg_segment_ptr 1
		.amdhsa_user_sgpr_dispatch_id 0
		.amdhsa_user_sgpr_flat_scratch_init 0
		.amdhsa_user_sgpr_private_segment_size 0
		.amdhsa_uses_dynamic_stack 0
		.amdhsa_system_sgpr_private_segment_wavefront_offset 0
		.amdhsa_system_sgpr_workgroup_id_x 1
		.amdhsa_system_sgpr_workgroup_id_y 0
		.amdhsa_system_sgpr_workgroup_id_z 0
		.amdhsa_system_sgpr_workgroup_info 0
		.amdhsa_system_vgpr_workitem_id 0
		.amdhsa_next_free_vgpr 1
		.amdhsa_next_free_sgpr 0
		.amdhsa_reserve_vcc 0
		.amdhsa_reserve_flat_scratch 0
		.amdhsa_float_round_mode_32 0
		.amdhsa_float_round_mode_16_64 0
		.amdhsa_float_denorm_mode_32 3
		.amdhsa_float_denorm_mode_16_64 3
		.amdhsa_dx10_clamp 1
		.amdhsa_ieee_mode 1
		.amdhsa_fp16_overflow 0
		.amdhsa_exception_fp_ieee_invalid_op 0
		.amdhsa_exception_fp_denorm_src 0
		.amdhsa_exception_fp_ieee_div_zero 0
		.amdhsa_exception_fp_ieee_overflow 0
		.amdhsa_exception_fp_ieee_underflow 0
		.amdhsa_exception_fp_ieee_inexact 0
		.amdhsa_exception_int_div_zero 0
	.end_amdhsa_kernel
	.section	.text._ZN7rocprim17ROCPRIM_400000_NS6detail17trampoline_kernelINS0_14default_configENS1_32segmented_reduce_config_selectorIN3c108BFloat16EEEZNS1_21segmented_reduce_implIS3_PKS6_PS6_PKlS6_N6hipcub16HIPCUB_304000_NS6detail27convert_result_type_wrapperISA_SB_N2at6native12_GLOBAL__N_19CustomSumEEEEE10hipError_tPvRmT0_T1_jT2_SS_T4_T3_P12ihipStream_tbEUlT_E_NS1_11comp_targetILNS1_3genE3ELNS1_11target_archE908ELNS1_3gpuE7ELNS1_3repE0EEENS1_30default_config_static_selectorELNS0_4arch9wavefront6targetE1EEEvSR_,"axG",@progbits,_ZN7rocprim17ROCPRIM_400000_NS6detail17trampoline_kernelINS0_14default_configENS1_32segmented_reduce_config_selectorIN3c108BFloat16EEEZNS1_21segmented_reduce_implIS3_PKS6_PS6_PKlS6_N6hipcub16HIPCUB_304000_NS6detail27convert_result_type_wrapperISA_SB_N2at6native12_GLOBAL__N_19CustomSumEEEEE10hipError_tPvRmT0_T1_jT2_SS_T4_T3_P12ihipStream_tbEUlT_E_NS1_11comp_targetILNS1_3genE3ELNS1_11target_archE908ELNS1_3gpuE7ELNS1_3repE0EEENS1_30default_config_static_selectorELNS0_4arch9wavefront6targetE1EEEvSR_,comdat
.Lfunc_end259:
	.size	_ZN7rocprim17ROCPRIM_400000_NS6detail17trampoline_kernelINS0_14default_configENS1_32segmented_reduce_config_selectorIN3c108BFloat16EEEZNS1_21segmented_reduce_implIS3_PKS6_PS6_PKlS6_N6hipcub16HIPCUB_304000_NS6detail27convert_result_type_wrapperISA_SB_N2at6native12_GLOBAL__N_19CustomSumEEEEE10hipError_tPvRmT0_T1_jT2_SS_T4_T3_P12ihipStream_tbEUlT_E_NS1_11comp_targetILNS1_3genE3ELNS1_11target_archE908ELNS1_3gpuE7ELNS1_3repE0EEENS1_30default_config_static_selectorELNS0_4arch9wavefront6targetE1EEEvSR_, .Lfunc_end259-_ZN7rocprim17ROCPRIM_400000_NS6detail17trampoline_kernelINS0_14default_configENS1_32segmented_reduce_config_selectorIN3c108BFloat16EEEZNS1_21segmented_reduce_implIS3_PKS6_PS6_PKlS6_N6hipcub16HIPCUB_304000_NS6detail27convert_result_type_wrapperISA_SB_N2at6native12_GLOBAL__N_19CustomSumEEEEE10hipError_tPvRmT0_T1_jT2_SS_T4_T3_P12ihipStream_tbEUlT_E_NS1_11comp_targetILNS1_3genE3ELNS1_11target_archE908ELNS1_3gpuE7ELNS1_3repE0EEENS1_30default_config_static_selectorELNS0_4arch9wavefront6targetE1EEEvSR_
                                        ; -- End function
	.set _ZN7rocprim17ROCPRIM_400000_NS6detail17trampoline_kernelINS0_14default_configENS1_32segmented_reduce_config_selectorIN3c108BFloat16EEEZNS1_21segmented_reduce_implIS3_PKS6_PS6_PKlS6_N6hipcub16HIPCUB_304000_NS6detail27convert_result_type_wrapperISA_SB_N2at6native12_GLOBAL__N_19CustomSumEEEEE10hipError_tPvRmT0_T1_jT2_SS_T4_T3_P12ihipStream_tbEUlT_E_NS1_11comp_targetILNS1_3genE3ELNS1_11target_archE908ELNS1_3gpuE7ELNS1_3repE0EEENS1_30default_config_static_selectorELNS0_4arch9wavefront6targetE1EEEvSR_.num_vgpr, 0
	.set _ZN7rocprim17ROCPRIM_400000_NS6detail17trampoline_kernelINS0_14default_configENS1_32segmented_reduce_config_selectorIN3c108BFloat16EEEZNS1_21segmented_reduce_implIS3_PKS6_PS6_PKlS6_N6hipcub16HIPCUB_304000_NS6detail27convert_result_type_wrapperISA_SB_N2at6native12_GLOBAL__N_19CustomSumEEEEE10hipError_tPvRmT0_T1_jT2_SS_T4_T3_P12ihipStream_tbEUlT_E_NS1_11comp_targetILNS1_3genE3ELNS1_11target_archE908ELNS1_3gpuE7ELNS1_3repE0EEENS1_30default_config_static_selectorELNS0_4arch9wavefront6targetE1EEEvSR_.num_agpr, 0
	.set _ZN7rocprim17ROCPRIM_400000_NS6detail17trampoline_kernelINS0_14default_configENS1_32segmented_reduce_config_selectorIN3c108BFloat16EEEZNS1_21segmented_reduce_implIS3_PKS6_PS6_PKlS6_N6hipcub16HIPCUB_304000_NS6detail27convert_result_type_wrapperISA_SB_N2at6native12_GLOBAL__N_19CustomSumEEEEE10hipError_tPvRmT0_T1_jT2_SS_T4_T3_P12ihipStream_tbEUlT_E_NS1_11comp_targetILNS1_3genE3ELNS1_11target_archE908ELNS1_3gpuE7ELNS1_3repE0EEENS1_30default_config_static_selectorELNS0_4arch9wavefront6targetE1EEEvSR_.numbered_sgpr, 0
	.set _ZN7rocprim17ROCPRIM_400000_NS6detail17trampoline_kernelINS0_14default_configENS1_32segmented_reduce_config_selectorIN3c108BFloat16EEEZNS1_21segmented_reduce_implIS3_PKS6_PS6_PKlS6_N6hipcub16HIPCUB_304000_NS6detail27convert_result_type_wrapperISA_SB_N2at6native12_GLOBAL__N_19CustomSumEEEEE10hipError_tPvRmT0_T1_jT2_SS_T4_T3_P12ihipStream_tbEUlT_E_NS1_11comp_targetILNS1_3genE3ELNS1_11target_archE908ELNS1_3gpuE7ELNS1_3repE0EEENS1_30default_config_static_selectorELNS0_4arch9wavefront6targetE1EEEvSR_.num_named_barrier, 0
	.set _ZN7rocprim17ROCPRIM_400000_NS6detail17trampoline_kernelINS0_14default_configENS1_32segmented_reduce_config_selectorIN3c108BFloat16EEEZNS1_21segmented_reduce_implIS3_PKS6_PS6_PKlS6_N6hipcub16HIPCUB_304000_NS6detail27convert_result_type_wrapperISA_SB_N2at6native12_GLOBAL__N_19CustomSumEEEEE10hipError_tPvRmT0_T1_jT2_SS_T4_T3_P12ihipStream_tbEUlT_E_NS1_11comp_targetILNS1_3genE3ELNS1_11target_archE908ELNS1_3gpuE7ELNS1_3repE0EEENS1_30default_config_static_selectorELNS0_4arch9wavefront6targetE1EEEvSR_.private_seg_size, 0
	.set _ZN7rocprim17ROCPRIM_400000_NS6detail17trampoline_kernelINS0_14default_configENS1_32segmented_reduce_config_selectorIN3c108BFloat16EEEZNS1_21segmented_reduce_implIS3_PKS6_PS6_PKlS6_N6hipcub16HIPCUB_304000_NS6detail27convert_result_type_wrapperISA_SB_N2at6native12_GLOBAL__N_19CustomSumEEEEE10hipError_tPvRmT0_T1_jT2_SS_T4_T3_P12ihipStream_tbEUlT_E_NS1_11comp_targetILNS1_3genE3ELNS1_11target_archE908ELNS1_3gpuE7ELNS1_3repE0EEENS1_30default_config_static_selectorELNS0_4arch9wavefront6targetE1EEEvSR_.uses_vcc, 0
	.set _ZN7rocprim17ROCPRIM_400000_NS6detail17trampoline_kernelINS0_14default_configENS1_32segmented_reduce_config_selectorIN3c108BFloat16EEEZNS1_21segmented_reduce_implIS3_PKS6_PS6_PKlS6_N6hipcub16HIPCUB_304000_NS6detail27convert_result_type_wrapperISA_SB_N2at6native12_GLOBAL__N_19CustomSumEEEEE10hipError_tPvRmT0_T1_jT2_SS_T4_T3_P12ihipStream_tbEUlT_E_NS1_11comp_targetILNS1_3genE3ELNS1_11target_archE908ELNS1_3gpuE7ELNS1_3repE0EEENS1_30default_config_static_selectorELNS0_4arch9wavefront6targetE1EEEvSR_.uses_flat_scratch, 0
	.set _ZN7rocprim17ROCPRIM_400000_NS6detail17trampoline_kernelINS0_14default_configENS1_32segmented_reduce_config_selectorIN3c108BFloat16EEEZNS1_21segmented_reduce_implIS3_PKS6_PS6_PKlS6_N6hipcub16HIPCUB_304000_NS6detail27convert_result_type_wrapperISA_SB_N2at6native12_GLOBAL__N_19CustomSumEEEEE10hipError_tPvRmT0_T1_jT2_SS_T4_T3_P12ihipStream_tbEUlT_E_NS1_11comp_targetILNS1_3genE3ELNS1_11target_archE908ELNS1_3gpuE7ELNS1_3repE0EEENS1_30default_config_static_selectorELNS0_4arch9wavefront6targetE1EEEvSR_.has_dyn_sized_stack, 0
	.set _ZN7rocprim17ROCPRIM_400000_NS6detail17trampoline_kernelINS0_14default_configENS1_32segmented_reduce_config_selectorIN3c108BFloat16EEEZNS1_21segmented_reduce_implIS3_PKS6_PS6_PKlS6_N6hipcub16HIPCUB_304000_NS6detail27convert_result_type_wrapperISA_SB_N2at6native12_GLOBAL__N_19CustomSumEEEEE10hipError_tPvRmT0_T1_jT2_SS_T4_T3_P12ihipStream_tbEUlT_E_NS1_11comp_targetILNS1_3genE3ELNS1_11target_archE908ELNS1_3gpuE7ELNS1_3repE0EEENS1_30default_config_static_selectorELNS0_4arch9wavefront6targetE1EEEvSR_.has_recursion, 0
	.set _ZN7rocprim17ROCPRIM_400000_NS6detail17trampoline_kernelINS0_14default_configENS1_32segmented_reduce_config_selectorIN3c108BFloat16EEEZNS1_21segmented_reduce_implIS3_PKS6_PS6_PKlS6_N6hipcub16HIPCUB_304000_NS6detail27convert_result_type_wrapperISA_SB_N2at6native12_GLOBAL__N_19CustomSumEEEEE10hipError_tPvRmT0_T1_jT2_SS_T4_T3_P12ihipStream_tbEUlT_E_NS1_11comp_targetILNS1_3genE3ELNS1_11target_archE908ELNS1_3gpuE7ELNS1_3repE0EEENS1_30default_config_static_selectorELNS0_4arch9wavefront6targetE1EEEvSR_.has_indirect_call, 0
	.section	.AMDGPU.csdata,"",@progbits
; Kernel info:
; codeLenInByte = 0
; TotalNumSgprs: 4
; NumVgprs: 0
; ScratchSize: 0
; MemoryBound: 0
; FloatMode: 240
; IeeeMode: 1
; LDSByteSize: 0 bytes/workgroup (compile time only)
; SGPRBlocks: 0
; VGPRBlocks: 0
; NumSGPRsForWavesPerEU: 4
; NumVGPRsForWavesPerEU: 1
; Occupancy: 10
; WaveLimiterHint : 0
; COMPUTE_PGM_RSRC2:SCRATCH_EN: 0
; COMPUTE_PGM_RSRC2:USER_SGPR: 6
; COMPUTE_PGM_RSRC2:TRAP_HANDLER: 0
; COMPUTE_PGM_RSRC2:TGID_X_EN: 1
; COMPUTE_PGM_RSRC2:TGID_Y_EN: 0
; COMPUTE_PGM_RSRC2:TGID_Z_EN: 0
; COMPUTE_PGM_RSRC2:TIDIG_COMP_CNT: 0
	.section	.text._ZN7rocprim17ROCPRIM_400000_NS6detail17trampoline_kernelINS0_14default_configENS1_32segmented_reduce_config_selectorIN3c108BFloat16EEEZNS1_21segmented_reduce_implIS3_PKS6_PS6_PKlS6_N6hipcub16HIPCUB_304000_NS6detail27convert_result_type_wrapperISA_SB_N2at6native12_GLOBAL__N_19CustomSumEEEEE10hipError_tPvRmT0_T1_jT2_SS_T4_T3_P12ihipStream_tbEUlT_E_NS1_11comp_targetILNS1_3genE2ELNS1_11target_archE906ELNS1_3gpuE6ELNS1_3repE0EEENS1_30default_config_static_selectorELNS0_4arch9wavefront6targetE1EEEvSR_,"axG",@progbits,_ZN7rocprim17ROCPRIM_400000_NS6detail17trampoline_kernelINS0_14default_configENS1_32segmented_reduce_config_selectorIN3c108BFloat16EEEZNS1_21segmented_reduce_implIS3_PKS6_PS6_PKlS6_N6hipcub16HIPCUB_304000_NS6detail27convert_result_type_wrapperISA_SB_N2at6native12_GLOBAL__N_19CustomSumEEEEE10hipError_tPvRmT0_T1_jT2_SS_T4_T3_P12ihipStream_tbEUlT_E_NS1_11comp_targetILNS1_3genE2ELNS1_11target_archE906ELNS1_3gpuE6ELNS1_3repE0EEENS1_30default_config_static_selectorELNS0_4arch9wavefront6targetE1EEEvSR_,comdat
	.globl	_ZN7rocprim17ROCPRIM_400000_NS6detail17trampoline_kernelINS0_14default_configENS1_32segmented_reduce_config_selectorIN3c108BFloat16EEEZNS1_21segmented_reduce_implIS3_PKS6_PS6_PKlS6_N6hipcub16HIPCUB_304000_NS6detail27convert_result_type_wrapperISA_SB_N2at6native12_GLOBAL__N_19CustomSumEEEEE10hipError_tPvRmT0_T1_jT2_SS_T4_T3_P12ihipStream_tbEUlT_E_NS1_11comp_targetILNS1_3genE2ELNS1_11target_archE906ELNS1_3gpuE6ELNS1_3repE0EEENS1_30default_config_static_selectorELNS0_4arch9wavefront6targetE1EEEvSR_ ; -- Begin function _ZN7rocprim17ROCPRIM_400000_NS6detail17trampoline_kernelINS0_14default_configENS1_32segmented_reduce_config_selectorIN3c108BFloat16EEEZNS1_21segmented_reduce_implIS3_PKS6_PS6_PKlS6_N6hipcub16HIPCUB_304000_NS6detail27convert_result_type_wrapperISA_SB_N2at6native12_GLOBAL__N_19CustomSumEEEEE10hipError_tPvRmT0_T1_jT2_SS_T4_T3_P12ihipStream_tbEUlT_E_NS1_11comp_targetILNS1_3genE2ELNS1_11target_archE906ELNS1_3gpuE6ELNS1_3repE0EEENS1_30default_config_static_selectorELNS0_4arch9wavefront6targetE1EEEvSR_
	.p2align	8
	.type	_ZN7rocprim17ROCPRIM_400000_NS6detail17trampoline_kernelINS0_14default_configENS1_32segmented_reduce_config_selectorIN3c108BFloat16EEEZNS1_21segmented_reduce_implIS3_PKS6_PS6_PKlS6_N6hipcub16HIPCUB_304000_NS6detail27convert_result_type_wrapperISA_SB_N2at6native12_GLOBAL__N_19CustomSumEEEEE10hipError_tPvRmT0_T1_jT2_SS_T4_T3_P12ihipStream_tbEUlT_E_NS1_11comp_targetILNS1_3genE2ELNS1_11target_archE906ELNS1_3gpuE6ELNS1_3repE0EEENS1_30default_config_static_selectorELNS0_4arch9wavefront6targetE1EEEvSR_,@function
_ZN7rocprim17ROCPRIM_400000_NS6detail17trampoline_kernelINS0_14default_configENS1_32segmented_reduce_config_selectorIN3c108BFloat16EEEZNS1_21segmented_reduce_implIS3_PKS6_PS6_PKlS6_N6hipcub16HIPCUB_304000_NS6detail27convert_result_type_wrapperISA_SB_N2at6native12_GLOBAL__N_19CustomSumEEEEE10hipError_tPvRmT0_T1_jT2_SS_T4_T3_P12ihipStream_tbEUlT_E_NS1_11comp_targetILNS1_3genE2ELNS1_11target_archE906ELNS1_3gpuE6ELNS1_3repE0EEENS1_30default_config_static_selectorELNS0_4arch9wavefront6targetE1EEEvSR_: ; @_ZN7rocprim17ROCPRIM_400000_NS6detail17trampoline_kernelINS0_14default_configENS1_32segmented_reduce_config_selectorIN3c108BFloat16EEEZNS1_21segmented_reduce_implIS3_PKS6_PS6_PKlS6_N6hipcub16HIPCUB_304000_NS6detail27convert_result_type_wrapperISA_SB_N2at6native12_GLOBAL__N_19CustomSumEEEEE10hipError_tPvRmT0_T1_jT2_SS_T4_T3_P12ihipStream_tbEUlT_E_NS1_11comp_targetILNS1_3genE2ELNS1_11target_archE906ELNS1_3gpuE6ELNS1_3repE0EEENS1_30default_config_static_selectorELNS0_4arch9wavefront6targetE1EEEvSR_
; %bb.0:
	s_load_dword s2, s[4:5], 0x28
	s_load_dwordx8 s[36:43], s[4:5], 0x0
	s_load_dwordx2 s[0:1], s[4:5], 0x20
	s_mov_b32 s7, 0
	s_waitcnt lgkmcnt(0)
	s_lshr_b32 s33, s2, 16
	s_lshl_b64 s[2:3], s[40:41], 3
	s_add_u32 s4, s42, s2
	s_addc_u32 s5, s43, s3
	s_add_u32 s8, s0, s2
	s_addc_u32 s9, s1, s3
	s_lshl_b64 s[0:1], s[6:7], 3
	s_add_u32 s2, s4, s0
	s_addc_u32 s3, s5, s1
	s_load_dwordx2 s[44:45], s[2:3], 0x0
	s_add_u32 s0, s8, s0
	s_addc_u32 s1, s9, s1
	s_load_dwordx2 s[42:43], s[0:1], 0x0
	v_cmp_eq_u32_e64 s[0:1], 0, v0
	s_waitcnt lgkmcnt(0)
	v_mov_b32_e32 v1, s44
	v_mov_b32_e32 v2, s45
	v_cmp_gt_i64_e32 vcc, s[42:43], v[1:2]
	s_cbranch_vccnz .LBB260_3
; %bb.1:
	s_and_b64 s[34:35], s[0:1], exec
	s_cbranch_execz .LBB260_4
; %bb.2:
	v_mov_b32_e32 v1, s33
	s_and_saveexec_b64 s[0:1], s[34:35]
	s_cbranch_execnz .LBB260_115
	s_branch .LBB260_116
.LBB260_3:
	s_mov_b64 s[34:35], 0
.LBB260_4:
	s_add_u32 s2, s44, 0x1000
	v_mov_b32_e32 v1, s42
	s_addc_u32 s3, s45, 0
	v_mov_b32_e32 v2, s43
	v_cmp_le_i64_e32 vcc, s[2:3], v[1:2]
	s_cbranch_vccz .LBB260_61
; %bb.5:
	s_lshl_b64 s[4:5], s[44:45], 1
	s_add_u32 s0, s36, s4
	s_addc_u32 s1, s37, s5
	v_lshlrev_b32_e32 v17, 1, v0
	global_load_ushort v7, v17, s[0:1] offset:512
	global_load_ushort v6, v17, s[0:1] offset:1024
	;; [unrolled: 1-line block ×7, first 2 shown]
	global_load_ushort v9, v17, s[0:1]
	v_mov_b32_e32 v1, s1
	v_add_co_u32_e32 v2, vcc, s0, v17
	s_movk_i32 s8, 0x1000
	v_addc_co_u32_e32 v8, vcc, 0, v1, vcc
	v_add_co_u32_e32 v1, vcc, s8, v2
	v_addc_co_u32_e32 v2, vcc, 0, v8, vcc
	global_load_ushort v11, v[1:2], off
	global_load_ushort v10, v[1:2], off offset:512
	global_load_ushort v8, v[1:2], off offset:1024
	;; [unrolled: 1-line block ×5, first 2 shown]
	v_mov_b32_e32 v18, s42
	s_add_u32 s0, s44, 0x2000
	v_mov_b32_e32 v19, s43
	s_addc_u32 s1, s45, 0
	v_cmp_ge_i64_e32 vcc, s[0:1], v[18:19]
	global_load_ushort v19, v[1:2], off offset:3072
	global_load_ushort v18, v[1:2], off offset:3584
	s_movk_i32 s8, 0x7fff
	v_mov_b32_e32 v20, 0x7fc00000
	s_and_b64 s[0:1], exec, vcc
	v_mov_b32_e32 v22, 0x7fc0
	s_waitcnt vmcnt(15)
	v_lshlrev_b32_e32 v1, 16, v7
	s_waitcnt vmcnt(14)
	v_lshlrev_b32_e32 v21, 16, v6
	;; [unrolled: 2-line block ×4, first 2 shown]
	v_add_f32_e32 v1, v2, v1
	v_bfe_u32 v2, v1, 16, 1
	v_add3_u32 v2, v1, v2, s8
	v_and_b32_e32 v2, 0xffff0000, v2
	v_cmp_o_f32_e32 vcc, v1, v1
	v_cndmask_b32_e32 v2, v20, v2, vcc
	v_add_f32_e32 v2, v2, v21
	v_bfe_u32 v21, v2, 16, 1
	v_add3_u32 v21, v2, v21, s8
	v_and_b32_e32 v21, 0xffff0000, v21
	v_cmp_o_f32_e32 vcc, v2, v2
	v_cndmask_b32_e32 v21, v20, v21, vcc
	v_add_f32_e32 v21, v21, v23
	v_bfe_u32 v23, v21, 16, 1
	v_add3_u32 v23, v21, v23, s8
	v_and_b32_e32 v23, 0xffff0000, v23
	v_cmp_o_f32_e32 vcc, v21, v21
	v_lshlrev_b32_e32 v1, 16, v4
	v_cndmask_b32_e32 v23, v20, v23, vcc
	v_add_f32_e32 v1, v23, v1
	v_bfe_u32 v23, v1, 16, 1
	v_add3_u32 v23, v1, v23, s8
	v_and_b32_e32 v23, 0xffff0000, v23
	v_cmp_o_f32_e32 vcc, v1, v1
	v_lshlrev_b32_e32 v2, 16, v3
	;; [unrolled: 7-line block ×4, first 2 shown]
	v_cndmask_b32_e32 v23, v20, v23, vcc
	v_add_f32_e32 v1, v23, v1
	v_bfe_u32 v23, v1, 16, 1
	v_add3_u32 v23, v1, v23, s8
	v_and_b32_e32 v23, 0xffff0000, v23
	v_cmp_o_f32_e32 vcc, v1, v1
	s_waitcnt vmcnt(7)
	v_lshlrev_b32_e32 v2, 16, v11
	v_cndmask_b32_e32 v23, v20, v23, vcc
	v_add_f32_e32 v2, v23, v2
	v_bfe_u32 v23, v2, 16, 1
	v_add3_u32 v23, v2, v23, s8
	v_and_b32_e32 v23, 0xffff0000, v23
	v_cmp_o_f32_e32 vcc, v2, v2
	s_waitcnt vmcnt(6)
	v_lshlrev_b32_e32 v21, 16, v10
	;; [unrolled: 8-line block ×8, first 2 shown]
	v_cndmask_b32_e32 v1, v20, v2, vcc
	v_add_f32_e32 v1, v1, v21
	v_bfe_u32 v2, v1, 16, 1
	v_cmp_o_f32_e32 vcc, v1, v1
	v_add3_u32 v1, v1, v2, s8
	v_cndmask_b32_sdwa v21, v22, v1, vcc dst_sel:DWORD dst_unused:UNUSED_PAD src0_sel:DWORD src1_sel:WORD_1
	s_mov_b64 vcc, s[0:1]
	s_cbranch_vccnz .LBB260_8
; %bb.6:
	s_add_u32 s0, s36, s4
	s_addc_u32 s1, s37, s5
	v_mov_b32_e32 v1, s1
	v_add_co_u32_e32 v2, vcc, s0, v17
	v_addc_co_u32_e32 v3, vcc, 0, v1, vcc
	v_add_co_u32_e32 v1, vcc, 0x2000, v2
	v_addc_co_u32_e32 v2, vcc, 0, v3, vcc
.LBB260_7:                              ; =>This Inner Loop Header: Depth=1
	global_load_ushort v9, v[1:2], off
	global_load_ushort v7, v[1:2], off offset:512
	global_load_ushort v6, v[1:2], off offset:1024
	;; [unrolled: 1-line block ×7, first 2 shown]
	v_add_co_u32_e32 v23, vcc, 0x1000, v1
	v_addc_co_u32_e32 v24, vcc, 0, v2, vcc
	global_load_ushort v11, v[23:24], off
	global_load_ushort v10, v[23:24], off offset:512
	global_load_ushort v8, v[23:24], off offset:1024
	;; [unrolled: 1-line block ×4, first 2 shown]
	s_mov_b64 s[0:1], s[2:3]
	s_add_u32 s2, s0, 0x1000
	s_addc_u32 s3, s1, 0
	v_mov_b32_e32 v18, s42
	s_add_u32 s0, s0, 0x2000
	v_mov_b32_e32 v19, s43
	s_addc_u32 s1, s1, 0
	v_cmp_lt_i64_e32 vcc, s[0:1], v[18:19]
	global_load_ushort v14, v[23:24], off offset:2560
	global_load_ushort v19, v[23:24], off offset:3072
	;; [unrolled: 1-line block ×3, first 2 shown]
	v_lshlrev_b32_e32 v21, 16, v21
	s_and_b64 s[0:1], exec, vcc
	s_waitcnt vmcnt(15)
	v_lshlrev_b32_e32 v23, 16, v9
	v_add_f32_e32 v21, v21, v23
	v_bfe_u32 v23, v21, 16, 1
	v_add3_u32 v23, v21, v23, s8
	v_and_b32_e32 v23, 0xffff0000, v23
	v_cmp_o_f32_e32 vcc, v21, v21
	s_waitcnt vmcnt(14)
	v_lshlrev_b32_e32 v24, 16, v7
	v_cndmask_b32_e32 v23, v20, v23, vcc
	v_add_f32_e32 v23, v23, v24
	v_bfe_u32 v24, v23, 16, 1
	v_add3_u32 v24, v23, v24, s8
	v_and_b32_e32 v24, 0xffff0000, v24
	v_cmp_o_f32_e32 vcc, v23, v23
	s_waitcnt vmcnt(13)
	v_lshlrev_b32_e32 v25, 16, v6
	v_cndmask_b32_e32 v24, v20, v24, vcc
	;; [unrolled: 8-line block ×15, first 2 shown]
	v_add_f32_e32 v21, v23, v21
	v_bfe_u32 v23, v21, 16, 1
	v_cmp_o_f32_e32 vcc, v21, v21
	v_add3_u32 v21, v21, v23, s8
	v_cndmask_b32_sdwa v21, v22, v21, vcc dst_sel:DWORD dst_unused:UNUSED_PAD src0_sel:DWORD src1_sel:WORD_1
	v_add_co_u32_e32 v1, vcc, 0x2000, v1
	v_addc_co_u32_e32 v2, vcc, 0, v2, vcc
	s_mov_b64 vcc, s[0:1]
	s_cbranch_vccnz .LBB260_7
.LBB260_8:
	s_sub_i32 s48, s42, s2
	s_lshl_b64 s[0:1], s[2:3], 1
	s_add_u32 s46, s36, s0
	s_addc_u32 s47, s37, s1
	v_cmp_gt_u32_e32 vcc, s48, v0
	s_and_saveexec_b64 s[0:1], vcc
	s_cbranch_execz .LBB260_10
; %bb.9:
	global_load_ushort v9, v17, s[46:47]
.LBB260_10:
	s_or_b64 exec, exec, s[0:1]
	v_or_b32_e32 v1, 0x100, v0
	v_cmp_gt_u32_e64 s[30:31], s48, v1
	s_and_saveexec_b64 s[0:1], s[30:31]
	s_cbranch_execz .LBB260_12
; %bb.11:
	global_load_ushort v7, v17, s[46:47] offset:512
.LBB260_12:
	s_or_b64 exec, exec, s[0:1]
	v_or_b32_e32 v1, 0x200, v0
	v_cmp_gt_u32_e64 s[28:29], s48, v1
	s_and_saveexec_b64 s[0:1], s[28:29]
	s_cbranch_execz .LBB260_14
; %bb.13:
	global_load_ushort v6, v17, s[46:47] offset:1024
.LBB260_14:
	;; [unrolled: 8-line block ×7, first 2 shown]
	s_or_b64 exec, exec, s[0:1]
	v_or_b32_e32 v1, 0x800, v0
	v_cmp_gt_u32_e64 s[16:17], s48, v1
	s_and_saveexec_b64 s[0:1], s[16:17]
	s_cbranch_execz .LBB260_26
; %bb.25:
	v_lshlrev_b32_e32 v1, 1, v1
	global_load_ushort v11, v1, s[46:47]
.LBB260_26:
	s_or_b64 exec, exec, s[0:1]
	v_or_b32_e32 v1, 0x900, v0
	v_cmp_gt_u32_e64 s[14:15], s48, v1
	s_and_saveexec_b64 s[0:1], s[14:15]
	s_cbranch_execz .LBB260_28
; %bb.27:
	v_lshlrev_b32_e32 v1, 1, v1
	global_load_ushort v10, v1, s[46:47]
.LBB260_28:
	;; [unrolled: 9-line block ×7, first 2 shown]
	s_or_b64 exec, exec, s[0:1]
	v_or_b32_e32 v1, 0xf00, v0
	v_cmp_gt_u32_e64 s[0:1], s48, v1
	s_and_saveexec_b64 s[48:49], s[0:1]
	s_cbranch_execnz .LBB260_90
; %bb.39:
	s_or_b64 exec, exec, s[48:49]
	s_and_saveexec_b64 s[46:47], vcc
	s_cbranch_execnz .LBB260_91
.LBB260_40:
	s_or_b64 exec, exec, s[46:47]
	s_and_saveexec_b64 s[46:47], s[30:31]
	s_cbranch_execnz .LBB260_92
.LBB260_41:
	s_or_b64 exec, exec, s[46:47]
	s_and_saveexec_b64 s[30:31], s[28:29]
	s_cbranch_execnz .LBB260_93
.LBB260_42:
	s_or_b64 exec, exec, s[30:31]
	s_and_saveexec_b64 s[28:29], s[26:27]
	s_cbranch_execnz .LBB260_94
.LBB260_43:
	s_or_b64 exec, exec, s[28:29]
	s_and_saveexec_b64 s[26:27], s[24:25]
	s_cbranch_execnz .LBB260_95
.LBB260_44:
	s_or_b64 exec, exec, s[26:27]
	s_and_saveexec_b64 s[24:25], s[22:23]
	s_cbranch_execnz .LBB260_96
.LBB260_45:
	s_or_b64 exec, exec, s[24:25]
	s_and_saveexec_b64 s[22:23], s[20:21]
	s_cbranch_execnz .LBB260_97
.LBB260_46:
	s_or_b64 exec, exec, s[22:23]
	s_and_saveexec_b64 s[20:21], s[18:19]
	s_cbranch_execnz .LBB260_98
.LBB260_47:
	s_or_b64 exec, exec, s[20:21]
	s_and_saveexec_b64 s[18:19], s[16:17]
	s_cbranch_execnz .LBB260_99
.LBB260_48:
	s_or_b64 exec, exec, s[18:19]
	s_and_saveexec_b64 s[16:17], s[14:15]
	s_cbranch_execnz .LBB260_100
.LBB260_49:
	s_or_b64 exec, exec, s[16:17]
	s_and_saveexec_b64 s[14:15], s[12:13]
	s_cbranch_execnz .LBB260_101
.LBB260_50:
	s_or_b64 exec, exec, s[14:15]
	s_and_saveexec_b64 s[12:13], s[10:11]
	s_cbranch_execnz .LBB260_102
.LBB260_51:
	s_or_b64 exec, exec, s[12:13]
	s_and_saveexec_b64 s[10:11], s[8:9]
	s_cbranch_execnz .LBB260_103
.LBB260_52:
	s_or_b64 exec, exec, s[10:11]
	s_and_saveexec_b64 s[8:9], s[4:5]
	s_cbranch_execnz .LBB260_104
.LBB260_53:
	s_or_b64 exec, exec, s[8:9]
	s_and_saveexec_b64 s[4:5], s[2:3]
	s_cbranch_execnz .LBB260_105
.LBB260_54:
	s_or_b64 exec, exec, s[4:5]
	s_and_saveexec_b64 s[2:3], s[0:1]
	s_cbranch_execz .LBB260_56
.LBB260_55:
	v_lshlrev_b32_e32 v1, 16, v21
	s_waitcnt vmcnt(0)
	v_lshlrev_b32_e32 v2, 16, v18
	v_add_f32_e32 v1, v2, v1
	v_bfe_u32 v2, v1, 16, 1
	s_movk_i32 s0, 0x7fff
	v_add3_u32 v2, v1, v2, s0
	v_cmp_o_f32_e32 vcc, v1, v1
	v_mov_b32_e32 v1, 0x7fc0
	v_cndmask_b32_sdwa v21, v1, v2, vcc dst_sel:DWORD dst_unused:UNUSED_PAD src0_sel:DWORD src1_sel:WORD_1
.LBB260_56:
	s_or_b64 exec, exec, s[2:3]
	v_and_b32_e32 v2, 0xffff, v21
	s_waitcnt vmcnt(0)
	v_lshlrev_b32_e32 v3, 16, v21
	s_movk_i32 s0, 0x7fff
	v_mov_b32_dpp v2, v2 quad_perm:[1,0,3,2] row_mask:0xf bank_mask:0xf bound_ctrl:1
	v_lshlrev_b32_e32 v2, 16, v2
	v_add_f32_e32 v2, v3, v2
	v_bfe_u32 v3, v2, 16, 1
	v_add3_u32 v3, v2, v3, s0
	v_lshrrev_b32_e32 v3, 16, v3
	v_mov_b32_e32 v4, 0x7fc0
	v_cmp_o_f32_e32 vcc, v2, v2
	v_cndmask_b32_e32 v2, v4, v3, vcc
	v_mbcnt_lo_u32_b32 v1, -1, 0
	v_mbcnt_hi_u32_b32 v1, -1, v1
	v_mov_b32_dpp v3, v2 quad_perm:[2,3,0,1] row_mask:0xf bank_mask:0xf bound_ctrl:1
	v_lshlrev_b32_e32 v3, 16, v3
	v_lshlrev_b32_e32 v2, 16, v2
	v_add_f32_e32 v2, v3, v2
	v_bfe_u32 v3, v2, 16, 1
	v_add3_u32 v3, v2, v3, s0
	v_lshrrev_b32_e32 v3, 16, v3
	v_cmp_o_f32_e32 vcc, v2, v2
	v_cndmask_b32_e32 v2, v4, v3, vcc
	s_nop 1
	v_mov_b32_dpp v3, v2 row_ror:4 row_mask:0xf bank_mask:0xf bound_ctrl:1
	v_lshlrev_b32_e32 v3, 16, v3
	v_lshlrev_b32_e32 v2, 16, v2
	v_add_f32_e32 v2, v3, v2
	v_bfe_u32 v3, v2, 16, 1
	v_add3_u32 v3, v2, v3, s0
	v_lshrrev_b32_e32 v3, 16, v3
	v_cmp_o_f32_e32 vcc, v2, v2
	v_cndmask_b32_e32 v2, v4, v3, vcc
	s_nop 1
	v_mov_b32_dpp v3, v2 row_ror:8 row_mask:0xf bank_mask:0xf bound_ctrl:1
	v_lshlrev_b32_e32 v3, 16, v3
	v_lshlrev_b32_e32 v2, 16, v2
	v_add_f32_e32 v2, v3, v2
	v_bfe_u32 v3, v2, 16, 1
	v_add3_u32 v3, v2, v3, s0
	v_lshrrev_b32_e32 v3, 16, v3
	v_cmp_o_f32_e32 vcc, v2, v2
	v_cndmask_b32_e32 v2, v4, v3, vcc
	s_nop 1
	v_mov_b32_dpp v3, v2 row_bcast:15 row_mask:0xf bank_mask:0xf bound_ctrl:1
	v_lshlrev_b32_e32 v3, 16, v3
	v_lshlrev_b32_e32 v2, 16, v2
	v_add_f32_e32 v2, v3, v2
	v_bfe_u32 v3, v2, 16, 1
	v_add3_u32 v3, v2, v3, s0
	v_lshrrev_b32_e32 v3, 16, v3
	v_cmp_o_f32_e32 vcc, v2, v2
	v_cndmask_b32_e32 v2, v4, v3, vcc
	s_nop 1
	v_mov_b32_dpp v3, v2 row_bcast:31 row_mask:0xf bank_mask:0xf bound_ctrl:1
	v_lshlrev_b32_e32 v3, 16, v3
	v_lshlrev_b32_e32 v2, 16, v2
	v_add_f32_e32 v2, v3, v2
	v_bfe_u32 v3, v2, 16, 1
	v_add3_u32 v5, v2, v3, s0
	v_lshlrev_b32_e32 v3, 2, v1
	v_cmp_o_f32_e32 vcc, v2, v2
	v_or_b32_e32 v6, 0xfc, v3
	v_cndmask_b32_sdwa v2, v4, v5, vcc dst_sel:DWORD dst_unused:UNUSED_PAD src0_sel:DWORD src1_sel:WORD_1
	ds_bpermute_b32 v2, v6, v2
	v_cmp_eq_u32_e32 vcc, 0, v1
	s_and_saveexec_b64 s[0:1], vcc
	s_xor_b64 s[0:1], exec, s[0:1]
	s_cbranch_execz .LBB260_58
; %bb.57:
	v_lshrrev_b32_e32 v4, 5, v0
	v_and_b32_e32 v4, 6, v4
	s_waitcnt lgkmcnt(0)
	ds_write_b16 v4, v2
.LBB260_58:
	s_or_b64 exec, exec, s[0:1]
	v_cmp_gt_u32_e32 vcc, 64, v0
	s_waitcnt lgkmcnt(0)
	s_barrier
	s_and_saveexec_b64 s[0:1], vcc
	s_cbranch_execz .LBB260_60
; %bb.59:
	v_and_b32_e32 v2, 3, v1
	v_lshlrev_b32_e32 v4, 1, v2
	ds_read_u16 v4, v4
	v_cmp_ne_u32_e32 vcc, 3, v2
	v_addc_co_u32_e32 v1, vcc, 0, v1, vcc
	v_lshlrev_b32_e32 v1, 2, v1
	s_waitcnt lgkmcnt(0)
	ds_bpermute_b32 v1, v1, v4
	v_lshlrev_b32_e32 v4, 16, v4
	s_movk_i32 s2, 0x7fff
	v_or_b32_e32 v2, 8, v3
	v_mov_b32_e32 v3, 0x7fc0
	s_waitcnt lgkmcnt(0)
	v_lshlrev_b32_e32 v1, 16, v1
	v_add_f32_e32 v1, v4, v1
	v_bfe_u32 v4, v1, 16, 1
	v_add3_u32 v4, v1, v4, s2
	v_lshrrev_b32_e32 v4, 16, v4
	v_cmp_o_f32_e32 vcc, v1, v1
	v_cndmask_b32_e32 v1, v3, v4, vcc
	ds_bpermute_b32 v2, v2, v1
	v_lshlrev_b32_e32 v1, 16, v1
	s_waitcnt lgkmcnt(0)
	v_lshlrev_b32_e32 v2, 16, v2
	v_add_f32_e32 v1, v2, v1
	v_bfe_u32 v2, v1, 16, 1
	v_cmp_o_f32_e32 vcc, v1, v1
	v_add3_u32 v1, v1, v2, s2
	v_cndmask_b32_sdwa v2, v3, v1, vcc dst_sel:DWORD dst_unused:UNUSED_PAD src0_sel:DWORD src1_sel:WORD_1
.LBB260_60:
	s_or_b64 exec, exec, s[0:1]
	s_branch .LBB260_112
.LBB260_61:
                                        ; implicit-def: $vgpr2
	s_cbranch_execz .LBB260_112
; %bb.62:
	s_sub_i32 s10, s42, s44
	v_cmp_gt_u32_e32 vcc, s10, v0
                                        ; implicit-def: $vgpr5
	s_and_saveexec_b64 s[2:3], vcc
	s_cbranch_execz .LBB260_68
; %bb.63:
	v_mov_b32_e32 v1, s45
	v_add_co_u32_e32 v6, vcc, s44, v0
	v_addc_co_u32_e32 v7, vcc, 0, v1, vcc
	v_lshlrev_b64 v[2:3], 1, v[6:7]
	v_mov_b32_e32 v1, s37
	v_add_co_u32_e64 v4, s[0:1], s36, v2
	v_addc_co_u32_e64 v5, vcc, v1, v3, s[0:1]
	global_load_ushort v5, v[4:5], off
	v_add_co_u32_e32 v1, vcc, 0x100, v6
	v_addc_co_u32_e32 v2, vcc, 0, v7, vcc
	v_cmp_gt_i64_e32 vcc, s[42:43], v[1:2]
	s_and_saveexec_b64 s[4:5], vcc
	s_cbranch_execz .LBB260_67
; %bb.64:
	v_mov_b32_e32 v6, s37
	v_addc_co_u32_e64 v6, vcc, v6, v3, s[0:1]
	v_add_co_u32_e32 v3, vcc, 0x200, v4
	v_addc_co_u32_e32 v4, vcc, 0, v6, vcc
	s_mov_b64 s[8:9], 0
	s_movk_i32 s11, 0x7fff
	v_mov_b32_e32 v6, 0x7fc0
.LBB260_65:                             ; =>This Inner Loop Header: Depth=1
	global_load_ushort v7, v[3:4], off
	s_waitcnt vmcnt(1)
	v_lshlrev_b32_e32 v5, 16, v5
	s_waitcnt vmcnt(0)
	v_lshlrev_b32_e32 v7, 16, v7
	v_add_f32_e32 v5, v5, v7
	v_bfe_u32 v7, v5, 16, 1
	v_cmp_o_f32_e32 vcc, v5, v5
	v_add3_u32 v5, v5, v7, s11
	v_cndmask_b32_sdwa v5, v6, v5, vcc dst_sel:DWORD dst_unused:UNUSED_PAD src0_sel:DWORD src1_sel:WORD_1
	v_add_co_u32_e32 v1, vcc, 0x100, v1
	v_addc_co_u32_e32 v2, vcc, 0, v2, vcc
	v_cmp_le_i64_e64 s[0:1], s[42:43], v[1:2]
	v_add_co_u32_e32 v3, vcc, 0x200, v3
	s_or_b64 s[8:9], s[0:1], s[8:9]
	v_addc_co_u32_e32 v4, vcc, 0, v4, vcc
	s_andn2_b64 exec, exec, s[8:9]
	s_cbranch_execnz .LBB260_65
; %bb.66:
	s_or_b64 exec, exec, s[8:9]
.LBB260_67:
	s_or_b64 exec, exec, s[4:5]
.LBB260_68:
	s_or_b64 exec, exec, s[2:3]
	s_cmpk_lt_u32 s10, 0x100
	v_mbcnt_lo_u32_b32 v1, -1, 0
	s_cbranch_scc0 .LBB260_106
; %bb.69:
	v_mbcnt_hi_u32_b32 v3, -1, v1
	v_and_b32_e32 v4, 63, v3
	v_cmp_ne_u32_e32 vcc, 63, v4
	v_addc_co_u32_e32 v6, vcc, 0, v3, vcc
	v_lshlrev_b32_e32 v6, 2, v6
	s_waitcnt vmcnt(0)
	v_and_b32_e32 v7, 0xffff, v5
	ds_bpermute_b32 v8, v6, v7
	v_and_b32_e32 v2, 0xc0, v0
	v_sub_u32_e64 v6, s10, v2 clamp
	v_add_u32_e32 v2, 1, v4
	v_cmp_lt_u32_e32 vcc, v2, v6
	v_mov_b32_e32 v2, v5
	s_and_saveexec_b64 s[0:1], vcc
	s_cbranch_execz .LBB260_71
; %bb.70:
	v_lshlrev_b32_e32 v2, 16, v7
	s_waitcnt lgkmcnt(0)
	v_lshlrev_b32_e32 v7, 16, v8
	v_add_f32_e32 v2, v2, v7
	v_bfe_u32 v7, v2, 16, 1
	s_movk_i32 s2, 0x7fff
	v_add3_u32 v7, v2, v7, s2
	v_cmp_o_f32_e32 vcc, v2, v2
	v_mov_b32_e32 v2, 0x7fc0
	v_cndmask_b32_sdwa v2, v2, v7, vcc dst_sel:DWORD dst_unused:UNUSED_PAD src0_sel:DWORD src1_sel:WORD_1
	v_and_b32_e32 v7, 0xffff, v2
.LBB260_71:
	s_or_b64 exec, exec, s[0:1]
	v_cmp_gt_u32_e32 vcc, 62, v4
	s_waitcnt lgkmcnt(0)
	v_cndmask_b32_e64 v8, 0, 2, vcc
	v_add_lshl_u32 v8, v8, v3, 2
	ds_bpermute_b32 v8, v8, v7
	v_add_u32_e32 v9, 2, v4
	v_cmp_lt_u32_e32 vcc, v9, v6
	s_and_saveexec_b64 s[0:1], vcc
	s_cbranch_execz .LBB260_73
; %bb.72:
	v_lshlrev_b32_e32 v2, 16, v7
	s_waitcnt lgkmcnt(0)
	v_lshlrev_b32_e32 v7, 16, v8
	v_add_f32_e32 v2, v2, v7
	v_bfe_u32 v7, v2, 16, 1
	s_movk_i32 s2, 0x7fff
	v_add3_u32 v7, v2, v7, s2
	v_cmp_o_f32_e32 vcc, v2, v2
	v_mov_b32_e32 v2, 0x7fc0
	v_cndmask_b32_sdwa v2, v2, v7, vcc dst_sel:DWORD dst_unused:UNUSED_PAD src0_sel:DWORD src1_sel:WORD_1
	v_and_b32_e32 v7, 0xffff, v2
.LBB260_73:
	s_or_b64 exec, exec, s[0:1]
	v_cmp_gt_u32_e32 vcc, 60, v4
	s_waitcnt lgkmcnt(0)
	v_cndmask_b32_e64 v8, 0, 4, vcc
	v_add_lshl_u32 v8, v8, v3, 2
	ds_bpermute_b32 v8, v8, v7
	v_add_u32_e32 v9, 4, v4
	v_cmp_lt_u32_e32 vcc, v9, v6
	;; [unrolled: 23-line block ×4, first 2 shown]
	s_and_saveexec_b64 s[0:1], vcc
	s_cbranch_execz .LBB260_79
; %bb.78:
	v_lshlrev_b32_e32 v2, 16, v7
	s_waitcnt lgkmcnt(0)
	v_lshlrev_b32_e32 v7, 16, v8
	v_add_f32_e32 v2, v2, v7
	v_bfe_u32 v7, v2, 16, 1
	s_movk_i32 s2, 0x7fff
	v_add3_u32 v7, v2, v7, s2
	v_cmp_o_f32_e32 vcc, v2, v2
	v_mov_b32_e32 v2, 0x7fc0
	v_cndmask_b32_sdwa v2, v2, v7, vcc dst_sel:DWORD dst_unused:UNUSED_PAD src0_sel:DWORD src1_sel:WORD_1
	v_and_b32_e32 v7, 0xffff, v2
.LBB260_79:
	s_or_b64 exec, exec, s[0:1]
	s_waitcnt lgkmcnt(0)
	v_lshlrev_b32_e32 v8, 2, v3
	v_or_b32_e32 v9, 0x80, v8
	ds_bpermute_b32 v9, v9, v7
	v_add_u32_e32 v4, 32, v4
	v_cmp_lt_u32_e32 vcc, v4, v6
	s_and_saveexec_b64 s[0:1], vcc
	s_cbranch_execz .LBB260_81
; %bb.80:
	v_lshlrev_b32_e32 v2, 16, v7
	s_waitcnt lgkmcnt(0)
	v_lshlrev_b32_e32 v4, 16, v9
	v_add_f32_e32 v2, v2, v4
	v_bfe_u32 v4, v2, 16, 1
	s_movk_i32 s2, 0x7fff
	v_add3_u32 v4, v2, v4, s2
	v_cmp_o_f32_e32 vcc, v2, v2
	v_mov_b32_e32 v2, 0x7fc0
	v_cndmask_b32_sdwa v2, v2, v4, vcc dst_sel:DWORD dst_unused:UNUSED_PAD src0_sel:DWORD src1_sel:WORD_1
.LBB260_81:
	s_or_b64 exec, exec, s[0:1]
	v_cmp_eq_u32_e32 vcc, 0, v3
	s_and_saveexec_b64 s[0:1], vcc
; %bb.82:
	v_lshrrev_b32_e32 v4, 5, v0
	v_and_b32_e32 v4, 6, v4
	ds_write_b16 v4, v2
; %bb.83:
	s_or_b64 exec, exec, s[0:1]
	v_cmp_gt_u32_e32 vcc, 4, v0
	s_waitcnt lgkmcnt(0)
	s_barrier
	s_and_saveexec_b64 s[0:1], vcc
	s_cbranch_execz .LBB260_89
; %bb.84:
	v_lshlrev_b32_e32 v2, 1, v3
	ds_read_u16 v2, v2
	v_and_b32_e32 v4, 3, v3
	v_cmp_ne_u32_e32 vcc, 3, v4
	v_addc_co_u32_e32 v3, vcc, 0, v3, vcc
	v_lshlrev_b32_e32 v6, 2, v3
	s_waitcnt lgkmcnt(0)
	v_and_b32_e32 v3, 0xffff, v2
	ds_bpermute_b32 v6, v6, v3
	s_add_i32 s10, s10, 63
	s_lshr_b32 s4, s10, 6
	v_add_u32_e32 v7, 1, v4
	v_cmp_gt_u32_e32 vcc, s4, v7
	s_and_saveexec_b64 s[2:3], vcc
	s_cbranch_execz .LBB260_86
; %bb.85:
	v_lshlrev_b32_e32 v2, 16, v3
	s_waitcnt lgkmcnt(0)
	v_lshlrev_b32_e32 v3, 16, v6
	v_add_f32_e32 v2, v2, v3
	v_bfe_u32 v3, v2, 16, 1
	s_movk_i32 s5, 0x7fff
	v_add3_u32 v3, v2, v3, s5
	v_cmp_o_f32_e32 vcc, v2, v2
	v_mov_b32_e32 v2, 0x7fc0
	v_cndmask_b32_sdwa v2, v2, v3, vcc dst_sel:DWORD dst_unused:UNUSED_PAD src0_sel:DWORD src1_sel:WORD_1
	v_and_b32_e32 v3, 0xffff, v2
.LBB260_86:
	s_or_b64 exec, exec, s[2:3]
	s_waitcnt lgkmcnt(0)
	v_or_b32_e32 v6, 8, v8
	ds_bpermute_b32 v6, v6, v3
	v_add_u32_e32 v4, 2, v4
	v_cmp_gt_u32_e32 vcc, s4, v4
	s_and_saveexec_b64 s[2:3], vcc
	s_cbranch_execz .LBB260_88
; %bb.87:
	v_lshlrev_b32_e32 v2, 16, v3
	s_waitcnt lgkmcnt(0)
	v_lshlrev_b32_e32 v3, 16, v6
	v_add_f32_e32 v2, v2, v3
	v_bfe_u32 v3, v2, 16, 1
	s_movk_i32 s4, 0x7fff
	v_add3_u32 v3, v2, v3, s4
	v_cmp_o_f32_e32 vcc, v2, v2
	v_mov_b32_e32 v2, 0x7fc0
	v_cndmask_b32_sdwa v2, v2, v3, vcc dst_sel:DWORD dst_unused:UNUSED_PAD src0_sel:DWORD src1_sel:WORD_1
.LBB260_88:
	s_or_b64 exec, exec, s[2:3]
.LBB260_89:
	s_or_b64 exec, exec, s[0:1]
	s_branch .LBB260_112
.LBB260_90:
	v_lshlrev_b32_e32 v1, 1, v1
	global_load_ushort v18, v1, s[46:47]
	s_or_b64 exec, exec, s[48:49]
	s_and_saveexec_b64 s[46:47], vcc
	s_cbranch_execz .LBB260_40
.LBB260_91:
	v_lshlrev_b32_e32 v1, 16, v21
	s_waitcnt vmcnt(0)
	v_lshlrev_b32_e32 v2, 16, v9
	v_add_f32_e32 v1, v1, v2
	v_bfe_u32 v2, v1, 16, 1
	s_movk_i32 s48, 0x7fff
	v_add3_u32 v2, v1, v2, s48
	v_cmp_o_f32_e32 vcc, v1, v1
	v_mov_b32_e32 v1, 0x7fc0
	v_cndmask_b32_sdwa v21, v1, v2, vcc dst_sel:DWORD dst_unused:UNUSED_PAD src0_sel:DWORD src1_sel:WORD_1
	s_or_b64 exec, exec, s[46:47]
	s_and_saveexec_b64 s[46:47], s[30:31]
	s_cbranch_execz .LBB260_41
.LBB260_92:
	v_lshlrev_b32_e32 v1, 16, v21
	s_waitcnt vmcnt(0)
	v_lshlrev_b32_e32 v2, 16, v7
	v_add_f32_e32 v1, v2, v1
	v_bfe_u32 v2, v1, 16, 1
	s_movk_i32 s30, 0x7fff
	v_add3_u32 v2, v1, v2, s30
	v_cmp_o_f32_e32 vcc, v1, v1
	v_mov_b32_e32 v1, 0x7fc0
	v_cndmask_b32_sdwa v21, v1, v2, vcc dst_sel:DWORD dst_unused:UNUSED_PAD src0_sel:DWORD src1_sel:WORD_1
	s_or_b64 exec, exec, s[46:47]
	s_and_saveexec_b64 s[30:31], s[28:29]
	s_cbranch_execz .LBB260_42
.LBB260_93:
	v_lshlrev_b32_e32 v1, 16, v21
	s_waitcnt vmcnt(0)
	v_lshlrev_b32_e32 v2, 16, v6
	v_add_f32_e32 v1, v2, v1
	v_bfe_u32 v2, v1, 16, 1
	s_movk_i32 s28, 0x7fff
	v_add3_u32 v2, v1, v2, s28
	v_cmp_o_f32_e32 vcc, v1, v1
	v_mov_b32_e32 v1, 0x7fc0
	v_cndmask_b32_sdwa v21, v1, v2, vcc dst_sel:DWORD dst_unused:UNUSED_PAD src0_sel:DWORD src1_sel:WORD_1
	s_or_b64 exec, exec, s[30:31]
	s_and_saveexec_b64 s[28:29], s[26:27]
	s_cbranch_execz .LBB260_43
.LBB260_94:
	v_lshlrev_b32_e32 v1, 16, v21
	s_waitcnt vmcnt(0)
	v_lshlrev_b32_e32 v2, 16, v5
	v_add_f32_e32 v1, v2, v1
	v_bfe_u32 v2, v1, 16, 1
	s_movk_i32 s26, 0x7fff
	v_add3_u32 v2, v1, v2, s26
	v_cmp_o_f32_e32 vcc, v1, v1
	v_mov_b32_e32 v1, 0x7fc0
	v_cndmask_b32_sdwa v21, v1, v2, vcc dst_sel:DWORD dst_unused:UNUSED_PAD src0_sel:DWORD src1_sel:WORD_1
	s_or_b64 exec, exec, s[28:29]
	s_and_saveexec_b64 s[26:27], s[24:25]
	s_cbranch_execz .LBB260_44
.LBB260_95:
	v_lshlrev_b32_e32 v1, 16, v21
	s_waitcnt vmcnt(0)
	v_lshlrev_b32_e32 v2, 16, v4
	v_add_f32_e32 v1, v2, v1
	v_bfe_u32 v2, v1, 16, 1
	s_movk_i32 s24, 0x7fff
	v_add3_u32 v2, v1, v2, s24
	v_cmp_o_f32_e32 vcc, v1, v1
	v_mov_b32_e32 v1, 0x7fc0
	v_cndmask_b32_sdwa v21, v1, v2, vcc dst_sel:DWORD dst_unused:UNUSED_PAD src0_sel:DWORD src1_sel:WORD_1
	s_or_b64 exec, exec, s[26:27]
	s_and_saveexec_b64 s[24:25], s[22:23]
	s_cbranch_execz .LBB260_45
.LBB260_96:
	v_lshlrev_b32_e32 v1, 16, v21
	s_waitcnt vmcnt(0)
	v_lshlrev_b32_e32 v2, 16, v3
	v_add_f32_e32 v1, v2, v1
	v_bfe_u32 v2, v1, 16, 1
	s_movk_i32 s22, 0x7fff
	v_add3_u32 v2, v1, v2, s22
	v_cmp_o_f32_e32 vcc, v1, v1
	v_mov_b32_e32 v1, 0x7fc0
	v_cndmask_b32_sdwa v21, v1, v2, vcc dst_sel:DWORD dst_unused:UNUSED_PAD src0_sel:DWORD src1_sel:WORD_1
	s_or_b64 exec, exec, s[24:25]
	s_and_saveexec_b64 s[22:23], s[20:21]
	s_cbranch_execz .LBB260_46
.LBB260_97:
	v_lshlrev_b32_e32 v1, 16, v21
	s_waitcnt vmcnt(0)
	v_lshlrev_b32_e32 v2, 16, v13
	v_add_f32_e32 v1, v2, v1
	v_bfe_u32 v2, v1, 16, 1
	s_movk_i32 s20, 0x7fff
	v_add3_u32 v2, v1, v2, s20
	v_cmp_o_f32_e32 vcc, v1, v1
	v_mov_b32_e32 v1, 0x7fc0
	v_cndmask_b32_sdwa v21, v1, v2, vcc dst_sel:DWORD dst_unused:UNUSED_PAD src0_sel:DWORD src1_sel:WORD_1
	s_or_b64 exec, exec, s[22:23]
	s_and_saveexec_b64 s[20:21], s[18:19]
	s_cbranch_execz .LBB260_47
.LBB260_98:
	v_lshlrev_b32_e32 v1, 16, v21
	s_waitcnt vmcnt(0)
	v_lshlrev_b32_e32 v2, 16, v12
	v_add_f32_e32 v1, v2, v1
	v_bfe_u32 v2, v1, 16, 1
	s_movk_i32 s18, 0x7fff
	v_add3_u32 v2, v1, v2, s18
	v_cmp_o_f32_e32 vcc, v1, v1
	v_mov_b32_e32 v1, 0x7fc0
	v_cndmask_b32_sdwa v21, v1, v2, vcc dst_sel:DWORD dst_unused:UNUSED_PAD src0_sel:DWORD src1_sel:WORD_1
	s_or_b64 exec, exec, s[20:21]
	s_and_saveexec_b64 s[18:19], s[16:17]
	s_cbranch_execz .LBB260_48
.LBB260_99:
	v_lshlrev_b32_e32 v1, 16, v21
	s_waitcnt vmcnt(0)
	v_lshlrev_b32_e32 v2, 16, v11
	v_add_f32_e32 v1, v2, v1
	v_bfe_u32 v2, v1, 16, 1
	s_movk_i32 s16, 0x7fff
	v_add3_u32 v2, v1, v2, s16
	v_cmp_o_f32_e32 vcc, v1, v1
	v_mov_b32_e32 v1, 0x7fc0
	v_cndmask_b32_sdwa v21, v1, v2, vcc dst_sel:DWORD dst_unused:UNUSED_PAD src0_sel:DWORD src1_sel:WORD_1
	s_or_b64 exec, exec, s[18:19]
	s_and_saveexec_b64 s[16:17], s[14:15]
	s_cbranch_execz .LBB260_49
.LBB260_100:
	v_lshlrev_b32_e32 v1, 16, v21
	s_waitcnt vmcnt(0)
	v_lshlrev_b32_e32 v2, 16, v10
	v_add_f32_e32 v1, v2, v1
	v_bfe_u32 v2, v1, 16, 1
	s_movk_i32 s14, 0x7fff
	v_add3_u32 v2, v1, v2, s14
	v_cmp_o_f32_e32 vcc, v1, v1
	v_mov_b32_e32 v1, 0x7fc0
	v_cndmask_b32_sdwa v21, v1, v2, vcc dst_sel:DWORD dst_unused:UNUSED_PAD src0_sel:DWORD src1_sel:WORD_1
	s_or_b64 exec, exec, s[16:17]
	s_and_saveexec_b64 s[14:15], s[12:13]
	s_cbranch_execz .LBB260_50
.LBB260_101:
	v_lshlrev_b32_e32 v1, 16, v21
	s_waitcnt vmcnt(0)
	v_lshlrev_b32_e32 v2, 16, v8
	v_add_f32_e32 v1, v2, v1
	v_bfe_u32 v2, v1, 16, 1
	s_movk_i32 s12, 0x7fff
	v_add3_u32 v2, v1, v2, s12
	v_cmp_o_f32_e32 vcc, v1, v1
	v_mov_b32_e32 v1, 0x7fc0
	v_cndmask_b32_sdwa v21, v1, v2, vcc dst_sel:DWORD dst_unused:UNUSED_PAD src0_sel:DWORD src1_sel:WORD_1
	s_or_b64 exec, exec, s[14:15]
	s_and_saveexec_b64 s[12:13], s[10:11]
	s_cbranch_execz .LBB260_51
.LBB260_102:
	v_lshlrev_b32_e32 v1, 16, v21
	s_waitcnt vmcnt(0)
	v_lshlrev_b32_e32 v2, 16, v16
	v_add_f32_e32 v1, v2, v1
	v_bfe_u32 v2, v1, 16, 1
	s_movk_i32 s10, 0x7fff
	v_add3_u32 v2, v1, v2, s10
	v_cmp_o_f32_e32 vcc, v1, v1
	v_mov_b32_e32 v1, 0x7fc0
	v_cndmask_b32_sdwa v21, v1, v2, vcc dst_sel:DWORD dst_unused:UNUSED_PAD src0_sel:DWORD src1_sel:WORD_1
	s_or_b64 exec, exec, s[12:13]
	s_and_saveexec_b64 s[10:11], s[8:9]
	s_cbranch_execz .LBB260_52
.LBB260_103:
	v_lshlrev_b32_e32 v1, 16, v21
	s_waitcnt vmcnt(0)
	v_lshlrev_b32_e32 v2, 16, v15
	v_add_f32_e32 v1, v2, v1
	v_bfe_u32 v2, v1, 16, 1
	s_movk_i32 s8, 0x7fff
	v_add3_u32 v2, v1, v2, s8
	v_cmp_o_f32_e32 vcc, v1, v1
	v_mov_b32_e32 v1, 0x7fc0
	v_cndmask_b32_sdwa v21, v1, v2, vcc dst_sel:DWORD dst_unused:UNUSED_PAD src0_sel:DWORD src1_sel:WORD_1
	s_or_b64 exec, exec, s[10:11]
	s_and_saveexec_b64 s[8:9], s[4:5]
	s_cbranch_execz .LBB260_53
.LBB260_104:
	v_lshlrev_b32_e32 v1, 16, v21
	s_waitcnt vmcnt(0)
	v_lshlrev_b32_e32 v2, 16, v14
	v_add_f32_e32 v1, v2, v1
	v_bfe_u32 v2, v1, 16, 1
	s_movk_i32 s4, 0x7fff
	v_add3_u32 v2, v1, v2, s4
	v_cmp_o_f32_e32 vcc, v1, v1
	v_mov_b32_e32 v1, 0x7fc0
	v_cndmask_b32_sdwa v21, v1, v2, vcc dst_sel:DWORD dst_unused:UNUSED_PAD src0_sel:DWORD src1_sel:WORD_1
	s_or_b64 exec, exec, s[8:9]
	s_and_saveexec_b64 s[4:5], s[2:3]
	s_cbranch_execz .LBB260_54
.LBB260_105:
	v_lshlrev_b32_e32 v1, 16, v21
	s_waitcnt vmcnt(0)
	v_lshlrev_b32_e32 v2, 16, v19
	v_add_f32_e32 v1, v2, v1
	v_bfe_u32 v2, v1, 16, 1
	s_movk_i32 s2, 0x7fff
	v_add3_u32 v2, v1, v2, s2
	v_cmp_o_f32_e32 vcc, v1, v1
	v_mov_b32_e32 v1, 0x7fc0
	v_cndmask_b32_sdwa v21, v1, v2, vcc dst_sel:DWORD dst_unused:UNUSED_PAD src0_sel:DWORD src1_sel:WORD_1
	s_or_b64 exec, exec, s[4:5]
	s_and_saveexec_b64 s[2:3], s[0:1]
	s_cbranch_execnz .LBB260_55
	s_branch .LBB260_56
.LBB260_106:
                                        ; implicit-def: $vgpr2
	s_cbranch_execz .LBB260_112
; %bb.107:
	s_waitcnt vmcnt(0)
	v_and_b32_e32 v2, 0xffff, v5
	v_lshlrev_b32_e32 v3, 16, v5
	s_movk_i32 s0, 0x7fff
	v_mov_b32_dpp v2, v2 quad_perm:[1,0,3,2] row_mask:0xf bank_mask:0xf bound_ctrl:1
	v_lshlrev_b32_e32 v2, 16, v2
	v_add_f32_e32 v2, v3, v2
	v_bfe_u32 v3, v2, 16, 1
	v_add3_u32 v3, v2, v3, s0
	v_lshrrev_b32_e32 v3, 16, v3
	v_mov_b32_e32 v4, 0x7fc0
	v_cmp_o_f32_e32 vcc, v2, v2
	v_cndmask_b32_e32 v2, v4, v3, vcc
	v_mbcnt_hi_u32_b32 v1, -1, v1
	s_nop 0
	v_mov_b32_dpp v3, v2 quad_perm:[2,3,0,1] row_mask:0xf bank_mask:0xf bound_ctrl:1
	v_lshlrev_b32_e32 v3, 16, v3
	v_lshlrev_b32_e32 v2, 16, v2
	v_add_f32_e32 v2, v3, v2
	v_bfe_u32 v3, v2, 16, 1
	v_add3_u32 v3, v2, v3, s0
	v_lshrrev_b32_e32 v3, 16, v3
	v_cmp_o_f32_e32 vcc, v2, v2
	v_cndmask_b32_e32 v2, v4, v3, vcc
	s_nop 1
	v_mov_b32_dpp v3, v2 row_ror:4 row_mask:0xf bank_mask:0xf bound_ctrl:1
	v_lshlrev_b32_e32 v3, 16, v3
	v_lshlrev_b32_e32 v2, 16, v2
	v_add_f32_e32 v2, v3, v2
	v_bfe_u32 v3, v2, 16, 1
	v_add3_u32 v3, v2, v3, s0
	v_lshrrev_b32_e32 v3, 16, v3
	v_cmp_o_f32_e32 vcc, v2, v2
	v_cndmask_b32_e32 v2, v4, v3, vcc
	s_nop 1
	v_mov_b32_dpp v3, v2 row_ror:8 row_mask:0xf bank_mask:0xf bound_ctrl:1
	v_lshlrev_b32_e32 v3, 16, v3
	v_lshlrev_b32_e32 v2, 16, v2
	v_add_f32_e32 v2, v3, v2
	v_bfe_u32 v3, v2, 16, 1
	v_add3_u32 v3, v2, v3, s0
	v_lshrrev_b32_e32 v3, 16, v3
	v_cmp_o_f32_e32 vcc, v2, v2
	v_cndmask_b32_e32 v2, v4, v3, vcc
	s_nop 1
	v_mov_b32_dpp v3, v2 row_bcast:15 row_mask:0xf bank_mask:0xf bound_ctrl:1
	v_lshlrev_b32_e32 v3, 16, v3
	v_lshlrev_b32_e32 v2, 16, v2
	v_add_f32_e32 v2, v3, v2
	v_bfe_u32 v3, v2, 16, 1
	v_add3_u32 v3, v2, v3, s0
	v_lshrrev_b32_e32 v3, 16, v3
	v_cmp_o_f32_e32 vcc, v2, v2
	v_cndmask_b32_e32 v2, v4, v3, vcc
	s_nop 1
	v_mov_b32_dpp v3, v2 row_bcast:31 row_mask:0xf bank_mask:0xf bound_ctrl:1
	v_lshlrev_b32_e32 v3, 16, v3
	v_lshlrev_b32_e32 v2, 16, v2
	v_add_f32_e32 v2, v3, v2
	v_bfe_u32 v3, v2, 16, 1
	v_add3_u32 v5, v2, v3, s0
	v_lshlrev_b32_e32 v3, 2, v1
	v_cmp_o_f32_e32 vcc, v2, v2
	s_waitcnt lgkmcnt(0)
	v_or_b32_e32 v6, 0xfc, v3
	v_cndmask_b32_sdwa v2, v4, v5, vcc dst_sel:DWORD dst_unused:UNUSED_PAD src0_sel:DWORD src1_sel:WORD_1
	ds_bpermute_b32 v2, v6, v2
	v_cmp_eq_u32_e32 vcc, 0, v1
	s_and_saveexec_b64 s[0:1], vcc
	s_cbranch_execz .LBB260_109
; %bb.108:
	v_lshrrev_b32_e32 v4, 5, v0
	v_and_b32_e32 v4, 6, v4
	s_waitcnt lgkmcnt(0)
	ds_write_b16 v4, v2
.LBB260_109:
	s_or_b64 exec, exec, s[0:1]
	v_cmp_gt_u32_e32 vcc, 64, v0
	s_waitcnt lgkmcnt(0)
	s_barrier
	s_and_saveexec_b64 s[0:1], vcc
	s_cbranch_execz .LBB260_111
; %bb.110:
	v_and_b32_e32 v2, 3, v1
	v_lshlrev_b32_e32 v4, 1, v2
	ds_read_u16 v4, v4
	v_cmp_ne_u32_e32 vcc, 3, v2
	v_addc_co_u32_e32 v1, vcc, 0, v1, vcc
	v_lshlrev_b32_e32 v1, 2, v1
	s_waitcnt lgkmcnt(0)
	ds_bpermute_b32 v1, v1, v4
	v_lshlrev_b32_e32 v4, 16, v4
	s_movk_i32 s2, 0x7fff
	v_or_b32_e32 v2, 8, v3
	v_mov_b32_e32 v3, 0x7fc0
	s_waitcnt lgkmcnt(0)
	v_lshlrev_b32_e32 v1, 16, v1
	v_add_f32_e32 v1, v4, v1
	v_bfe_u32 v4, v1, 16, 1
	v_add3_u32 v4, v1, v4, s2
	v_lshrrev_b32_e32 v4, 16, v4
	v_cmp_o_f32_e32 vcc, v1, v1
	v_cndmask_b32_e32 v1, v3, v4, vcc
	ds_bpermute_b32 v2, v2, v1
	v_lshlrev_b32_e32 v1, 16, v1
	s_waitcnt lgkmcnt(0)
	v_lshlrev_b32_e32 v2, 16, v2
	v_add_f32_e32 v1, v2, v1
	v_bfe_u32 v2, v1, 16, 1
	v_cmp_o_f32_e32 vcc, v1, v1
	v_add3_u32 v1, v1, v2, s2
	v_cndmask_b32_sdwa v2, v3, v1, vcc dst_sel:DWORD dst_unused:UNUSED_PAD src0_sel:DWORD src1_sel:WORD_1
.LBB260_111:
	s_or_b64 exec, exec, s[0:1]
.LBB260_112:
	v_cmp_eq_u32_e32 vcc, 0, v0
                                        ; implicit-def: $vgpr1
	s_and_saveexec_b64 s[0:1], vcc
	s_cbranch_execz .LBB260_114
; %bb.113:
	s_lshl_b32 s2, s33, 16
	v_lshlrev_b32_e32 v0, 16, v2
	v_add_f32_e32 v0, s2, v0
	v_bfe_u32 v1, v0, 16, 1
	s_movk_i32 s2, 0x7fff
	v_add3_u32 v1, v0, v1, s2
	v_cmp_o_f32_e32 vcc, v0, v0
	v_mov_b32_e32 v0, 0x7fc0
	v_cndmask_b32_sdwa v1, v0, v1, vcc dst_sel:DWORD dst_unused:UNUSED_PAD src0_sel:DWORD src1_sel:WORD_1
	s_or_b64 s[34:35], s[34:35], exec
.LBB260_114:
	s_or_b64 exec, exec, s[0:1]
	s_and_saveexec_b64 s[0:1], s[34:35]
	s_cbranch_execz .LBB260_116
.LBB260_115:
	s_lshl_b64 s[0:1], s[40:41], 1
	s_add_u32 s2, s38, s0
	s_addc_u32 s3, s39, s1
	s_lshl_b64 s[0:1], s[6:7], 1
	s_add_u32 s0, s2, s0
	s_addc_u32 s1, s3, s1
	v_mov_b32_e32 v0, 0
	global_store_short v0, v1, s[0:1]
.LBB260_116:
	s_endpgm
	.section	.rodata,"a",@progbits
	.p2align	6, 0x0
	.amdhsa_kernel _ZN7rocprim17ROCPRIM_400000_NS6detail17trampoline_kernelINS0_14default_configENS1_32segmented_reduce_config_selectorIN3c108BFloat16EEEZNS1_21segmented_reduce_implIS3_PKS6_PS6_PKlS6_N6hipcub16HIPCUB_304000_NS6detail27convert_result_type_wrapperISA_SB_N2at6native12_GLOBAL__N_19CustomSumEEEEE10hipError_tPvRmT0_T1_jT2_SS_T4_T3_P12ihipStream_tbEUlT_E_NS1_11comp_targetILNS1_3genE2ELNS1_11target_archE906ELNS1_3gpuE6ELNS1_3repE0EEENS1_30default_config_static_selectorELNS0_4arch9wavefront6targetE1EEEvSR_
		.amdhsa_group_segment_fixed_size 8
		.amdhsa_private_segment_fixed_size 0
		.amdhsa_kernarg_size 48
		.amdhsa_user_sgpr_count 6
		.amdhsa_user_sgpr_private_segment_buffer 1
		.amdhsa_user_sgpr_dispatch_ptr 0
		.amdhsa_user_sgpr_queue_ptr 0
		.amdhsa_user_sgpr_kernarg_segment_ptr 1
		.amdhsa_user_sgpr_dispatch_id 0
		.amdhsa_user_sgpr_flat_scratch_init 0
		.amdhsa_user_sgpr_private_segment_size 0
		.amdhsa_uses_dynamic_stack 0
		.amdhsa_system_sgpr_private_segment_wavefront_offset 0
		.amdhsa_system_sgpr_workgroup_id_x 1
		.amdhsa_system_sgpr_workgroup_id_y 0
		.amdhsa_system_sgpr_workgroup_id_z 0
		.amdhsa_system_sgpr_workgroup_info 0
		.amdhsa_system_vgpr_workitem_id 0
		.amdhsa_next_free_vgpr 26
		.amdhsa_next_free_sgpr 50
		.amdhsa_reserve_vcc 1
		.amdhsa_reserve_flat_scratch 0
		.amdhsa_float_round_mode_32 0
		.amdhsa_float_round_mode_16_64 0
		.amdhsa_float_denorm_mode_32 3
		.amdhsa_float_denorm_mode_16_64 3
		.amdhsa_dx10_clamp 1
		.amdhsa_ieee_mode 1
		.amdhsa_fp16_overflow 0
		.amdhsa_exception_fp_ieee_invalid_op 0
		.amdhsa_exception_fp_denorm_src 0
		.amdhsa_exception_fp_ieee_div_zero 0
		.amdhsa_exception_fp_ieee_overflow 0
		.amdhsa_exception_fp_ieee_underflow 0
		.amdhsa_exception_fp_ieee_inexact 0
		.amdhsa_exception_int_div_zero 0
	.end_amdhsa_kernel
	.section	.text._ZN7rocprim17ROCPRIM_400000_NS6detail17trampoline_kernelINS0_14default_configENS1_32segmented_reduce_config_selectorIN3c108BFloat16EEEZNS1_21segmented_reduce_implIS3_PKS6_PS6_PKlS6_N6hipcub16HIPCUB_304000_NS6detail27convert_result_type_wrapperISA_SB_N2at6native12_GLOBAL__N_19CustomSumEEEEE10hipError_tPvRmT0_T1_jT2_SS_T4_T3_P12ihipStream_tbEUlT_E_NS1_11comp_targetILNS1_3genE2ELNS1_11target_archE906ELNS1_3gpuE6ELNS1_3repE0EEENS1_30default_config_static_selectorELNS0_4arch9wavefront6targetE1EEEvSR_,"axG",@progbits,_ZN7rocprim17ROCPRIM_400000_NS6detail17trampoline_kernelINS0_14default_configENS1_32segmented_reduce_config_selectorIN3c108BFloat16EEEZNS1_21segmented_reduce_implIS3_PKS6_PS6_PKlS6_N6hipcub16HIPCUB_304000_NS6detail27convert_result_type_wrapperISA_SB_N2at6native12_GLOBAL__N_19CustomSumEEEEE10hipError_tPvRmT0_T1_jT2_SS_T4_T3_P12ihipStream_tbEUlT_E_NS1_11comp_targetILNS1_3genE2ELNS1_11target_archE906ELNS1_3gpuE6ELNS1_3repE0EEENS1_30default_config_static_selectorELNS0_4arch9wavefront6targetE1EEEvSR_,comdat
.Lfunc_end260:
	.size	_ZN7rocprim17ROCPRIM_400000_NS6detail17trampoline_kernelINS0_14default_configENS1_32segmented_reduce_config_selectorIN3c108BFloat16EEEZNS1_21segmented_reduce_implIS3_PKS6_PS6_PKlS6_N6hipcub16HIPCUB_304000_NS6detail27convert_result_type_wrapperISA_SB_N2at6native12_GLOBAL__N_19CustomSumEEEEE10hipError_tPvRmT0_T1_jT2_SS_T4_T3_P12ihipStream_tbEUlT_E_NS1_11comp_targetILNS1_3genE2ELNS1_11target_archE906ELNS1_3gpuE6ELNS1_3repE0EEENS1_30default_config_static_selectorELNS0_4arch9wavefront6targetE1EEEvSR_, .Lfunc_end260-_ZN7rocprim17ROCPRIM_400000_NS6detail17trampoline_kernelINS0_14default_configENS1_32segmented_reduce_config_selectorIN3c108BFloat16EEEZNS1_21segmented_reduce_implIS3_PKS6_PS6_PKlS6_N6hipcub16HIPCUB_304000_NS6detail27convert_result_type_wrapperISA_SB_N2at6native12_GLOBAL__N_19CustomSumEEEEE10hipError_tPvRmT0_T1_jT2_SS_T4_T3_P12ihipStream_tbEUlT_E_NS1_11comp_targetILNS1_3genE2ELNS1_11target_archE906ELNS1_3gpuE6ELNS1_3repE0EEENS1_30default_config_static_selectorELNS0_4arch9wavefront6targetE1EEEvSR_
                                        ; -- End function
	.set _ZN7rocprim17ROCPRIM_400000_NS6detail17trampoline_kernelINS0_14default_configENS1_32segmented_reduce_config_selectorIN3c108BFloat16EEEZNS1_21segmented_reduce_implIS3_PKS6_PS6_PKlS6_N6hipcub16HIPCUB_304000_NS6detail27convert_result_type_wrapperISA_SB_N2at6native12_GLOBAL__N_19CustomSumEEEEE10hipError_tPvRmT0_T1_jT2_SS_T4_T3_P12ihipStream_tbEUlT_E_NS1_11comp_targetILNS1_3genE2ELNS1_11target_archE906ELNS1_3gpuE6ELNS1_3repE0EEENS1_30default_config_static_selectorELNS0_4arch9wavefront6targetE1EEEvSR_.num_vgpr, 26
	.set _ZN7rocprim17ROCPRIM_400000_NS6detail17trampoline_kernelINS0_14default_configENS1_32segmented_reduce_config_selectorIN3c108BFloat16EEEZNS1_21segmented_reduce_implIS3_PKS6_PS6_PKlS6_N6hipcub16HIPCUB_304000_NS6detail27convert_result_type_wrapperISA_SB_N2at6native12_GLOBAL__N_19CustomSumEEEEE10hipError_tPvRmT0_T1_jT2_SS_T4_T3_P12ihipStream_tbEUlT_E_NS1_11comp_targetILNS1_3genE2ELNS1_11target_archE906ELNS1_3gpuE6ELNS1_3repE0EEENS1_30default_config_static_selectorELNS0_4arch9wavefront6targetE1EEEvSR_.num_agpr, 0
	.set _ZN7rocprim17ROCPRIM_400000_NS6detail17trampoline_kernelINS0_14default_configENS1_32segmented_reduce_config_selectorIN3c108BFloat16EEEZNS1_21segmented_reduce_implIS3_PKS6_PS6_PKlS6_N6hipcub16HIPCUB_304000_NS6detail27convert_result_type_wrapperISA_SB_N2at6native12_GLOBAL__N_19CustomSumEEEEE10hipError_tPvRmT0_T1_jT2_SS_T4_T3_P12ihipStream_tbEUlT_E_NS1_11comp_targetILNS1_3genE2ELNS1_11target_archE906ELNS1_3gpuE6ELNS1_3repE0EEENS1_30default_config_static_selectorELNS0_4arch9wavefront6targetE1EEEvSR_.numbered_sgpr, 50
	.set _ZN7rocprim17ROCPRIM_400000_NS6detail17trampoline_kernelINS0_14default_configENS1_32segmented_reduce_config_selectorIN3c108BFloat16EEEZNS1_21segmented_reduce_implIS3_PKS6_PS6_PKlS6_N6hipcub16HIPCUB_304000_NS6detail27convert_result_type_wrapperISA_SB_N2at6native12_GLOBAL__N_19CustomSumEEEEE10hipError_tPvRmT0_T1_jT2_SS_T4_T3_P12ihipStream_tbEUlT_E_NS1_11comp_targetILNS1_3genE2ELNS1_11target_archE906ELNS1_3gpuE6ELNS1_3repE0EEENS1_30default_config_static_selectorELNS0_4arch9wavefront6targetE1EEEvSR_.num_named_barrier, 0
	.set _ZN7rocprim17ROCPRIM_400000_NS6detail17trampoline_kernelINS0_14default_configENS1_32segmented_reduce_config_selectorIN3c108BFloat16EEEZNS1_21segmented_reduce_implIS3_PKS6_PS6_PKlS6_N6hipcub16HIPCUB_304000_NS6detail27convert_result_type_wrapperISA_SB_N2at6native12_GLOBAL__N_19CustomSumEEEEE10hipError_tPvRmT0_T1_jT2_SS_T4_T3_P12ihipStream_tbEUlT_E_NS1_11comp_targetILNS1_3genE2ELNS1_11target_archE906ELNS1_3gpuE6ELNS1_3repE0EEENS1_30default_config_static_selectorELNS0_4arch9wavefront6targetE1EEEvSR_.private_seg_size, 0
	.set _ZN7rocprim17ROCPRIM_400000_NS6detail17trampoline_kernelINS0_14default_configENS1_32segmented_reduce_config_selectorIN3c108BFloat16EEEZNS1_21segmented_reduce_implIS3_PKS6_PS6_PKlS6_N6hipcub16HIPCUB_304000_NS6detail27convert_result_type_wrapperISA_SB_N2at6native12_GLOBAL__N_19CustomSumEEEEE10hipError_tPvRmT0_T1_jT2_SS_T4_T3_P12ihipStream_tbEUlT_E_NS1_11comp_targetILNS1_3genE2ELNS1_11target_archE906ELNS1_3gpuE6ELNS1_3repE0EEENS1_30default_config_static_selectorELNS0_4arch9wavefront6targetE1EEEvSR_.uses_vcc, 1
	.set _ZN7rocprim17ROCPRIM_400000_NS6detail17trampoline_kernelINS0_14default_configENS1_32segmented_reduce_config_selectorIN3c108BFloat16EEEZNS1_21segmented_reduce_implIS3_PKS6_PS6_PKlS6_N6hipcub16HIPCUB_304000_NS6detail27convert_result_type_wrapperISA_SB_N2at6native12_GLOBAL__N_19CustomSumEEEEE10hipError_tPvRmT0_T1_jT2_SS_T4_T3_P12ihipStream_tbEUlT_E_NS1_11comp_targetILNS1_3genE2ELNS1_11target_archE906ELNS1_3gpuE6ELNS1_3repE0EEENS1_30default_config_static_selectorELNS0_4arch9wavefront6targetE1EEEvSR_.uses_flat_scratch, 0
	.set _ZN7rocprim17ROCPRIM_400000_NS6detail17trampoline_kernelINS0_14default_configENS1_32segmented_reduce_config_selectorIN3c108BFloat16EEEZNS1_21segmented_reduce_implIS3_PKS6_PS6_PKlS6_N6hipcub16HIPCUB_304000_NS6detail27convert_result_type_wrapperISA_SB_N2at6native12_GLOBAL__N_19CustomSumEEEEE10hipError_tPvRmT0_T1_jT2_SS_T4_T3_P12ihipStream_tbEUlT_E_NS1_11comp_targetILNS1_3genE2ELNS1_11target_archE906ELNS1_3gpuE6ELNS1_3repE0EEENS1_30default_config_static_selectorELNS0_4arch9wavefront6targetE1EEEvSR_.has_dyn_sized_stack, 0
	.set _ZN7rocprim17ROCPRIM_400000_NS6detail17trampoline_kernelINS0_14default_configENS1_32segmented_reduce_config_selectorIN3c108BFloat16EEEZNS1_21segmented_reduce_implIS3_PKS6_PS6_PKlS6_N6hipcub16HIPCUB_304000_NS6detail27convert_result_type_wrapperISA_SB_N2at6native12_GLOBAL__N_19CustomSumEEEEE10hipError_tPvRmT0_T1_jT2_SS_T4_T3_P12ihipStream_tbEUlT_E_NS1_11comp_targetILNS1_3genE2ELNS1_11target_archE906ELNS1_3gpuE6ELNS1_3repE0EEENS1_30default_config_static_selectorELNS0_4arch9wavefront6targetE1EEEvSR_.has_recursion, 0
	.set _ZN7rocprim17ROCPRIM_400000_NS6detail17trampoline_kernelINS0_14default_configENS1_32segmented_reduce_config_selectorIN3c108BFloat16EEEZNS1_21segmented_reduce_implIS3_PKS6_PS6_PKlS6_N6hipcub16HIPCUB_304000_NS6detail27convert_result_type_wrapperISA_SB_N2at6native12_GLOBAL__N_19CustomSumEEEEE10hipError_tPvRmT0_T1_jT2_SS_T4_T3_P12ihipStream_tbEUlT_E_NS1_11comp_targetILNS1_3genE2ELNS1_11target_archE906ELNS1_3gpuE6ELNS1_3repE0EEENS1_30default_config_static_selectorELNS0_4arch9wavefront6targetE1EEEvSR_.has_indirect_call, 0
	.section	.AMDGPU.csdata,"",@progbits
; Kernel info:
; codeLenInByte = 6428
; TotalNumSgprs: 54
; NumVgprs: 26
; ScratchSize: 0
; MemoryBound: 0
; FloatMode: 240
; IeeeMode: 1
; LDSByteSize: 8 bytes/workgroup (compile time only)
; SGPRBlocks: 6
; VGPRBlocks: 6
; NumSGPRsForWavesPerEU: 54
; NumVGPRsForWavesPerEU: 26
; Occupancy: 9
; WaveLimiterHint : 1
; COMPUTE_PGM_RSRC2:SCRATCH_EN: 0
; COMPUTE_PGM_RSRC2:USER_SGPR: 6
; COMPUTE_PGM_RSRC2:TRAP_HANDLER: 0
; COMPUTE_PGM_RSRC2:TGID_X_EN: 1
; COMPUTE_PGM_RSRC2:TGID_Y_EN: 0
; COMPUTE_PGM_RSRC2:TGID_Z_EN: 0
; COMPUTE_PGM_RSRC2:TIDIG_COMP_CNT: 0
	.section	.text._ZN7rocprim17ROCPRIM_400000_NS6detail17trampoline_kernelINS0_14default_configENS1_32segmented_reduce_config_selectorIN3c108BFloat16EEEZNS1_21segmented_reduce_implIS3_PKS6_PS6_PKlS6_N6hipcub16HIPCUB_304000_NS6detail27convert_result_type_wrapperISA_SB_N2at6native12_GLOBAL__N_19CustomSumEEEEE10hipError_tPvRmT0_T1_jT2_SS_T4_T3_P12ihipStream_tbEUlT_E_NS1_11comp_targetILNS1_3genE9ELNS1_11target_archE1100ELNS1_3gpuE3ELNS1_3repE0EEENS1_30default_config_static_selectorELNS0_4arch9wavefront6targetE1EEEvSR_,"axG",@progbits,_ZN7rocprim17ROCPRIM_400000_NS6detail17trampoline_kernelINS0_14default_configENS1_32segmented_reduce_config_selectorIN3c108BFloat16EEEZNS1_21segmented_reduce_implIS3_PKS6_PS6_PKlS6_N6hipcub16HIPCUB_304000_NS6detail27convert_result_type_wrapperISA_SB_N2at6native12_GLOBAL__N_19CustomSumEEEEE10hipError_tPvRmT0_T1_jT2_SS_T4_T3_P12ihipStream_tbEUlT_E_NS1_11comp_targetILNS1_3genE9ELNS1_11target_archE1100ELNS1_3gpuE3ELNS1_3repE0EEENS1_30default_config_static_selectorELNS0_4arch9wavefront6targetE1EEEvSR_,comdat
	.globl	_ZN7rocprim17ROCPRIM_400000_NS6detail17trampoline_kernelINS0_14default_configENS1_32segmented_reduce_config_selectorIN3c108BFloat16EEEZNS1_21segmented_reduce_implIS3_PKS6_PS6_PKlS6_N6hipcub16HIPCUB_304000_NS6detail27convert_result_type_wrapperISA_SB_N2at6native12_GLOBAL__N_19CustomSumEEEEE10hipError_tPvRmT0_T1_jT2_SS_T4_T3_P12ihipStream_tbEUlT_E_NS1_11comp_targetILNS1_3genE9ELNS1_11target_archE1100ELNS1_3gpuE3ELNS1_3repE0EEENS1_30default_config_static_selectorELNS0_4arch9wavefront6targetE1EEEvSR_ ; -- Begin function _ZN7rocprim17ROCPRIM_400000_NS6detail17trampoline_kernelINS0_14default_configENS1_32segmented_reduce_config_selectorIN3c108BFloat16EEEZNS1_21segmented_reduce_implIS3_PKS6_PS6_PKlS6_N6hipcub16HIPCUB_304000_NS6detail27convert_result_type_wrapperISA_SB_N2at6native12_GLOBAL__N_19CustomSumEEEEE10hipError_tPvRmT0_T1_jT2_SS_T4_T3_P12ihipStream_tbEUlT_E_NS1_11comp_targetILNS1_3genE9ELNS1_11target_archE1100ELNS1_3gpuE3ELNS1_3repE0EEENS1_30default_config_static_selectorELNS0_4arch9wavefront6targetE1EEEvSR_
	.p2align	8
	.type	_ZN7rocprim17ROCPRIM_400000_NS6detail17trampoline_kernelINS0_14default_configENS1_32segmented_reduce_config_selectorIN3c108BFloat16EEEZNS1_21segmented_reduce_implIS3_PKS6_PS6_PKlS6_N6hipcub16HIPCUB_304000_NS6detail27convert_result_type_wrapperISA_SB_N2at6native12_GLOBAL__N_19CustomSumEEEEE10hipError_tPvRmT0_T1_jT2_SS_T4_T3_P12ihipStream_tbEUlT_E_NS1_11comp_targetILNS1_3genE9ELNS1_11target_archE1100ELNS1_3gpuE3ELNS1_3repE0EEENS1_30default_config_static_selectorELNS0_4arch9wavefront6targetE1EEEvSR_,@function
_ZN7rocprim17ROCPRIM_400000_NS6detail17trampoline_kernelINS0_14default_configENS1_32segmented_reduce_config_selectorIN3c108BFloat16EEEZNS1_21segmented_reduce_implIS3_PKS6_PS6_PKlS6_N6hipcub16HIPCUB_304000_NS6detail27convert_result_type_wrapperISA_SB_N2at6native12_GLOBAL__N_19CustomSumEEEEE10hipError_tPvRmT0_T1_jT2_SS_T4_T3_P12ihipStream_tbEUlT_E_NS1_11comp_targetILNS1_3genE9ELNS1_11target_archE1100ELNS1_3gpuE3ELNS1_3repE0EEENS1_30default_config_static_selectorELNS0_4arch9wavefront6targetE1EEEvSR_: ; @_ZN7rocprim17ROCPRIM_400000_NS6detail17trampoline_kernelINS0_14default_configENS1_32segmented_reduce_config_selectorIN3c108BFloat16EEEZNS1_21segmented_reduce_implIS3_PKS6_PS6_PKlS6_N6hipcub16HIPCUB_304000_NS6detail27convert_result_type_wrapperISA_SB_N2at6native12_GLOBAL__N_19CustomSumEEEEE10hipError_tPvRmT0_T1_jT2_SS_T4_T3_P12ihipStream_tbEUlT_E_NS1_11comp_targetILNS1_3genE9ELNS1_11target_archE1100ELNS1_3gpuE3ELNS1_3repE0EEENS1_30default_config_static_selectorELNS0_4arch9wavefront6targetE1EEEvSR_
; %bb.0:
	.section	.rodata,"a",@progbits
	.p2align	6, 0x0
	.amdhsa_kernel _ZN7rocprim17ROCPRIM_400000_NS6detail17trampoline_kernelINS0_14default_configENS1_32segmented_reduce_config_selectorIN3c108BFloat16EEEZNS1_21segmented_reduce_implIS3_PKS6_PS6_PKlS6_N6hipcub16HIPCUB_304000_NS6detail27convert_result_type_wrapperISA_SB_N2at6native12_GLOBAL__N_19CustomSumEEEEE10hipError_tPvRmT0_T1_jT2_SS_T4_T3_P12ihipStream_tbEUlT_E_NS1_11comp_targetILNS1_3genE9ELNS1_11target_archE1100ELNS1_3gpuE3ELNS1_3repE0EEENS1_30default_config_static_selectorELNS0_4arch9wavefront6targetE1EEEvSR_
		.amdhsa_group_segment_fixed_size 0
		.amdhsa_private_segment_fixed_size 0
		.amdhsa_kernarg_size 48
		.amdhsa_user_sgpr_count 6
		.amdhsa_user_sgpr_private_segment_buffer 1
		.amdhsa_user_sgpr_dispatch_ptr 0
		.amdhsa_user_sgpr_queue_ptr 0
		.amdhsa_user_sgpr_kernarg_segment_ptr 1
		.amdhsa_user_sgpr_dispatch_id 0
		.amdhsa_user_sgpr_flat_scratch_init 0
		.amdhsa_user_sgpr_private_segment_size 0
		.amdhsa_uses_dynamic_stack 0
		.amdhsa_system_sgpr_private_segment_wavefront_offset 0
		.amdhsa_system_sgpr_workgroup_id_x 1
		.amdhsa_system_sgpr_workgroup_id_y 0
		.amdhsa_system_sgpr_workgroup_id_z 0
		.amdhsa_system_sgpr_workgroup_info 0
		.amdhsa_system_vgpr_workitem_id 0
		.amdhsa_next_free_vgpr 1
		.amdhsa_next_free_sgpr 0
		.amdhsa_reserve_vcc 0
		.amdhsa_reserve_flat_scratch 0
		.amdhsa_float_round_mode_32 0
		.amdhsa_float_round_mode_16_64 0
		.amdhsa_float_denorm_mode_32 3
		.amdhsa_float_denorm_mode_16_64 3
		.amdhsa_dx10_clamp 1
		.amdhsa_ieee_mode 1
		.amdhsa_fp16_overflow 0
		.amdhsa_exception_fp_ieee_invalid_op 0
		.amdhsa_exception_fp_denorm_src 0
		.amdhsa_exception_fp_ieee_div_zero 0
		.amdhsa_exception_fp_ieee_overflow 0
		.amdhsa_exception_fp_ieee_underflow 0
		.amdhsa_exception_fp_ieee_inexact 0
		.amdhsa_exception_int_div_zero 0
	.end_amdhsa_kernel
	.section	.text._ZN7rocprim17ROCPRIM_400000_NS6detail17trampoline_kernelINS0_14default_configENS1_32segmented_reduce_config_selectorIN3c108BFloat16EEEZNS1_21segmented_reduce_implIS3_PKS6_PS6_PKlS6_N6hipcub16HIPCUB_304000_NS6detail27convert_result_type_wrapperISA_SB_N2at6native12_GLOBAL__N_19CustomSumEEEEE10hipError_tPvRmT0_T1_jT2_SS_T4_T3_P12ihipStream_tbEUlT_E_NS1_11comp_targetILNS1_3genE9ELNS1_11target_archE1100ELNS1_3gpuE3ELNS1_3repE0EEENS1_30default_config_static_selectorELNS0_4arch9wavefront6targetE1EEEvSR_,"axG",@progbits,_ZN7rocprim17ROCPRIM_400000_NS6detail17trampoline_kernelINS0_14default_configENS1_32segmented_reduce_config_selectorIN3c108BFloat16EEEZNS1_21segmented_reduce_implIS3_PKS6_PS6_PKlS6_N6hipcub16HIPCUB_304000_NS6detail27convert_result_type_wrapperISA_SB_N2at6native12_GLOBAL__N_19CustomSumEEEEE10hipError_tPvRmT0_T1_jT2_SS_T4_T3_P12ihipStream_tbEUlT_E_NS1_11comp_targetILNS1_3genE9ELNS1_11target_archE1100ELNS1_3gpuE3ELNS1_3repE0EEENS1_30default_config_static_selectorELNS0_4arch9wavefront6targetE1EEEvSR_,comdat
.Lfunc_end261:
	.size	_ZN7rocprim17ROCPRIM_400000_NS6detail17trampoline_kernelINS0_14default_configENS1_32segmented_reduce_config_selectorIN3c108BFloat16EEEZNS1_21segmented_reduce_implIS3_PKS6_PS6_PKlS6_N6hipcub16HIPCUB_304000_NS6detail27convert_result_type_wrapperISA_SB_N2at6native12_GLOBAL__N_19CustomSumEEEEE10hipError_tPvRmT0_T1_jT2_SS_T4_T3_P12ihipStream_tbEUlT_E_NS1_11comp_targetILNS1_3genE9ELNS1_11target_archE1100ELNS1_3gpuE3ELNS1_3repE0EEENS1_30default_config_static_selectorELNS0_4arch9wavefront6targetE1EEEvSR_, .Lfunc_end261-_ZN7rocprim17ROCPRIM_400000_NS6detail17trampoline_kernelINS0_14default_configENS1_32segmented_reduce_config_selectorIN3c108BFloat16EEEZNS1_21segmented_reduce_implIS3_PKS6_PS6_PKlS6_N6hipcub16HIPCUB_304000_NS6detail27convert_result_type_wrapperISA_SB_N2at6native12_GLOBAL__N_19CustomSumEEEEE10hipError_tPvRmT0_T1_jT2_SS_T4_T3_P12ihipStream_tbEUlT_E_NS1_11comp_targetILNS1_3genE9ELNS1_11target_archE1100ELNS1_3gpuE3ELNS1_3repE0EEENS1_30default_config_static_selectorELNS0_4arch9wavefront6targetE1EEEvSR_
                                        ; -- End function
	.set _ZN7rocprim17ROCPRIM_400000_NS6detail17trampoline_kernelINS0_14default_configENS1_32segmented_reduce_config_selectorIN3c108BFloat16EEEZNS1_21segmented_reduce_implIS3_PKS6_PS6_PKlS6_N6hipcub16HIPCUB_304000_NS6detail27convert_result_type_wrapperISA_SB_N2at6native12_GLOBAL__N_19CustomSumEEEEE10hipError_tPvRmT0_T1_jT2_SS_T4_T3_P12ihipStream_tbEUlT_E_NS1_11comp_targetILNS1_3genE9ELNS1_11target_archE1100ELNS1_3gpuE3ELNS1_3repE0EEENS1_30default_config_static_selectorELNS0_4arch9wavefront6targetE1EEEvSR_.num_vgpr, 0
	.set _ZN7rocprim17ROCPRIM_400000_NS6detail17trampoline_kernelINS0_14default_configENS1_32segmented_reduce_config_selectorIN3c108BFloat16EEEZNS1_21segmented_reduce_implIS3_PKS6_PS6_PKlS6_N6hipcub16HIPCUB_304000_NS6detail27convert_result_type_wrapperISA_SB_N2at6native12_GLOBAL__N_19CustomSumEEEEE10hipError_tPvRmT0_T1_jT2_SS_T4_T3_P12ihipStream_tbEUlT_E_NS1_11comp_targetILNS1_3genE9ELNS1_11target_archE1100ELNS1_3gpuE3ELNS1_3repE0EEENS1_30default_config_static_selectorELNS0_4arch9wavefront6targetE1EEEvSR_.num_agpr, 0
	.set _ZN7rocprim17ROCPRIM_400000_NS6detail17trampoline_kernelINS0_14default_configENS1_32segmented_reduce_config_selectorIN3c108BFloat16EEEZNS1_21segmented_reduce_implIS3_PKS6_PS6_PKlS6_N6hipcub16HIPCUB_304000_NS6detail27convert_result_type_wrapperISA_SB_N2at6native12_GLOBAL__N_19CustomSumEEEEE10hipError_tPvRmT0_T1_jT2_SS_T4_T3_P12ihipStream_tbEUlT_E_NS1_11comp_targetILNS1_3genE9ELNS1_11target_archE1100ELNS1_3gpuE3ELNS1_3repE0EEENS1_30default_config_static_selectorELNS0_4arch9wavefront6targetE1EEEvSR_.numbered_sgpr, 0
	.set _ZN7rocprim17ROCPRIM_400000_NS6detail17trampoline_kernelINS0_14default_configENS1_32segmented_reduce_config_selectorIN3c108BFloat16EEEZNS1_21segmented_reduce_implIS3_PKS6_PS6_PKlS6_N6hipcub16HIPCUB_304000_NS6detail27convert_result_type_wrapperISA_SB_N2at6native12_GLOBAL__N_19CustomSumEEEEE10hipError_tPvRmT0_T1_jT2_SS_T4_T3_P12ihipStream_tbEUlT_E_NS1_11comp_targetILNS1_3genE9ELNS1_11target_archE1100ELNS1_3gpuE3ELNS1_3repE0EEENS1_30default_config_static_selectorELNS0_4arch9wavefront6targetE1EEEvSR_.num_named_barrier, 0
	.set _ZN7rocprim17ROCPRIM_400000_NS6detail17trampoline_kernelINS0_14default_configENS1_32segmented_reduce_config_selectorIN3c108BFloat16EEEZNS1_21segmented_reduce_implIS3_PKS6_PS6_PKlS6_N6hipcub16HIPCUB_304000_NS6detail27convert_result_type_wrapperISA_SB_N2at6native12_GLOBAL__N_19CustomSumEEEEE10hipError_tPvRmT0_T1_jT2_SS_T4_T3_P12ihipStream_tbEUlT_E_NS1_11comp_targetILNS1_3genE9ELNS1_11target_archE1100ELNS1_3gpuE3ELNS1_3repE0EEENS1_30default_config_static_selectorELNS0_4arch9wavefront6targetE1EEEvSR_.private_seg_size, 0
	.set _ZN7rocprim17ROCPRIM_400000_NS6detail17trampoline_kernelINS0_14default_configENS1_32segmented_reduce_config_selectorIN3c108BFloat16EEEZNS1_21segmented_reduce_implIS3_PKS6_PS6_PKlS6_N6hipcub16HIPCUB_304000_NS6detail27convert_result_type_wrapperISA_SB_N2at6native12_GLOBAL__N_19CustomSumEEEEE10hipError_tPvRmT0_T1_jT2_SS_T4_T3_P12ihipStream_tbEUlT_E_NS1_11comp_targetILNS1_3genE9ELNS1_11target_archE1100ELNS1_3gpuE3ELNS1_3repE0EEENS1_30default_config_static_selectorELNS0_4arch9wavefront6targetE1EEEvSR_.uses_vcc, 0
	.set _ZN7rocprim17ROCPRIM_400000_NS6detail17trampoline_kernelINS0_14default_configENS1_32segmented_reduce_config_selectorIN3c108BFloat16EEEZNS1_21segmented_reduce_implIS3_PKS6_PS6_PKlS6_N6hipcub16HIPCUB_304000_NS6detail27convert_result_type_wrapperISA_SB_N2at6native12_GLOBAL__N_19CustomSumEEEEE10hipError_tPvRmT0_T1_jT2_SS_T4_T3_P12ihipStream_tbEUlT_E_NS1_11comp_targetILNS1_3genE9ELNS1_11target_archE1100ELNS1_3gpuE3ELNS1_3repE0EEENS1_30default_config_static_selectorELNS0_4arch9wavefront6targetE1EEEvSR_.uses_flat_scratch, 0
	.set _ZN7rocprim17ROCPRIM_400000_NS6detail17trampoline_kernelINS0_14default_configENS1_32segmented_reduce_config_selectorIN3c108BFloat16EEEZNS1_21segmented_reduce_implIS3_PKS6_PS6_PKlS6_N6hipcub16HIPCUB_304000_NS6detail27convert_result_type_wrapperISA_SB_N2at6native12_GLOBAL__N_19CustomSumEEEEE10hipError_tPvRmT0_T1_jT2_SS_T4_T3_P12ihipStream_tbEUlT_E_NS1_11comp_targetILNS1_3genE9ELNS1_11target_archE1100ELNS1_3gpuE3ELNS1_3repE0EEENS1_30default_config_static_selectorELNS0_4arch9wavefront6targetE1EEEvSR_.has_dyn_sized_stack, 0
	.set _ZN7rocprim17ROCPRIM_400000_NS6detail17trampoline_kernelINS0_14default_configENS1_32segmented_reduce_config_selectorIN3c108BFloat16EEEZNS1_21segmented_reduce_implIS3_PKS6_PS6_PKlS6_N6hipcub16HIPCUB_304000_NS6detail27convert_result_type_wrapperISA_SB_N2at6native12_GLOBAL__N_19CustomSumEEEEE10hipError_tPvRmT0_T1_jT2_SS_T4_T3_P12ihipStream_tbEUlT_E_NS1_11comp_targetILNS1_3genE9ELNS1_11target_archE1100ELNS1_3gpuE3ELNS1_3repE0EEENS1_30default_config_static_selectorELNS0_4arch9wavefront6targetE1EEEvSR_.has_recursion, 0
	.set _ZN7rocprim17ROCPRIM_400000_NS6detail17trampoline_kernelINS0_14default_configENS1_32segmented_reduce_config_selectorIN3c108BFloat16EEEZNS1_21segmented_reduce_implIS3_PKS6_PS6_PKlS6_N6hipcub16HIPCUB_304000_NS6detail27convert_result_type_wrapperISA_SB_N2at6native12_GLOBAL__N_19CustomSumEEEEE10hipError_tPvRmT0_T1_jT2_SS_T4_T3_P12ihipStream_tbEUlT_E_NS1_11comp_targetILNS1_3genE9ELNS1_11target_archE1100ELNS1_3gpuE3ELNS1_3repE0EEENS1_30default_config_static_selectorELNS0_4arch9wavefront6targetE1EEEvSR_.has_indirect_call, 0
	.section	.AMDGPU.csdata,"",@progbits
; Kernel info:
; codeLenInByte = 0
; TotalNumSgprs: 4
; NumVgprs: 0
; ScratchSize: 0
; MemoryBound: 0
; FloatMode: 240
; IeeeMode: 1
; LDSByteSize: 0 bytes/workgroup (compile time only)
; SGPRBlocks: 0
; VGPRBlocks: 0
; NumSGPRsForWavesPerEU: 4
; NumVGPRsForWavesPerEU: 1
; Occupancy: 10
; WaveLimiterHint : 0
; COMPUTE_PGM_RSRC2:SCRATCH_EN: 0
; COMPUTE_PGM_RSRC2:USER_SGPR: 6
; COMPUTE_PGM_RSRC2:TRAP_HANDLER: 0
; COMPUTE_PGM_RSRC2:TGID_X_EN: 1
; COMPUTE_PGM_RSRC2:TGID_Y_EN: 0
; COMPUTE_PGM_RSRC2:TGID_Z_EN: 0
; COMPUTE_PGM_RSRC2:TIDIG_COMP_CNT: 0
	.section	.text._ZN7rocprim17ROCPRIM_400000_NS6detail17trampoline_kernelINS0_14default_configENS1_32segmented_reduce_config_selectorIN3c108BFloat16EEEZNS1_21segmented_reduce_implIS3_PKS6_PS6_PKlS6_N6hipcub16HIPCUB_304000_NS6detail27convert_result_type_wrapperISA_SB_N2at6native12_GLOBAL__N_19CustomSumEEEEE10hipError_tPvRmT0_T1_jT2_SS_T4_T3_P12ihipStream_tbEUlT_E_NS1_11comp_targetILNS1_3genE8ELNS1_11target_archE1030ELNS1_3gpuE2ELNS1_3repE0EEENS1_30default_config_static_selectorELNS0_4arch9wavefront6targetE1EEEvSR_,"axG",@progbits,_ZN7rocprim17ROCPRIM_400000_NS6detail17trampoline_kernelINS0_14default_configENS1_32segmented_reduce_config_selectorIN3c108BFloat16EEEZNS1_21segmented_reduce_implIS3_PKS6_PS6_PKlS6_N6hipcub16HIPCUB_304000_NS6detail27convert_result_type_wrapperISA_SB_N2at6native12_GLOBAL__N_19CustomSumEEEEE10hipError_tPvRmT0_T1_jT2_SS_T4_T3_P12ihipStream_tbEUlT_E_NS1_11comp_targetILNS1_3genE8ELNS1_11target_archE1030ELNS1_3gpuE2ELNS1_3repE0EEENS1_30default_config_static_selectorELNS0_4arch9wavefront6targetE1EEEvSR_,comdat
	.globl	_ZN7rocprim17ROCPRIM_400000_NS6detail17trampoline_kernelINS0_14default_configENS1_32segmented_reduce_config_selectorIN3c108BFloat16EEEZNS1_21segmented_reduce_implIS3_PKS6_PS6_PKlS6_N6hipcub16HIPCUB_304000_NS6detail27convert_result_type_wrapperISA_SB_N2at6native12_GLOBAL__N_19CustomSumEEEEE10hipError_tPvRmT0_T1_jT2_SS_T4_T3_P12ihipStream_tbEUlT_E_NS1_11comp_targetILNS1_3genE8ELNS1_11target_archE1030ELNS1_3gpuE2ELNS1_3repE0EEENS1_30default_config_static_selectorELNS0_4arch9wavefront6targetE1EEEvSR_ ; -- Begin function _ZN7rocprim17ROCPRIM_400000_NS6detail17trampoline_kernelINS0_14default_configENS1_32segmented_reduce_config_selectorIN3c108BFloat16EEEZNS1_21segmented_reduce_implIS3_PKS6_PS6_PKlS6_N6hipcub16HIPCUB_304000_NS6detail27convert_result_type_wrapperISA_SB_N2at6native12_GLOBAL__N_19CustomSumEEEEE10hipError_tPvRmT0_T1_jT2_SS_T4_T3_P12ihipStream_tbEUlT_E_NS1_11comp_targetILNS1_3genE8ELNS1_11target_archE1030ELNS1_3gpuE2ELNS1_3repE0EEENS1_30default_config_static_selectorELNS0_4arch9wavefront6targetE1EEEvSR_
	.p2align	8
	.type	_ZN7rocprim17ROCPRIM_400000_NS6detail17trampoline_kernelINS0_14default_configENS1_32segmented_reduce_config_selectorIN3c108BFloat16EEEZNS1_21segmented_reduce_implIS3_PKS6_PS6_PKlS6_N6hipcub16HIPCUB_304000_NS6detail27convert_result_type_wrapperISA_SB_N2at6native12_GLOBAL__N_19CustomSumEEEEE10hipError_tPvRmT0_T1_jT2_SS_T4_T3_P12ihipStream_tbEUlT_E_NS1_11comp_targetILNS1_3genE8ELNS1_11target_archE1030ELNS1_3gpuE2ELNS1_3repE0EEENS1_30default_config_static_selectorELNS0_4arch9wavefront6targetE1EEEvSR_,@function
_ZN7rocprim17ROCPRIM_400000_NS6detail17trampoline_kernelINS0_14default_configENS1_32segmented_reduce_config_selectorIN3c108BFloat16EEEZNS1_21segmented_reduce_implIS3_PKS6_PS6_PKlS6_N6hipcub16HIPCUB_304000_NS6detail27convert_result_type_wrapperISA_SB_N2at6native12_GLOBAL__N_19CustomSumEEEEE10hipError_tPvRmT0_T1_jT2_SS_T4_T3_P12ihipStream_tbEUlT_E_NS1_11comp_targetILNS1_3genE8ELNS1_11target_archE1030ELNS1_3gpuE2ELNS1_3repE0EEENS1_30default_config_static_selectorELNS0_4arch9wavefront6targetE1EEEvSR_: ; @_ZN7rocprim17ROCPRIM_400000_NS6detail17trampoline_kernelINS0_14default_configENS1_32segmented_reduce_config_selectorIN3c108BFloat16EEEZNS1_21segmented_reduce_implIS3_PKS6_PS6_PKlS6_N6hipcub16HIPCUB_304000_NS6detail27convert_result_type_wrapperISA_SB_N2at6native12_GLOBAL__N_19CustomSumEEEEE10hipError_tPvRmT0_T1_jT2_SS_T4_T3_P12ihipStream_tbEUlT_E_NS1_11comp_targetILNS1_3genE8ELNS1_11target_archE1030ELNS1_3gpuE2ELNS1_3repE0EEENS1_30default_config_static_selectorELNS0_4arch9wavefront6targetE1EEEvSR_
; %bb.0:
	.section	.rodata,"a",@progbits
	.p2align	6, 0x0
	.amdhsa_kernel _ZN7rocprim17ROCPRIM_400000_NS6detail17trampoline_kernelINS0_14default_configENS1_32segmented_reduce_config_selectorIN3c108BFloat16EEEZNS1_21segmented_reduce_implIS3_PKS6_PS6_PKlS6_N6hipcub16HIPCUB_304000_NS6detail27convert_result_type_wrapperISA_SB_N2at6native12_GLOBAL__N_19CustomSumEEEEE10hipError_tPvRmT0_T1_jT2_SS_T4_T3_P12ihipStream_tbEUlT_E_NS1_11comp_targetILNS1_3genE8ELNS1_11target_archE1030ELNS1_3gpuE2ELNS1_3repE0EEENS1_30default_config_static_selectorELNS0_4arch9wavefront6targetE1EEEvSR_
		.amdhsa_group_segment_fixed_size 0
		.amdhsa_private_segment_fixed_size 0
		.amdhsa_kernarg_size 48
		.amdhsa_user_sgpr_count 6
		.amdhsa_user_sgpr_private_segment_buffer 1
		.amdhsa_user_sgpr_dispatch_ptr 0
		.amdhsa_user_sgpr_queue_ptr 0
		.amdhsa_user_sgpr_kernarg_segment_ptr 1
		.amdhsa_user_sgpr_dispatch_id 0
		.amdhsa_user_sgpr_flat_scratch_init 0
		.amdhsa_user_sgpr_private_segment_size 0
		.amdhsa_uses_dynamic_stack 0
		.amdhsa_system_sgpr_private_segment_wavefront_offset 0
		.amdhsa_system_sgpr_workgroup_id_x 1
		.amdhsa_system_sgpr_workgroup_id_y 0
		.amdhsa_system_sgpr_workgroup_id_z 0
		.amdhsa_system_sgpr_workgroup_info 0
		.amdhsa_system_vgpr_workitem_id 0
		.amdhsa_next_free_vgpr 1
		.amdhsa_next_free_sgpr 0
		.amdhsa_reserve_vcc 0
		.amdhsa_reserve_flat_scratch 0
		.amdhsa_float_round_mode_32 0
		.amdhsa_float_round_mode_16_64 0
		.amdhsa_float_denorm_mode_32 3
		.amdhsa_float_denorm_mode_16_64 3
		.amdhsa_dx10_clamp 1
		.amdhsa_ieee_mode 1
		.amdhsa_fp16_overflow 0
		.amdhsa_exception_fp_ieee_invalid_op 0
		.amdhsa_exception_fp_denorm_src 0
		.amdhsa_exception_fp_ieee_div_zero 0
		.amdhsa_exception_fp_ieee_overflow 0
		.amdhsa_exception_fp_ieee_underflow 0
		.amdhsa_exception_fp_ieee_inexact 0
		.amdhsa_exception_int_div_zero 0
	.end_amdhsa_kernel
	.section	.text._ZN7rocprim17ROCPRIM_400000_NS6detail17trampoline_kernelINS0_14default_configENS1_32segmented_reduce_config_selectorIN3c108BFloat16EEEZNS1_21segmented_reduce_implIS3_PKS6_PS6_PKlS6_N6hipcub16HIPCUB_304000_NS6detail27convert_result_type_wrapperISA_SB_N2at6native12_GLOBAL__N_19CustomSumEEEEE10hipError_tPvRmT0_T1_jT2_SS_T4_T3_P12ihipStream_tbEUlT_E_NS1_11comp_targetILNS1_3genE8ELNS1_11target_archE1030ELNS1_3gpuE2ELNS1_3repE0EEENS1_30default_config_static_selectorELNS0_4arch9wavefront6targetE1EEEvSR_,"axG",@progbits,_ZN7rocprim17ROCPRIM_400000_NS6detail17trampoline_kernelINS0_14default_configENS1_32segmented_reduce_config_selectorIN3c108BFloat16EEEZNS1_21segmented_reduce_implIS3_PKS6_PS6_PKlS6_N6hipcub16HIPCUB_304000_NS6detail27convert_result_type_wrapperISA_SB_N2at6native12_GLOBAL__N_19CustomSumEEEEE10hipError_tPvRmT0_T1_jT2_SS_T4_T3_P12ihipStream_tbEUlT_E_NS1_11comp_targetILNS1_3genE8ELNS1_11target_archE1030ELNS1_3gpuE2ELNS1_3repE0EEENS1_30default_config_static_selectorELNS0_4arch9wavefront6targetE1EEEvSR_,comdat
.Lfunc_end262:
	.size	_ZN7rocprim17ROCPRIM_400000_NS6detail17trampoline_kernelINS0_14default_configENS1_32segmented_reduce_config_selectorIN3c108BFloat16EEEZNS1_21segmented_reduce_implIS3_PKS6_PS6_PKlS6_N6hipcub16HIPCUB_304000_NS6detail27convert_result_type_wrapperISA_SB_N2at6native12_GLOBAL__N_19CustomSumEEEEE10hipError_tPvRmT0_T1_jT2_SS_T4_T3_P12ihipStream_tbEUlT_E_NS1_11comp_targetILNS1_3genE8ELNS1_11target_archE1030ELNS1_3gpuE2ELNS1_3repE0EEENS1_30default_config_static_selectorELNS0_4arch9wavefront6targetE1EEEvSR_, .Lfunc_end262-_ZN7rocprim17ROCPRIM_400000_NS6detail17trampoline_kernelINS0_14default_configENS1_32segmented_reduce_config_selectorIN3c108BFloat16EEEZNS1_21segmented_reduce_implIS3_PKS6_PS6_PKlS6_N6hipcub16HIPCUB_304000_NS6detail27convert_result_type_wrapperISA_SB_N2at6native12_GLOBAL__N_19CustomSumEEEEE10hipError_tPvRmT0_T1_jT2_SS_T4_T3_P12ihipStream_tbEUlT_E_NS1_11comp_targetILNS1_3genE8ELNS1_11target_archE1030ELNS1_3gpuE2ELNS1_3repE0EEENS1_30default_config_static_selectorELNS0_4arch9wavefront6targetE1EEEvSR_
                                        ; -- End function
	.set _ZN7rocprim17ROCPRIM_400000_NS6detail17trampoline_kernelINS0_14default_configENS1_32segmented_reduce_config_selectorIN3c108BFloat16EEEZNS1_21segmented_reduce_implIS3_PKS6_PS6_PKlS6_N6hipcub16HIPCUB_304000_NS6detail27convert_result_type_wrapperISA_SB_N2at6native12_GLOBAL__N_19CustomSumEEEEE10hipError_tPvRmT0_T1_jT2_SS_T4_T3_P12ihipStream_tbEUlT_E_NS1_11comp_targetILNS1_3genE8ELNS1_11target_archE1030ELNS1_3gpuE2ELNS1_3repE0EEENS1_30default_config_static_selectorELNS0_4arch9wavefront6targetE1EEEvSR_.num_vgpr, 0
	.set _ZN7rocprim17ROCPRIM_400000_NS6detail17trampoline_kernelINS0_14default_configENS1_32segmented_reduce_config_selectorIN3c108BFloat16EEEZNS1_21segmented_reduce_implIS3_PKS6_PS6_PKlS6_N6hipcub16HIPCUB_304000_NS6detail27convert_result_type_wrapperISA_SB_N2at6native12_GLOBAL__N_19CustomSumEEEEE10hipError_tPvRmT0_T1_jT2_SS_T4_T3_P12ihipStream_tbEUlT_E_NS1_11comp_targetILNS1_3genE8ELNS1_11target_archE1030ELNS1_3gpuE2ELNS1_3repE0EEENS1_30default_config_static_selectorELNS0_4arch9wavefront6targetE1EEEvSR_.num_agpr, 0
	.set _ZN7rocprim17ROCPRIM_400000_NS6detail17trampoline_kernelINS0_14default_configENS1_32segmented_reduce_config_selectorIN3c108BFloat16EEEZNS1_21segmented_reduce_implIS3_PKS6_PS6_PKlS6_N6hipcub16HIPCUB_304000_NS6detail27convert_result_type_wrapperISA_SB_N2at6native12_GLOBAL__N_19CustomSumEEEEE10hipError_tPvRmT0_T1_jT2_SS_T4_T3_P12ihipStream_tbEUlT_E_NS1_11comp_targetILNS1_3genE8ELNS1_11target_archE1030ELNS1_3gpuE2ELNS1_3repE0EEENS1_30default_config_static_selectorELNS0_4arch9wavefront6targetE1EEEvSR_.numbered_sgpr, 0
	.set _ZN7rocprim17ROCPRIM_400000_NS6detail17trampoline_kernelINS0_14default_configENS1_32segmented_reduce_config_selectorIN3c108BFloat16EEEZNS1_21segmented_reduce_implIS3_PKS6_PS6_PKlS6_N6hipcub16HIPCUB_304000_NS6detail27convert_result_type_wrapperISA_SB_N2at6native12_GLOBAL__N_19CustomSumEEEEE10hipError_tPvRmT0_T1_jT2_SS_T4_T3_P12ihipStream_tbEUlT_E_NS1_11comp_targetILNS1_3genE8ELNS1_11target_archE1030ELNS1_3gpuE2ELNS1_3repE0EEENS1_30default_config_static_selectorELNS0_4arch9wavefront6targetE1EEEvSR_.num_named_barrier, 0
	.set _ZN7rocprim17ROCPRIM_400000_NS6detail17trampoline_kernelINS0_14default_configENS1_32segmented_reduce_config_selectorIN3c108BFloat16EEEZNS1_21segmented_reduce_implIS3_PKS6_PS6_PKlS6_N6hipcub16HIPCUB_304000_NS6detail27convert_result_type_wrapperISA_SB_N2at6native12_GLOBAL__N_19CustomSumEEEEE10hipError_tPvRmT0_T1_jT2_SS_T4_T3_P12ihipStream_tbEUlT_E_NS1_11comp_targetILNS1_3genE8ELNS1_11target_archE1030ELNS1_3gpuE2ELNS1_3repE0EEENS1_30default_config_static_selectorELNS0_4arch9wavefront6targetE1EEEvSR_.private_seg_size, 0
	.set _ZN7rocprim17ROCPRIM_400000_NS6detail17trampoline_kernelINS0_14default_configENS1_32segmented_reduce_config_selectorIN3c108BFloat16EEEZNS1_21segmented_reduce_implIS3_PKS6_PS6_PKlS6_N6hipcub16HIPCUB_304000_NS6detail27convert_result_type_wrapperISA_SB_N2at6native12_GLOBAL__N_19CustomSumEEEEE10hipError_tPvRmT0_T1_jT2_SS_T4_T3_P12ihipStream_tbEUlT_E_NS1_11comp_targetILNS1_3genE8ELNS1_11target_archE1030ELNS1_3gpuE2ELNS1_3repE0EEENS1_30default_config_static_selectorELNS0_4arch9wavefront6targetE1EEEvSR_.uses_vcc, 0
	.set _ZN7rocprim17ROCPRIM_400000_NS6detail17trampoline_kernelINS0_14default_configENS1_32segmented_reduce_config_selectorIN3c108BFloat16EEEZNS1_21segmented_reduce_implIS3_PKS6_PS6_PKlS6_N6hipcub16HIPCUB_304000_NS6detail27convert_result_type_wrapperISA_SB_N2at6native12_GLOBAL__N_19CustomSumEEEEE10hipError_tPvRmT0_T1_jT2_SS_T4_T3_P12ihipStream_tbEUlT_E_NS1_11comp_targetILNS1_3genE8ELNS1_11target_archE1030ELNS1_3gpuE2ELNS1_3repE0EEENS1_30default_config_static_selectorELNS0_4arch9wavefront6targetE1EEEvSR_.uses_flat_scratch, 0
	.set _ZN7rocprim17ROCPRIM_400000_NS6detail17trampoline_kernelINS0_14default_configENS1_32segmented_reduce_config_selectorIN3c108BFloat16EEEZNS1_21segmented_reduce_implIS3_PKS6_PS6_PKlS6_N6hipcub16HIPCUB_304000_NS6detail27convert_result_type_wrapperISA_SB_N2at6native12_GLOBAL__N_19CustomSumEEEEE10hipError_tPvRmT0_T1_jT2_SS_T4_T3_P12ihipStream_tbEUlT_E_NS1_11comp_targetILNS1_3genE8ELNS1_11target_archE1030ELNS1_3gpuE2ELNS1_3repE0EEENS1_30default_config_static_selectorELNS0_4arch9wavefront6targetE1EEEvSR_.has_dyn_sized_stack, 0
	.set _ZN7rocprim17ROCPRIM_400000_NS6detail17trampoline_kernelINS0_14default_configENS1_32segmented_reduce_config_selectorIN3c108BFloat16EEEZNS1_21segmented_reduce_implIS3_PKS6_PS6_PKlS6_N6hipcub16HIPCUB_304000_NS6detail27convert_result_type_wrapperISA_SB_N2at6native12_GLOBAL__N_19CustomSumEEEEE10hipError_tPvRmT0_T1_jT2_SS_T4_T3_P12ihipStream_tbEUlT_E_NS1_11comp_targetILNS1_3genE8ELNS1_11target_archE1030ELNS1_3gpuE2ELNS1_3repE0EEENS1_30default_config_static_selectorELNS0_4arch9wavefront6targetE1EEEvSR_.has_recursion, 0
	.set _ZN7rocprim17ROCPRIM_400000_NS6detail17trampoline_kernelINS0_14default_configENS1_32segmented_reduce_config_selectorIN3c108BFloat16EEEZNS1_21segmented_reduce_implIS3_PKS6_PS6_PKlS6_N6hipcub16HIPCUB_304000_NS6detail27convert_result_type_wrapperISA_SB_N2at6native12_GLOBAL__N_19CustomSumEEEEE10hipError_tPvRmT0_T1_jT2_SS_T4_T3_P12ihipStream_tbEUlT_E_NS1_11comp_targetILNS1_3genE8ELNS1_11target_archE1030ELNS1_3gpuE2ELNS1_3repE0EEENS1_30default_config_static_selectorELNS0_4arch9wavefront6targetE1EEEvSR_.has_indirect_call, 0
	.section	.AMDGPU.csdata,"",@progbits
; Kernel info:
; codeLenInByte = 0
; TotalNumSgprs: 4
; NumVgprs: 0
; ScratchSize: 0
; MemoryBound: 0
; FloatMode: 240
; IeeeMode: 1
; LDSByteSize: 0 bytes/workgroup (compile time only)
; SGPRBlocks: 0
; VGPRBlocks: 0
; NumSGPRsForWavesPerEU: 4
; NumVGPRsForWavesPerEU: 1
; Occupancy: 10
; WaveLimiterHint : 0
; COMPUTE_PGM_RSRC2:SCRATCH_EN: 0
; COMPUTE_PGM_RSRC2:USER_SGPR: 6
; COMPUTE_PGM_RSRC2:TRAP_HANDLER: 0
; COMPUTE_PGM_RSRC2:TGID_X_EN: 1
; COMPUTE_PGM_RSRC2:TGID_Y_EN: 0
; COMPUTE_PGM_RSRC2:TGID_Z_EN: 0
; COMPUTE_PGM_RSRC2:TIDIG_COMP_CNT: 0
	.section	.text._ZN2at6native12_GLOBAL__N_119post_sum_div_kernelIN3c108BFloat16ElEEvPT_PKT0_lbS5_,"axG",@progbits,_ZN2at6native12_GLOBAL__N_119post_sum_div_kernelIN3c108BFloat16ElEEvPT_PKT0_lbS5_,comdat
	.globl	_ZN2at6native12_GLOBAL__N_119post_sum_div_kernelIN3c108BFloat16ElEEvPT_PKT0_lbS5_ ; -- Begin function _ZN2at6native12_GLOBAL__N_119post_sum_div_kernelIN3c108BFloat16ElEEvPT_PKT0_lbS5_
	.p2align	8
	.type	_ZN2at6native12_GLOBAL__N_119post_sum_div_kernelIN3c108BFloat16ElEEvPT_PKT0_lbS5_,@function
_ZN2at6native12_GLOBAL__N_119post_sum_div_kernelIN3c108BFloat16ElEEvPT_PKT0_lbS5_: ; @_ZN2at6native12_GLOBAL__N_119post_sum_div_kernelIN3c108BFloat16ElEEvPT_PKT0_lbS5_
; %bb.0:
	s_load_dword s7, s[4:5], 0x2c
	s_load_dwordx2 s[2:3], s[4:5], 0x10
	s_add_u32 s0, s4, 32
	s_addc_u32 s1, s5, 0
	v_mov_b32_e32 v1, 0
	s_waitcnt lgkmcnt(0)
	s_and_b32 s7, s7, 0xffff
	v_mov_b32_e32 v2, s6
	v_mad_u64_u32 v[2:3], s[8:9], s7, v2, v[0:1]
	v_cmp_gt_i64_e32 vcc, s[2:3], v[2:3]
	s_and_saveexec_b64 s[8:9], vcc
	s_cbranch_execz .LBB263_12
; %bb.1:
	s_load_dword s6, s[4:5], 0x18
	s_load_dword s12, s[0:1], 0x0
	s_load_dwordx4 s[8:11], s[4:5], 0x0
	v_mov_b32_e32 v0, v1
	v_mov_b32_e32 v1, v2
	s_waitcnt lgkmcnt(0)
	s_and_b32 s0, 1, s6
	s_lshr_b32 s1, s6, 16
	s_mul_i32 s22, s12, s7
	s_cmp_eq_u32 s0, 1
	s_cselect_b32 s23, s1, 0x7fc0
	s_mov_b32 s24, s22
	s_mov_b64 s[4:5], 0
	v_mov_b32_e32 v8, s11
	s_movk_i32 s11, 0x7fff
	v_mov_b32_e32 v9, 0x7fc0
                                        ; implicit-def: $sgpr6_sgpr7
                                        ; implicit-def: $sgpr14_sgpr15
                                        ; implicit-def: $sgpr12_sgpr13
.LBB263_2:                              ; =>This Inner Loop Header: Depth=1
	v_ashrrev_i64 v[4:5], 29, v[0:1]
	s_or_b64 s[12:13], s[12:13], exec
	v_add_co_u32_e32 v4, vcc, s10, v4
	v_addc_co_u32_e32 v5, vcc, v8, v5, vcc
	global_load_dwordx2 v[6:7], v[4:5], off
	s_or_b64 s[14:15], s[14:15], exec
	s_waitcnt vmcnt(0)
	v_cmp_lt_i64_e32 vcc, -1, v[6:7]
	s_and_saveexec_b64 s[16:17], vcc
	s_cbranch_execz .LBB263_10
; %bb.3:                                ;   in Loop: Header=BB263_2 Depth=1
	v_ashrrev_i32_e32 v5, 31, v1
	v_mov_b32_e32 v4, v1
	v_lshlrev_b64 v[4:5], 1, v[4:5]
	v_cmp_ne_u64_e32 vcc, 0, v[6:7]
	v_mov_b32_e32 v10, s9
	v_add_co_u32_e64 v4, s[0:1], s8, v4
	v_addc_co_u32_e64 v5, s[0:1], v10, v5, s[0:1]
	s_mov_b64 s[18:19], -1
	v_mov_b32_e32 v11, s23
	s_and_saveexec_b64 s[0:1], vcc
	s_cbranch_execz .LBB263_7
; %bb.4:                                ;   in Loop: Header=BB263_2 Depth=1
	global_load_ushort v10, v[4:5], off
	s_mov_b64 s[18:19], 0
                                        ; implicit-def: $vgpr11
	s_waitcnt vmcnt(0)
	v_lshlrev_b32_e32 v10, 16, v10
	v_cmp_o_f32_e32 vcc, v10, v10
	s_and_saveexec_b64 s[20:21], vcc
	s_cbranch_execz .LBB263_6
; %bb.5:                                ;   in Loop: Header=BB263_2 Depth=1
	v_ffbh_u32_e32 v11, v7
	v_min_u32_e32 v11, 32, v11
	v_lshlrev_b64 v[6:7], v11, v[6:7]
	s_mov_b64 s[18:19], exec
	v_min_u32_e32 v6, 1, v6
	v_or_b32_e32 v6, v7, v6
	v_cvt_f32_u32_e32 v6, v6
	v_sub_u32_e32 v7, 32, v11
	v_ldexp_f32 v6, v6, v7
	v_bfe_u32 v7, v6, 16, 1
	v_add3_u32 v6, v6, v7, s11
	v_and_b32_e32 v6, 0xffff0000, v6
	v_div_scale_f32 v7, s[26:27], v6, v6, v10
	v_div_scale_f32 v11, vcc, v10, v6, v10
	v_rcp_f32_e32 v12, v7
	v_fma_f32 v13, -v7, v12, 1.0
	v_fmac_f32_e32 v12, v13, v12
	v_mul_f32_e32 v13, v11, v12
	v_fma_f32 v14, -v7, v13, v11
	v_fmac_f32_e32 v13, v14, v12
	v_fma_f32 v7, -v7, v13, v11
	v_div_fmas_f32 v7, v7, v12, v13
	v_div_fixup_f32 v6, v7, v6, v10
	v_bfe_u32 v7, v6, 16, 1
	v_cmp_o_f32_e32 vcc, v6, v6
	v_add3_u32 v6, v6, v7, s11
	v_cndmask_b32_sdwa v11, v9, v6, vcc dst_sel:DWORD dst_unused:UNUSED_PAD src0_sel:DWORD src1_sel:WORD_1
.LBB263_6:                              ;   in Loop: Header=BB263_2 Depth=1
	s_or_b64 exec, exec, s[20:21]
	s_orn2_b64 s[18:19], s[18:19], exec
.LBB263_7:                              ;   in Loop: Header=BB263_2 Depth=1
	s_or_b64 exec, exec, s[0:1]
	s_and_saveexec_b64 s[0:1], s[18:19]
	s_cbranch_execz .LBB263_9
; %bb.8:                                ;   in Loop: Header=BB263_2 Depth=1
	global_store_short v[4:5], v11, off
.LBB263_9:                              ;   in Loop: Header=BB263_2 Depth=1
	s_or_b64 exec, exec, s[0:1]
	v_add_co_u32_e32 v2, vcc, s22, v2
	v_addc_co_u32_e32 v3, vcc, 0, v3, vcc
	v_mov_b32_e32 v4, s24
	v_add_co_u32_e32 v0, vcc, 0, v0
	v_addc_co_u32_e32 v1, vcc, v1, v4, vcc
	v_cmp_le_i64_e32 vcc, s[2:3], v[2:3]
	s_andn2_b64 s[0:1], s[14:15], exec
	s_and_b64 s[14:15], vcc, exec
	s_andn2_b64 s[12:13], s[12:13], exec
	s_or_b64 s[14:15], s[0:1], s[14:15]
.LBB263_10:                             ;   in Loop: Header=BB263_2 Depth=1
	s_or_b64 exec, exec, s[16:17]
	s_and_b64 s[0:1], exec, s[14:15]
	s_or_b64 s[4:5], s[0:1], s[4:5]
	s_andn2_b64 s[0:1], s[6:7], exec
	s_and_b64 s[6:7], s[12:13], exec
	s_or_b64 s[6:7], s[0:1], s[6:7]
	s_andn2_b64 exec, exec, s[4:5]
	s_cbranch_execnz .LBB263_2
; %bb.11:
	s_or_b64 exec, exec, s[4:5]
	s_and_saveexec_b64 s[0:1], s[6:7]
	s_xor_b64 s[0:1], exec, s[0:1]
	s_cbranch_execnz .LBB263_13
.LBB263_12:
	s_endpgm
.LBB263_13:
	s_trap 2
	; divergent unreachable
	s_endpgm
	.section	.rodata,"a",@progbits
	.p2align	6, 0x0
	.amdhsa_kernel _ZN2at6native12_GLOBAL__N_119post_sum_div_kernelIN3c108BFloat16ElEEvPT_PKT0_lbS5_
		.amdhsa_group_segment_fixed_size 0
		.amdhsa_private_segment_fixed_size 0
		.amdhsa_kernarg_size 288
		.amdhsa_user_sgpr_count 6
		.amdhsa_user_sgpr_private_segment_buffer 1
		.amdhsa_user_sgpr_dispatch_ptr 0
		.amdhsa_user_sgpr_queue_ptr 0
		.amdhsa_user_sgpr_kernarg_segment_ptr 1
		.amdhsa_user_sgpr_dispatch_id 0
		.amdhsa_user_sgpr_flat_scratch_init 0
		.amdhsa_user_sgpr_private_segment_size 0
		.amdhsa_uses_dynamic_stack 0
		.amdhsa_system_sgpr_private_segment_wavefront_offset 0
		.amdhsa_system_sgpr_workgroup_id_x 1
		.amdhsa_system_sgpr_workgroup_id_y 0
		.amdhsa_system_sgpr_workgroup_id_z 0
		.amdhsa_system_sgpr_workgroup_info 0
		.amdhsa_system_vgpr_workitem_id 0
		.amdhsa_next_free_vgpr 15
		.amdhsa_next_free_sgpr 28
		.amdhsa_reserve_vcc 1
		.amdhsa_reserve_flat_scratch 0
		.amdhsa_float_round_mode_32 0
		.amdhsa_float_round_mode_16_64 0
		.amdhsa_float_denorm_mode_32 3
		.amdhsa_float_denorm_mode_16_64 3
		.amdhsa_dx10_clamp 1
		.amdhsa_ieee_mode 1
		.amdhsa_fp16_overflow 0
		.amdhsa_exception_fp_ieee_invalid_op 0
		.amdhsa_exception_fp_denorm_src 0
		.amdhsa_exception_fp_ieee_div_zero 0
		.amdhsa_exception_fp_ieee_overflow 0
		.amdhsa_exception_fp_ieee_underflow 0
		.amdhsa_exception_fp_ieee_inexact 0
		.amdhsa_exception_int_div_zero 0
	.end_amdhsa_kernel
	.section	.text._ZN2at6native12_GLOBAL__N_119post_sum_div_kernelIN3c108BFloat16ElEEvPT_PKT0_lbS5_,"axG",@progbits,_ZN2at6native12_GLOBAL__N_119post_sum_div_kernelIN3c108BFloat16ElEEvPT_PKT0_lbS5_,comdat
.Lfunc_end263:
	.size	_ZN2at6native12_GLOBAL__N_119post_sum_div_kernelIN3c108BFloat16ElEEvPT_PKT0_lbS5_, .Lfunc_end263-_ZN2at6native12_GLOBAL__N_119post_sum_div_kernelIN3c108BFloat16ElEEvPT_PKT0_lbS5_
                                        ; -- End function
	.set _ZN2at6native12_GLOBAL__N_119post_sum_div_kernelIN3c108BFloat16ElEEvPT_PKT0_lbS5_.num_vgpr, 15
	.set _ZN2at6native12_GLOBAL__N_119post_sum_div_kernelIN3c108BFloat16ElEEvPT_PKT0_lbS5_.num_agpr, 0
	.set _ZN2at6native12_GLOBAL__N_119post_sum_div_kernelIN3c108BFloat16ElEEvPT_PKT0_lbS5_.numbered_sgpr, 28
	.set _ZN2at6native12_GLOBAL__N_119post_sum_div_kernelIN3c108BFloat16ElEEvPT_PKT0_lbS5_.num_named_barrier, 0
	.set _ZN2at6native12_GLOBAL__N_119post_sum_div_kernelIN3c108BFloat16ElEEvPT_PKT0_lbS5_.private_seg_size, 0
	.set _ZN2at6native12_GLOBAL__N_119post_sum_div_kernelIN3c108BFloat16ElEEvPT_PKT0_lbS5_.uses_vcc, 1
	.set _ZN2at6native12_GLOBAL__N_119post_sum_div_kernelIN3c108BFloat16ElEEvPT_PKT0_lbS5_.uses_flat_scratch, 0
	.set _ZN2at6native12_GLOBAL__N_119post_sum_div_kernelIN3c108BFloat16ElEEvPT_PKT0_lbS5_.has_dyn_sized_stack, 0
	.set _ZN2at6native12_GLOBAL__N_119post_sum_div_kernelIN3c108BFloat16ElEEvPT_PKT0_lbS5_.has_recursion, 0
	.set _ZN2at6native12_GLOBAL__N_119post_sum_div_kernelIN3c108BFloat16ElEEvPT_PKT0_lbS5_.has_indirect_call, 0
	.section	.AMDGPU.csdata,"",@progbits
; Kernel info:
; codeLenInByte = 584
; TotalNumSgprs: 32
; NumVgprs: 15
; ScratchSize: 0
; MemoryBound: 0
; FloatMode: 240
; IeeeMode: 1
; LDSByteSize: 0 bytes/workgroup (compile time only)
; SGPRBlocks: 3
; VGPRBlocks: 3
; NumSGPRsForWavesPerEU: 32
; NumVGPRsForWavesPerEU: 15
; Occupancy: 10
; WaveLimiterHint : 0
; COMPUTE_PGM_RSRC2:SCRATCH_EN: 0
; COMPUTE_PGM_RSRC2:USER_SGPR: 6
; COMPUTE_PGM_RSRC2:TRAP_HANDLER: 0
; COMPUTE_PGM_RSRC2:TGID_X_EN: 1
; COMPUTE_PGM_RSRC2:TGID_Y_EN: 0
; COMPUTE_PGM_RSRC2:TGID_Z_EN: 0
; COMPUTE_PGM_RSRC2:TIDIG_COMP_CNT: 0
	.section	.text._ZN7rocprim17ROCPRIM_400000_NS6detail17trampoline_kernelINS0_14default_configENS1_32segmented_reduce_config_selectorIN3c108BFloat16EEEZNS1_21segmented_reduce_implIS3_PKS6_PS6_PKlS6_N6hipcub16HIPCUB_304000_NS6detail27convert_result_type_wrapperISA_SB_N2at6native12_GLOBAL__N_19CustomMinEEEEE10hipError_tPvRmT0_T1_jT2_SS_T4_T3_P12ihipStream_tbEUlT_E_NS1_11comp_targetILNS1_3genE0ELNS1_11target_archE4294967295ELNS1_3gpuE0ELNS1_3repE0EEENS1_30default_config_static_selectorELNS0_4arch9wavefront6targetE1EEEvSR_,"axG",@progbits,_ZN7rocprim17ROCPRIM_400000_NS6detail17trampoline_kernelINS0_14default_configENS1_32segmented_reduce_config_selectorIN3c108BFloat16EEEZNS1_21segmented_reduce_implIS3_PKS6_PS6_PKlS6_N6hipcub16HIPCUB_304000_NS6detail27convert_result_type_wrapperISA_SB_N2at6native12_GLOBAL__N_19CustomMinEEEEE10hipError_tPvRmT0_T1_jT2_SS_T4_T3_P12ihipStream_tbEUlT_E_NS1_11comp_targetILNS1_3genE0ELNS1_11target_archE4294967295ELNS1_3gpuE0ELNS1_3repE0EEENS1_30default_config_static_selectorELNS0_4arch9wavefront6targetE1EEEvSR_,comdat
	.globl	_ZN7rocprim17ROCPRIM_400000_NS6detail17trampoline_kernelINS0_14default_configENS1_32segmented_reduce_config_selectorIN3c108BFloat16EEEZNS1_21segmented_reduce_implIS3_PKS6_PS6_PKlS6_N6hipcub16HIPCUB_304000_NS6detail27convert_result_type_wrapperISA_SB_N2at6native12_GLOBAL__N_19CustomMinEEEEE10hipError_tPvRmT0_T1_jT2_SS_T4_T3_P12ihipStream_tbEUlT_E_NS1_11comp_targetILNS1_3genE0ELNS1_11target_archE4294967295ELNS1_3gpuE0ELNS1_3repE0EEENS1_30default_config_static_selectorELNS0_4arch9wavefront6targetE1EEEvSR_ ; -- Begin function _ZN7rocprim17ROCPRIM_400000_NS6detail17trampoline_kernelINS0_14default_configENS1_32segmented_reduce_config_selectorIN3c108BFloat16EEEZNS1_21segmented_reduce_implIS3_PKS6_PS6_PKlS6_N6hipcub16HIPCUB_304000_NS6detail27convert_result_type_wrapperISA_SB_N2at6native12_GLOBAL__N_19CustomMinEEEEE10hipError_tPvRmT0_T1_jT2_SS_T4_T3_P12ihipStream_tbEUlT_E_NS1_11comp_targetILNS1_3genE0ELNS1_11target_archE4294967295ELNS1_3gpuE0ELNS1_3repE0EEENS1_30default_config_static_selectorELNS0_4arch9wavefront6targetE1EEEvSR_
	.p2align	8
	.type	_ZN7rocprim17ROCPRIM_400000_NS6detail17trampoline_kernelINS0_14default_configENS1_32segmented_reduce_config_selectorIN3c108BFloat16EEEZNS1_21segmented_reduce_implIS3_PKS6_PS6_PKlS6_N6hipcub16HIPCUB_304000_NS6detail27convert_result_type_wrapperISA_SB_N2at6native12_GLOBAL__N_19CustomMinEEEEE10hipError_tPvRmT0_T1_jT2_SS_T4_T3_P12ihipStream_tbEUlT_E_NS1_11comp_targetILNS1_3genE0ELNS1_11target_archE4294967295ELNS1_3gpuE0ELNS1_3repE0EEENS1_30default_config_static_selectorELNS0_4arch9wavefront6targetE1EEEvSR_,@function
_ZN7rocprim17ROCPRIM_400000_NS6detail17trampoline_kernelINS0_14default_configENS1_32segmented_reduce_config_selectorIN3c108BFloat16EEEZNS1_21segmented_reduce_implIS3_PKS6_PS6_PKlS6_N6hipcub16HIPCUB_304000_NS6detail27convert_result_type_wrapperISA_SB_N2at6native12_GLOBAL__N_19CustomMinEEEEE10hipError_tPvRmT0_T1_jT2_SS_T4_T3_P12ihipStream_tbEUlT_E_NS1_11comp_targetILNS1_3genE0ELNS1_11target_archE4294967295ELNS1_3gpuE0ELNS1_3repE0EEENS1_30default_config_static_selectorELNS0_4arch9wavefront6targetE1EEEvSR_: ; @_ZN7rocprim17ROCPRIM_400000_NS6detail17trampoline_kernelINS0_14default_configENS1_32segmented_reduce_config_selectorIN3c108BFloat16EEEZNS1_21segmented_reduce_implIS3_PKS6_PS6_PKlS6_N6hipcub16HIPCUB_304000_NS6detail27convert_result_type_wrapperISA_SB_N2at6native12_GLOBAL__N_19CustomMinEEEEE10hipError_tPvRmT0_T1_jT2_SS_T4_T3_P12ihipStream_tbEUlT_E_NS1_11comp_targetILNS1_3genE0ELNS1_11target_archE4294967295ELNS1_3gpuE0ELNS1_3repE0EEENS1_30default_config_static_selectorELNS0_4arch9wavefront6targetE1EEEvSR_
; %bb.0:
	.section	.rodata,"a",@progbits
	.p2align	6, 0x0
	.amdhsa_kernel _ZN7rocprim17ROCPRIM_400000_NS6detail17trampoline_kernelINS0_14default_configENS1_32segmented_reduce_config_selectorIN3c108BFloat16EEEZNS1_21segmented_reduce_implIS3_PKS6_PS6_PKlS6_N6hipcub16HIPCUB_304000_NS6detail27convert_result_type_wrapperISA_SB_N2at6native12_GLOBAL__N_19CustomMinEEEEE10hipError_tPvRmT0_T1_jT2_SS_T4_T3_P12ihipStream_tbEUlT_E_NS1_11comp_targetILNS1_3genE0ELNS1_11target_archE4294967295ELNS1_3gpuE0ELNS1_3repE0EEENS1_30default_config_static_selectorELNS0_4arch9wavefront6targetE1EEEvSR_
		.amdhsa_group_segment_fixed_size 0
		.amdhsa_private_segment_fixed_size 0
		.amdhsa_kernarg_size 48
		.amdhsa_user_sgpr_count 6
		.amdhsa_user_sgpr_private_segment_buffer 1
		.amdhsa_user_sgpr_dispatch_ptr 0
		.amdhsa_user_sgpr_queue_ptr 0
		.amdhsa_user_sgpr_kernarg_segment_ptr 1
		.amdhsa_user_sgpr_dispatch_id 0
		.amdhsa_user_sgpr_flat_scratch_init 0
		.amdhsa_user_sgpr_private_segment_size 0
		.amdhsa_uses_dynamic_stack 0
		.amdhsa_system_sgpr_private_segment_wavefront_offset 0
		.amdhsa_system_sgpr_workgroup_id_x 1
		.amdhsa_system_sgpr_workgroup_id_y 0
		.amdhsa_system_sgpr_workgroup_id_z 0
		.amdhsa_system_sgpr_workgroup_info 0
		.amdhsa_system_vgpr_workitem_id 0
		.amdhsa_next_free_vgpr 1
		.amdhsa_next_free_sgpr 0
		.amdhsa_reserve_vcc 0
		.amdhsa_reserve_flat_scratch 0
		.amdhsa_float_round_mode_32 0
		.amdhsa_float_round_mode_16_64 0
		.amdhsa_float_denorm_mode_32 3
		.amdhsa_float_denorm_mode_16_64 3
		.amdhsa_dx10_clamp 1
		.amdhsa_ieee_mode 1
		.amdhsa_fp16_overflow 0
		.amdhsa_exception_fp_ieee_invalid_op 0
		.amdhsa_exception_fp_denorm_src 0
		.amdhsa_exception_fp_ieee_div_zero 0
		.amdhsa_exception_fp_ieee_overflow 0
		.amdhsa_exception_fp_ieee_underflow 0
		.amdhsa_exception_fp_ieee_inexact 0
		.amdhsa_exception_int_div_zero 0
	.end_amdhsa_kernel
	.section	.text._ZN7rocprim17ROCPRIM_400000_NS6detail17trampoline_kernelINS0_14default_configENS1_32segmented_reduce_config_selectorIN3c108BFloat16EEEZNS1_21segmented_reduce_implIS3_PKS6_PS6_PKlS6_N6hipcub16HIPCUB_304000_NS6detail27convert_result_type_wrapperISA_SB_N2at6native12_GLOBAL__N_19CustomMinEEEEE10hipError_tPvRmT0_T1_jT2_SS_T4_T3_P12ihipStream_tbEUlT_E_NS1_11comp_targetILNS1_3genE0ELNS1_11target_archE4294967295ELNS1_3gpuE0ELNS1_3repE0EEENS1_30default_config_static_selectorELNS0_4arch9wavefront6targetE1EEEvSR_,"axG",@progbits,_ZN7rocprim17ROCPRIM_400000_NS6detail17trampoline_kernelINS0_14default_configENS1_32segmented_reduce_config_selectorIN3c108BFloat16EEEZNS1_21segmented_reduce_implIS3_PKS6_PS6_PKlS6_N6hipcub16HIPCUB_304000_NS6detail27convert_result_type_wrapperISA_SB_N2at6native12_GLOBAL__N_19CustomMinEEEEE10hipError_tPvRmT0_T1_jT2_SS_T4_T3_P12ihipStream_tbEUlT_E_NS1_11comp_targetILNS1_3genE0ELNS1_11target_archE4294967295ELNS1_3gpuE0ELNS1_3repE0EEENS1_30default_config_static_selectorELNS0_4arch9wavefront6targetE1EEEvSR_,comdat
.Lfunc_end264:
	.size	_ZN7rocprim17ROCPRIM_400000_NS6detail17trampoline_kernelINS0_14default_configENS1_32segmented_reduce_config_selectorIN3c108BFloat16EEEZNS1_21segmented_reduce_implIS3_PKS6_PS6_PKlS6_N6hipcub16HIPCUB_304000_NS6detail27convert_result_type_wrapperISA_SB_N2at6native12_GLOBAL__N_19CustomMinEEEEE10hipError_tPvRmT0_T1_jT2_SS_T4_T3_P12ihipStream_tbEUlT_E_NS1_11comp_targetILNS1_3genE0ELNS1_11target_archE4294967295ELNS1_3gpuE0ELNS1_3repE0EEENS1_30default_config_static_selectorELNS0_4arch9wavefront6targetE1EEEvSR_, .Lfunc_end264-_ZN7rocprim17ROCPRIM_400000_NS6detail17trampoline_kernelINS0_14default_configENS1_32segmented_reduce_config_selectorIN3c108BFloat16EEEZNS1_21segmented_reduce_implIS3_PKS6_PS6_PKlS6_N6hipcub16HIPCUB_304000_NS6detail27convert_result_type_wrapperISA_SB_N2at6native12_GLOBAL__N_19CustomMinEEEEE10hipError_tPvRmT0_T1_jT2_SS_T4_T3_P12ihipStream_tbEUlT_E_NS1_11comp_targetILNS1_3genE0ELNS1_11target_archE4294967295ELNS1_3gpuE0ELNS1_3repE0EEENS1_30default_config_static_selectorELNS0_4arch9wavefront6targetE1EEEvSR_
                                        ; -- End function
	.set _ZN7rocprim17ROCPRIM_400000_NS6detail17trampoline_kernelINS0_14default_configENS1_32segmented_reduce_config_selectorIN3c108BFloat16EEEZNS1_21segmented_reduce_implIS3_PKS6_PS6_PKlS6_N6hipcub16HIPCUB_304000_NS6detail27convert_result_type_wrapperISA_SB_N2at6native12_GLOBAL__N_19CustomMinEEEEE10hipError_tPvRmT0_T1_jT2_SS_T4_T3_P12ihipStream_tbEUlT_E_NS1_11comp_targetILNS1_3genE0ELNS1_11target_archE4294967295ELNS1_3gpuE0ELNS1_3repE0EEENS1_30default_config_static_selectorELNS0_4arch9wavefront6targetE1EEEvSR_.num_vgpr, 0
	.set _ZN7rocprim17ROCPRIM_400000_NS6detail17trampoline_kernelINS0_14default_configENS1_32segmented_reduce_config_selectorIN3c108BFloat16EEEZNS1_21segmented_reduce_implIS3_PKS6_PS6_PKlS6_N6hipcub16HIPCUB_304000_NS6detail27convert_result_type_wrapperISA_SB_N2at6native12_GLOBAL__N_19CustomMinEEEEE10hipError_tPvRmT0_T1_jT2_SS_T4_T3_P12ihipStream_tbEUlT_E_NS1_11comp_targetILNS1_3genE0ELNS1_11target_archE4294967295ELNS1_3gpuE0ELNS1_3repE0EEENS1_30default_config_static_selectorELNS0_4arch9wavefront6targetE1EEEvSR_.num_agpr, 0
	.set _ZN7rocprim17ROCPRIM_400000_NS6detail17trampoline_kernelINS0_14default_configENS1_32segmented_reduce_config_selectorIN3c108BFloat16EEEZNS1_21segmented_reduce_implIS3_PKS6_PS6_PKlS6_N6hipcub16HIPCUB_304000_NS6detail27convert_result_type_wrapperISA_SB_N2at6native12_GLOBAL__N_19CustomMinEEEEE10hipError_tPvRmT0_T1_jT2_SS_T4_T3_P12ihipStream_tbEUlT_E_NS1_11comp_targetILNS1_3genE0ELNS1_11target_archE4294967295ELNS1_3gpuE0ELNS1_3repE0EEENS1_30default_config_static_selectorELNS0_4arch9wavefront6targetE1EEEvSR_.numbered_sgpr, 0
	.set _ZN7rocprim17ROCPRIM_400000_NS6detail17trampoline_kernelINS0_14default_configENS1_32segmented_reduce_config_selectorIN3c108BFloat16EEEZNS1_21segmented_reduce_implIS3_PKS6_PS6_PKlS6_N6hipcub16HIPCUB_304000_NS6detail27convert_result_type_wrapperISA_SB_N2at6native12_GLOBAL__N_19CustomMinEEEEE10hipError_tPvRmT0_T1_jT2_SS_T4_T3_P12ihipStream_tbEUlT_E_NS1_11comp_targetILNS1_3genE0ELNS1_11target_archE4294967295ELNS1_3gpuE0ELNS1_3repE0EEENS1_30default_config_static_selectorELNS0_4arch9wavefront6targetE1EEEvSR_.num_named_barrier, 0
	.set _ZN7rocprim17ROCPRIM_400000_NS6detail17trampoline_kernelINS0_14default_configENS1_32segmented_reduce_config_selectorIN3c108BFloat16EEEZNS1_21segmented_reduce_implIS3_PKS6_PS6_PKlS6_N6hipcub16HIPCUB_304000_NS6detail27convert_result_type_wrapperISA_SB_N2at6native12_GLOBAL__N_19CustomMinEEEEE10hipError_tPvRmT0_T1_jT2_SS_T4_T3_P12ihipStream_tbEUlT_E_NS1_11comp_targetILNS1_3genE0ELNS1_11target_archE4294967295ELNS1_3gpuE0ELNS1_3repE0EEENS1_30default_config_static_selectorELNS0_4arch9wavefront6targetE1EEEvSR_.private_seg_size, 0
	.set _ZN7rocprim17ROCPRIM_400000_NS6detail17trampoline_kernelINS0_14default_configENS1_32segmented_reduce_config_selectorIN3c108BFloat16EEEZNS1_21segmented_reduce_implIS3_PKS6_PS6_PKlS6_N6hipcub16HIPCUB_304000_NS6detail27convert_result_type_wrapperISA_SB_N2at6native12_GLOBAL__N_19CustomMinEEEEE10hipError_tPvRmT0_T1_jT2_SS_T4_T3_P12ihipStream_tbEUlT_E_NS1_11comp_targetILNS1_3genE0ELNS1_11target_archE4294967295ELNS1_3gpuE0ELNS1_3repE0EEENS1_30default_config_static_selectorELNS0_4arch9wavefront6targetE1EEEvSR_.uses_vcc, 0
	.set _ZN7rocprim17ROCPRIM_400000_NS6detail17trampoline_kernelINS0_14default_configENS1_32segmented_reduce_config_selectorIN3c108BFloat16EEEZNS1_21segmented_reduce_implIS3_PKS6_PS6_PKlS6_N6hipcub16HIPCUB_304000_NS6detail27convert_result_type_wrapperISA_SB_N2at6native12_GLOBAL__N_19CustomMinEEEEE10hipError_tPvRmT0_T1_jT2_SS_T4_T3_P12ihipStream_tbEUlT_E_NS1_11comp_targetILNS1_3genE0ELNS1_11target_archE4294967295ELNS1_3gpuE0ELNS1_3repE0EEENS1_30default_config_static_selectorELNS0_4arch9wavefront6targetE1EEEvSR_.uses_flat_scratch, 0
	.set _ZN7rocprim17ROCPRIM_400000_NS6detail17trampoline_kernelINS0_14default_configENS1_32segmented_reduce_config_selectorIN3c108BFloat16EEEZNS1_21segmented_reduce_implIS3_PKS6_PS6_PKlS6_N6hipcub16HIPCUB_304000_NS6detail27convert_result_type_wrapperISA_SB_N2at6native12_GLOBAL__N_19CustomMinEEEEE10hipError_tPvRmT0_T1_jT2_SS_T4_T3_P12ihipStream_tbEUlT_E_NS1_11comp_targetILNS1_3genE0ELNS1_11target_archE4294967295ELNS1_3gpuE0ELNS1_3repE0EEENS1_30default_config_static_selectorELNS0_4arch9wavefront6targetE1EEEvSR_.has_dyn_sized_stack, 0
	.set _ZN7rocprim17ROCPRIM_400000_NS6detail17trampoline_kernelINS0_14default_configENS1_32segmented_reduce_config_selectorIN3c108BFloat16EEEZNS1_21segmented_reduce_implIS3_PKS6_PS6_PKlS6_N6hipcub16HIPCUB_304000_NS6detail27convert_result_type_wrapperISA_SB_N2at6native12_GLOBAL__N_19CustomMinEEEEE10hipError_tPvRmT0_T1_jT2_SS_T4_T3_P12ihipStream_tbEUlT_E_NS1_11comp_targetILNS1_3genE0ELNS1_11target_archE4294967295ELNS1_3gpuE0ELNS1_3repE0EEENS1_30default_config_static_selectorELNS0_4arch9wavefront6targetE1EEEvSR_.has_recursion, 0
	.set _ZN7rocprim17ROCPRIM_400000_NS6detail17trampoline_kernelINS0_14default_configENS1_32segmented_reduce_config_selectorIN3c108BFloat16EEEZNS1_21segmented_reduce_implIS3_PKS6_PS6_PKlS6_N6hipcub16HIPCUB_304000_NS6detail27convert_result_type_wrapperISA_SB_N2at6native12_GLOBAL__N_19CustomMinEEEEE10hipError_tPvRmT0_T1_jT2_SS_T4_T3_P12ihipStream_tbEUlT_E_NS1_11comp_targetILNS1_3genE0ELNS1_11target_archE4294967295ELNS1_3gpuE0ELNS1_3repE0EEENS1_30default_config_static_selectorELNS0_4arch9wavefront6targetE1EEEvSR_.has_indirect_call, 0
	.section	.AMDGPU.csdata,"",@progbits
; Kernel info:
; codeLenInByte = 0
; TotalNumSgprs: 4
; NumVgprs: 0
; ScratchSize: 0
; MemoryBound: 0
; FloatMode: 240
; IeeeMode: 1
; LDSByteSize: 0 bytes/workgroup (compile time only)
; SGPRBlocks: 0
; VGPRBlocks: 0
; NumSGPRsForWavesPerEU: 4
; NumVGPRsForWavesPerEU: 1
; Occupancy: 10
; WaveLimiterHint : 0
; COMPUTE_PGM_RSRC2:SCRATCH_EN: 0
; COMPUTE_PGM_RSRC2:USER_SGPR: 6
; COMPUTE_PGM_RSRC2:TRAP_HANDLER: 0
; COMPUTE_PGM_RSRC2:TGID_X_EN: 1
; COMPUTE_PGM_RSRC2:TGID_Y_EN: 0
; COMPUTE_PGM_RSRC2:TGID_Z_EN: 0
; COMPUTE_PGM_RSRC2:TIDIG_COMP_CNT: 0
	.section	.text._ZN7rocprim17ROCPRIM_400000_NS6detail17trampoline_kernelINS0_14default_configENS1_32segmented_reduce_config_selectorIN3c108BFloat16EEEZNS1_21segmented_reduce_implIS3_PKS6_PS6_PKlS6_N6hipcub16HIPCUB_304000_NS6detail27convert_result_type_wrapperISA_SB_N2at6native12_GLOBAL__N_19CustomMinEEEEE10hipError_tPvRmT0_T1_jT2_SS_T4_T3_P12ihipStream_tbEUlT_E_NS1_11comp_targetILNS1_3genE5ELNS1_11target_archE942ELNS1_3gpuE9ELNS1_3repE0EEENS1_30default_config_static_selectorELNS0_4arch9wavefront6targetE1EEEvSR_,"axG",@progbits,_ZN7rocprim17ROCPRIM_400000_NS6detail17trampoline_kernelINS0_14default_configENS1_32segmented_reduce_config_selectorIN3c108BFloat16EEEZNS1_21segmented_reduce_implIS3_PKS6_PS6_PKlS6_N6hipcub16HIPCUB_304000_NS6detail27convert_result_type_wrapperISA_SB_N2at6native12_GLOBAL__N_19CustomMinEEEEE10hipError_tPvRmT0_T1_jT2_SS_T4_T3_P12ihipStream_tbEUlT_E_NS1_11comp_targetILNS1_3genE5ELNS1_11target_archE942ELNS1_3gpuE9ELNS1_3repE0EEENS1_30default_config_static_selectorELNS0_4arch9wavefront6targetE1EEEvSR_,comdat
	.globl	_ZN7rocprim17ROCPRIM_400000_NS6detail17trampoline_kernelINS0_14default_configENS1_32segmented_reduce_config_selectorIN3c108BFloat16EEEZNS1_21segmented_reduce_implIS3_PKS6_PS6_PKlS6_N6hipcub16HIPCUB_304000_NS6detail27convert_result_type_wrapperISA_SB_N2at6native12_GLOBAL__N_19CustomMinEEEEE10hipError_tPvRmT0_T1_jT2_SS_T4_T3_P12ihipStream_tbEUlT_E_NS1_11comp_targetILNS1_3genE5ELNS1_11target_archE942ELNS1_3gpuE9ELNS1_3repE0EEENS1_30default_config_static_selectorELNS0_4arch9wavefront6targetE1EEEvSR_ ; -- Begin function _ZN7rocprim17ROCPRIM_400000_NS6detail17trampoline_kernelINS0_14default_configENS1_32segmented_reduce_config_selectorIN3c108BFloat16EEEZNS1_21segmented_reduce_implIS3_PKS6_PS6_PKlS6_N6hipcub16HIPCUB_304000_NS6detail27convert_result_type_wrapperISA_SB_N2at6native12_GLOBAL__N_19CustomMinEEEEE10hipError_tPvRmT0_T1_jT2_SS_T4_T3_P12ihipStream_tbEUlT_E_NS1_11comp_targetILNS1_3genE5ELNS1_11target_archE942ELNS1_3gpuE9ELNS1_3repE0EEENS1_30default_config_static_selectorELNS0_4arch9wavefront6targetE1EEEvSR_
	.p2align	8
	.type	_ZN7rocprim17ROCPRIM_400000_NS6detail17trampoline_kernelINS0_14default_configENS1_32segmented_reduce_config_selectorIN3c108BFloat16EEEZNS1_21segmented_reduce_implIS3_PKS6_PS6_PKlS6_N6hipcub16HIPCUB_304000_NS6detail27convert_result_type_wrapperISA_SB_N2at6native12_GLOBAL__N_19CustomMinEEEEE10hipError_tPvRmT0_T1_jT2_SS_T4_T3_P12ihipStream_tbEUlT_E_NS1_11comp_targetILNS1_3genE5ELNS1_11target_archE942ELNS1_3gpuE9ELNS1_3repE0EEENS1_30default_config_static_selectorELNS0_4arch9wavefront6targetE1EEEvSR_,@function
_ZN7rocprim17ROCPRIM_400000_NS6detail17trampoline_kernelINS0_14default_configENS1_32segmented_reduce_config_selectorIN3c108BFloat16EEEZNS1_21segmented_reduce_implIS3_PKS6_PS6_PKlS6_N6hipcub16HIPCUB_304000_NS6detail27convert_result_type_wrapperISA_SB_N2at6native12_GLOBAL__N_19CustomMinEEEEE10hipError_tPvRmT0_T1_jT2_SS_T4_T3_P12ihipStream_tbEUlT_E_NS1_11comp_targetILNS1_3genE5ELNS1_11target_archE942ELNS1_3gpuE9ELNS1_3repE0EEENS1_30default_config_static_selectorELNS0_4arch9wavefront6targetE1EEEvSR_: ; @_ZN7rocprim17ROCPRIM_400000_NS6detail17trampoline_kernelINS0_14default_configENS1_32segmented_reduce_config_selectorIN3c108BFloat16EEEZNS1_21segmented_reduce_implIS3_PKS6_PS6_PKlS6_N6hipcub16HIPCUB_304000_NS6detail27convert_result_type_wrapperISA_SB_N2at6native12_GLOBAL__N_19CustomMinEEEEE10hipError_tPvRmT0_T1_jT2_SS_T4_T3_P12ihipStream_tbEUlT_E_NS1_11comp_targetILNS1_3genE5ELNS1_11target_archE942ELNS1_3gpuE9ELNS1_3repE0EEENS1_30default_config_static_selectorELNS0_4arch9wavefront6targetE1EEEvSR_
; %bb.0:
	.section	.rodata,"a",@progbits
	.p2align	6, 0x0
	.amdhsa_kernel _ZN7rocprim17ROCPRIM_400000_NS6detail17trampoline_kernelINS0_14default_configENS1_32segmented_reduce_config_selectorIN3c108BFloat16EEEZNS1_21segmented_reduce_implIS3_PKS6_PS6_PKlS6_N6hipcub16HIPCUB_304000_NS6detail27convert_result_type_wrapperISA_SB_N2at6native12_GLOBAL__N_19CustomMinEEEEE10hipError_tPvRmT0_T1_jT2_SS_T4_T3_P12ihipStream_tbEUlT_E_NS1_11comp_targetILNS1_3genE5ELNS1_11target_archE942ELNS1_3gpuE9ELNS1_3repE0EEENS1_30default_config_static_selectorELNS0_4arch9wavefront6targetE1EEEvSR_
		.amdhsa_group_segment_fixed_size 0
		.amdhsa_private_segment_fixed_size 0
		.amdhsa_kernarg_size 48
		.amdhsa_user_sgpr_count 6
		.amdhsa_user_sgpr_private_segment_buffer 1
		.amdhsa_user_sgpr_dispatch_ptr 0
		.amdhsa_user_sgpr_queue_ptr 0
		.amdhsa_user_sgpr_kernarg_segment_ptr 1
		.amdhsa_user_sgpr_dispatch_id 0
		.amdhsa_user_sgpr_flat_scratch_init 0
		.amdhsa_user_sgpr_private_segment_size 0
		.amdhsa_uses_dynamic_stack 0
		.amdhsa_system_sgpr_private_segment_wavefront_offset 0
		.amdhsa_system_sgpr_workgroup_id_x 1
		.amdhsa_system_sgpr_workgroup_id_y 0
		.amdhsa_system_sgpr_workgroup_id_z 0
		.amdhsa_system_sgpr_workgroup_info 0
		.amdhsa_system_vgpr_workitem_id 0
		.amdhsa_next_free_vgpr 1
		.amdhsa_next_free_sgpr 0
		.amdhsa_reserve_vcc 0
		.amdhsa_reserve_flat_scratch 0
		.amdhsa_float_round_mode_32 0
		.amdhsa_float_round_mode_16_64 0
		.amdhsa_float_denorm_mode_32 3
		.amdhsa_float_denorm_mode_16_64 3
		.amdhsa_dx10_clamp 1
		.amdhsa_ieee_mode 1
		.amdhsa_fp16_overflow 0
		.amdhsa_exception_fp_ieee_invalid_op 0
		.amdhsa_exception_fp_denorm_src 0
		.amdhsa_exception_fp_ieee_div_zero 0
		.amdhsa_exception_fp_ieee_overflow 0
		.amdhsa_exception_fp_ieee_underflow 0
		.amdhsa_exception_fp_ieee_inexact 0
		.amdhsa_exception_int_div_zero 0
	.end_amdhsa_kernel
	.section	.text._ZN7rocprim17ROCPRIM_400000_NS6detail17trampoline_kernelINS0_14default_configENS1_32segmented_reduce_config_selectorIN3c108BFloat16EEEZNS1_21segmented_reduce_implIS3_PKS6_PS6_PKlS6_N6hipcub16HIPCUB_304000_NS6detail27convert_result_type_wrapperISA_SB_N2at6native12_GLOBAL__N_19CustomMinEEEEE10hipError_tPvRmT0_T1_jT2_SS_T4_T3_P12ihipStream_tbEUlT_E_NS1_11comp_targetILNS1_3genE5ELNS1_11target_archE942ELNS1_3gpuE9ELNS1_3repE0EEENS1_30default_config_static_selectorELNS0_4arch9wavefront6targetE1EEEvSR_,"axG",@progbits,_ZN7rocprim17ROCPRIM_400000_NS6detail17trampoline_kernelINS0_14default_configENS1_32segmented_reduce_config_selectorIN3c108BFloat16EEEZNS1_21segmented_reduce_implIS3_PKS6_PS6_PKlS6_N6hipcub16HIPCUB_304000_NS6detail27convert_result_type_wrapperISA_SB_N2at6native12_GLOBAL__N_19CustomMinEEEEE10hipError_tPvRmT0_T1_jT2_SS_T4_T3_P12ihipStream_tbEUlT_E_NS1_11comp_targetILNS1_3genE5ELNS1_11target_archE942ELNS1_3gpuE9ELNS1_3repE0EEENS1_30default_config_static_selectorELNS0_4arch9wavefront6targetE1EEEvSR_,comdat
.Lfunc_end265:
	.size	_ZN7rocprim17ROCPRIM_400000_NS6detail17trampoline_kernelINS0_14default_configENS1_32segmented_reduce_config_selectorIN3c108BFloat16EEEZNS1_21segmented_reduce_implIS3_PKS6_PS6_PKlS6_N6hipcub16HIPCUB_304000_NS6detail27convert_result_type_wrapperISA_SB_N2at6native12_GLOBAL__N_19CustomMinEEEEE10hipError_tPvRmT0_T1_jT2_SS_T4_T3_P12ihipStream_tbEUlT_E_NS1_11comp_targetILNS1_3genE5ELNS1_11target_archE942ELNS1_3gpuE9ELNS1_3repE0EEENS1_30default_config_static_selectorELNS0_4arch9wavefront6targetE1EEEvSR_, .Lfunc_end265-_ZN7rocprim17ROCPRIM_400000_NS6detail17trampoline_kernelINS0_14default_configENS1_32segmented_reduce_config_selectorIN3c108BFloat16EEEZNS1_21segmented_reduce_implIS3_PKS6_PS6_PKlS6_N6hipcub16HIPCUB_304000_NS6detail27convert_result_type_wrapperISA_SB_N2at6native12_GLOBAL__N_19CustomMinEEEEE10hipError_tPvRmT0_T1_jT2_SS_T4_T3_P12ihipStream_tbEUlT_E_NS1_11comp_targetILNS1_3genE5ELNS1_11target_archE942ELNS1_3gpuE9ELNS1_3repE0EEENS1_30default_config_static_selectorELNS0_4arch9wavefront6targetE1EEEvSR_
                                        ; -- End function
	.set _ZN7rocprim17ROCPRIM_400000_NS6detail17trampoline_kernelINS0_14default_configENS1_32segmented_reduce_config_selectorIN3c108BFloat16EEEZNS1_21segmented_reduce_implIS3_PKS6_PS6_PKlS6_N6hipcub16HIPCUB_304000_NS6detail27convert_result_type_wrapperISA_SB_N2at6native12_GLOBAL__N_19CustomMinEEEEE10hipError_tPvRmT0_T1_jT2_SS_T4_T3_P12ihipStream_tbEUlT_E_NS1_11comp_targetILNS1_3genE5ELNS1_11target_archE942ELNS1_3gpuE9ELNS1_3repE0EEENS1_30default_config_static_selectorELNS0_4arch9wavefront6targetE1EEEvSR_.num_vgpr, 0
	.set _ZN7rocprim17ROCPRIM_400000_NS6detail17trampoline_kernelINS0_14default_configENS1_32segmented_reduce_config_selectorIN3c108BFloat16EEEZNS1_21segmented_reduce_implIS3_PKS6_PS6_PKlS6_N6hipcub16HIPCUB_304000_NS6detail27convert_result_type_wrapperISA_SB_N2at6native12_GLOBAL__N_19CustomMinEEEEE10hipError_tPvRmT0_T1_jT2_SS_T4_T3_P12ihipStream_tbEUlT_E_NS1_11comp_targetILNS1_3genE5ELNS1_11target_archE942ELNS1_3gpuE9ELNS1_3repE0EEENS1_30default_config_static_selectorELNS0_4arch9wavefront6targetE1EEEvSR_.num_agpr, 0
	.set _ZN7rocprim17ROCPRIM_400000_NS6detail17trampoline_kernelINS0_14default_configENS1_32segmented_reduce_config_selectorIN3c108BFloat16EEEZNS1_21segmented_reduce_implIS3_PKS6_PS6_PKlS6_N6hipcub16HIPCUB_304000_NS6detail27convert_result_type_wrapperISA_SB_N2at6native12_GLOBAL__N_19CustomMinEEEEE10hipError_tPvRmT0_T1_jT2_SS_T4_T3_P12ihipStream_tbEUlT_E_NS1_11comp_targetILNS1_3genE5ELNS1_11target_archE942ELNS1_3gpuE9ELNS1_3repE0EEENS1_30default_config_static_selectorELNS0_4arch9wavefront6targetE1EEEvSR_.numbered_sgpr, 0
	.set _ZN7rocprim17ROCPRIM_400000_NS6detail17trampoline_kernelINS0_14default_configENS1_32segmented_reduce_config_selectorIN3c108BFloat16EEEZNS1_21segmented_reduce_implIS3_PKS6_PS6_PKlS6_N6hipcub16HIPCUB_304000_NS6detail27convert_result_type_wrapperISA_SB_N2at6native12_GLOBAL__N_19CustomMinEEEEE10hipError_tPvRmT0_T1_jT2_SS_T4_T3_P12ihipStream_tbEUlT_E_NS1_11comp_targetILNS1_3genE5ELNS1_11target_archE942ELNS1_3gpuE9ELNS1_3repE0EEENS1_30default_config_static_selectorELNS0_4arch9wavefront6targetE1EEEvSR_.num_named_barrier, 0
	.set _ZN7rocprim17ROCPRIM_400000_NS6detail17trampoline_kernelINS0_14default_configENS1_32segmented_reduce_config_selectorIN3c108BFloat16EEEZNS1_21segmented_reduce_implIS3_PKS6_PS6_PKlS6_N6hipcub16HIPCUB_304000_NS6detail27convert_result_type_wrapperISA_SB_N2at6native12_GLOBAL__N_19CustomMinEEEEE10hipError_tPvRmT0_T1_jT2_SS_T4_T3_P12ihipStream_tbEUlT_E_NS1_11comp_targetILNS1_3genE5ELNS1_11target_archE942ELNS1_3gpuE9ELNS1_3repE0EEENS1_30default_config_static_selectorELNS0_4arch9wavefront6targetE1EEEvSR_.private_seg_size, 0
	.set _ZN7rocprim17ROCPRIM_400000_NS6detail17trampoline_kernelINS0_14default_configENS1_32segmented_reduce_config_selectorIN3c108BFloat16EEEZNS1_21segmented_reduce_implIS3_PKS6_PS6_PKlS6_N6hipcub16HIPCUB_304000_NS6detail27convert_result_type_wrapperISA_SB_N2at6native12_GLOBAL__N_19CustomMinEEEEE10hipError_tPvRmT0_T1_jT2_SS_T4_T3_P12ihipStream_tbEUlT_E_NS1_11comp_targetILNS1_3genE5ELNS1_11target_archE942ELNS1_3gpuE9ELNS1_3repE0EEENS1_30default_config_static_selectorELNS0_4arch9wavefront6targetE1EEEvSR_.uses_vcc, 0
	.set _ZN7rocprim17ROCPRIM_400000_NS6detail17trampoline_kernelINS0_14default_configENS1_32segmented_reduce_config_selectorIN3c108BFloat16EEEZNS1_21segmented_reduce_implIS3_PKS6_PS6_PKlS6_N6hipcub16HIPCUB_304000_NS6detail27convert_result_type_wrapperISA_SB_N2at6native12_GLOBAL__N_19CustomMinEEEEE10hipError_tPvRmT0_T1_jT2_SS_T4_T3_P12ihipStream_tbEUlT_E_NS1_11comp_targetILNS1_3genE5ELNS1_11target_archE942ELNS1_3gpuE9ELNS1_3repE0EEENS1_30default_config_static_selectorELNS0_4arch9wavefront6targetE1EEEvSR_.uses_flat_scratch, 0
	.set _ZN7rocprim17ROCPRIM_400000_NS6detail17trampoline_kernelINS0_14default_configENS1_32segmented_reduce_config_selectorIN3c108BFloat16EEEZNS1_21segmented_reduce_implIS3_PKS6_PS6_PKlS6_N6hipcub16HIPCUB_304000_NS6detail27convert_result_type_wrapperISA_SB_N2at6native12_GLOBAL__N_19CustomMinEEEEE10hipError_tPvRmT0_T1_jT2_SS_T4_T3_P12ihipStream_tbEUlT_E_NS1_11comp_targetILNS1_3genE5ELNS1_11target_archE942ELNS1_3gpuE9ELNS1_3repE0EEENS1_30default_config_static_selectorELNS0_4arch9wavefront6targetE1EEEvSR_.has_dyn_sized_stack, 0
	.set _ZN7rocprim17ROCPRIM_400000_NS6detail17trampoline_kernelINS0_14default_configENS1_32segmented_reduce_config_selectorIN3c108BFloat16EEEZNS1_21segmented_reduce_implIS3_PKS6_PS6_PKlS6_N6hipcub16HIPCUB_304000_NS6detail27convert_result_type_wrapperISA_SB_N2at6native12_GLOBAL__N_19CustomMinEEEEE10hipError_tPvRmT0_T1_jT2_SS_T4_T3_P12ihipStream_tbEUlT_E_NS1_11comp_targetILNS1_3genE5ELNS1_11target_archE942ELNS1_3gpuE9ELNS1_3repE0EEENS1_30default_config_static_selectorELNS0_4arch9wavefront6targetE1EEEvSR_.has_recursion, 0
	.set _ZN7rocprim17ROCPRIM_400000_NS6detail17trampoline_kernelINS0_14default_configENS1_32segmented_reduce_config_selectorIN3c108BFloat16EEEZNS1_21segmented_reduce_implIS3_PKS6_PS6_PKlS6_N6hipcub16HIPCUB_304000_NS6detail27convert_result_type_wrapperISA_SB_N2at6native12_GLOBAL__N_19CustomMinEEEEE10hipError_tPvRmT0_T1_jT2_SS_T4_T3_P12ihipStream_tbEUlT_E_NS1_11comp_targetILNS1_3genE5ELNS1_11target_archE942ELNS1_3gpuE9ELNS1_3repE0EEENS1_30default_config_static_selectorELNS0_4arch9wavefront6targetE1EEEvSR_.has_indirect_call, 0
	.section	.AMDGPU.csdata,"",@progbits
; Kernel info:
; codeLenInByte = 0
; TotalNumSgprs: 4
; NumVgprs: 0
; ScratchSize: 0
; MemoryBound: 0
; FloatMode: 240
; IeeeMode: 1
; LDSByteSize: 0 bytes/workgroup (compile time only)
; SGPRBlocks: 0
; VGPRBlocks: 0
; NumSGPRsForWavesPerEU: 4
; NumVGPRsForWavesPerEU: 1
; Occupancy: 10
; WaveLimiterHint : 0
; COMPUTE_PGM_RSRC2:SCRATCH_EN: 0
; COMPUTE_PGM_RSRC2:USER_SGPR: 6
; COMPUTE_PGM_RSRC2:TRAP_HANDLER: 0
; COMPUTE_PGM_RSRC2:TGID_X_EN: 1
; COMPUTE_PGM_RSRC2:TGID_Y_EN: 0
; COMPUTE_PGM_RSRC2:TGID_Z_EN: 0
; COMPUTE_PGM_RSRC2:TIDIG_COMP_CNT: 0
	.section	.text._ZN7rocprim17ROCPRIM_400000_NS6detail17trampoline_kernelINS0_14default_configENS1_32segmented_reduce_config_selectorIN3c108BFloat16EEEZNS1_21segmented_reduce_implIS3_PKS6_PS6_PKlS6_N6hipcub16HIPCUB_304000_NS6detail27convert_result_type_wrapperISA_SB_N2at6native12_GLOBAL__N_19CustomMinEEEEE10hipError_tPvRmT0_T1_jT2_SS_T4_T3_P12ihipStream_tbEUlT_E_NS1_11comp_targetILNS1_3genE10ELNS1_11target_archE1201ELNS1_3gpuE5ELNS1_3repE0EEENS1_30default_config_static_selectorELNS0_4arch9wavefront6targetE1EEEvSR_,"axG",@progbits,_ZN7rocprim17ROCPRIM_400000_NS6detail17trampoline_kernelINS0_14default_configENS1_32segmented_reduce_config_selectorIN3c108BFloat16EEEZNS1_21segmented_reduce_implIS3_PKS6_PS6_PKlS6_N6hipcub16HIPCUB_304000_NS6detail27convert_result_type_wrapperISA_SB_N2at6native12_GLOBAL__N_19CustomMinEEEEE10hipError_tPvRmT0_T1_jT2_SS_T4_T3_P12ihipStream_tbEUlT_E_NS1_11comp_targetILNS1_3genE10ELNS1_11target_archE1201ELNS1_3gpuE5ELNS1_3repE0EEENS1_30default_config_static_selectorELNS0_4arch9wavefront6targetE1EEEvSR_,comdat
	.globl	_ZN7rocprim17ROCPRIM_400000_NS6detail17trampoline_kernelINS0_14default_configENS1_32segmented_reduce_config_selectorIN3c108BFloat16EEEZNS1_21segmented_reduce_implIS3_PKS6_PS6_PKlS6_N6hipcub16HIPCUB_304000_NS6detail27convert_result_type_wrapperISA_SB_N2at6native12_GLOBAL__N_19CustomMinEEEEE10hipError_tPvRmT0_T1_jT2_SS_T4_T3_P12ihipStream_tbEUlT_E_NS1_11comp_targetILNS1_3genE10ELNS1_11target_archE1201ELNS1_3gpuE5ELNS1_3repE0EEENS1_30default_config_static_selectorELNS0_4arch9wavefront6targetE1EEEvSR_ ; -- Begin function _ZN7rocprim17ROCPRIM_400000_NS6detail17trampoline_kernelINS0_14default_configENS1_32segmented_reduce_config_selectorIN3c108BFloat16EEEZNS1_21segmented_reduce_implIS3_PKS6_PS6_PKlS6_N6hipcub16HIPCUB_304000_NS6detail27convert_result_type_wrapperISA_SB_N2at6native12_GLOBAL__N_19CustomMinEEEEE10hipError_tPvRmT0_T1_jT2_SS_T4_T3_P12ihipStream_tbEUlT_E_NS1_11comp_targetILNS1_3genE10ELNS1_11target_archE1201ELNS1_3gpuE5ELNS1_3repE0EEENS1_30default_config_static_selectorELNS0_4arch9wavefront6targetE1EEEvSR_
	.p2align	8
	.type	_ZN7rocprim17ROCPRIM_400000_NS6detail17trampoline_kernelINS0_14default_configENS1_32segmented_reduce_config_selectorIN3c108BFloat16EEEZNS1_21segmented_reduce_implIS3_PKS6_PS6_PKlS6_N6hipcub16HIPCUB_304000_NS6detail27convert_result_type_wrapperISA_SB_N2at6native12_GLOBAL__N_19CustomMinEEEEE10hipError_tPvRmT0_T1_jT2_SS_T4_T3_P12ihipStream_tbEUlT_E_NS1_11comp_targetILNS1_3genE10ELNS1_11target_archE1201ELNS1_3gpuE5ELNS1_3repE0EEENS1_30default_config_static_selectorELNS0_4arch9wavefront6targetE1EEEvSR_,@function
_ZN7rocprim17ROCPRIM_400000_NS6detail17trampoline_kernelINS0_14default_configENS1_32segmented_reduce_config_selectorIN3c108BFloat16EEEZNS1_21segmented_reduce_implIS3_PKS6_PS6_PKlS6_N6hipcub16HIPCUB_304000_NS6detail27convert_result_type_wrapperISA_SB_N2at6native12_GLOBAL__N_19CustomMinEEEEE10hipError_tPvRmT0_T1_jT2_SS_T4_T3_P12ihipStream_tbEUlT_E_NS1_11comp_targetILNS1_3genE10ELNS1_11target_archE1201ELNS1_3gpuE5ELNS1_3repE0EEENS1_30default_config_static_selectorELNS0_4arch9wavefront6targetE1EEEvSR_: ; @_ZN7rocprim17ROCPRIM_400000_NS6detail17trampoline_kernelINS0_14default_configENS1_32segmented_reduce_config_selectorIN3c108BFloat16EEEZNS1_21segmented_reduce_implIS3_PKS6_PS6_PKlS6_N6hipcub16HIPCUB_304000_NS6detail27convert_result_type_wrapperISA_SB_N2at6native12_GLOBAL__N_19CustomMinEEEEE10hipError_tPvRmT0_T1_jT2_SS_T4_T3_P12ihipStream_tbEUlT_E_NS1_11comp_targetILNS1_3genE10ELNS1_11target_archE1201ELNS1_3gpuE5ELNS1_3repE0EEENS1_30default_config_static_selectorELNS0_4arch9wavefront6targetE1EEEvSR_
; %bb.0:
	.section	.rodata,"a",@progbits
	.p2align	6, 0x0
	.amdhsa_kernel _ZN7rocprim17ROCPRIM_400000_NS6detail17trampoline_kernelINS0_14default_configENS1_32segmented_reduce_config_selectorIN3c108BFloat16EEEZNS1_21segmented_reduce_implIS3_PKS6_PS6_PKlS6_N6hipcub16HIPCUB_304000_NS6detail27convert_result_type_wrapperISA_SB_N2at6native12_GLOBAL__N_19CustomMinEEEEE10hipError_tPvRmT0_T1_jT2_SS_T4_T3_P12ihipStream_tbEUlT_E_NS1_11comp_targetILNS1_3genE10ELNS1_11target_archE1201ELNS1_3gpuE5ELNS1_3repE0EEENS1_30default_config_static_selectorELNS0_4arch9wavefront6targetE1EEEvSR_
		.amdhsa_group_segment_fixed_size 0
		.amdhsa_private_segment_fixed_size 0
		.amdhsa_kernarg_size 48
		.amdhsa_user_sgpr_count 6
		.amdhsa_user_sgpr_private_segment_buffer 1
		.amdhsa_user_sgpr_dispatch_ptr 0
		.amdhsa_user_sgpr_queue_ptr 0
		.amdhsa_user_sgpr_kernarg_segment_ptr 1
		.amdhsa_user_sgpr_dispatch_id 0
		.amdhsa_user_sgpr_flat_scratch_init 0
		.amdhsa_user_sgpr_private_segment_size 0
		.amdhsa_uses_dynamic_stack 0
		.amdhsa_system_sgpr_private_segment_wavefront_offset 0
		.amdhsa_system_sgpr_workgroup_id_x 1
		.amdhsa_system_sgpr_workgroup_id_y 0
		.amdhsa_system_sgpr_workgroup_id_z 0
		.amdhsa_system_sgpr_workgroup_info 0
		.amdhsa_system_vgpr_workitem_id 0
		.amdhsa_next_free_vgpr 1
		.amdhsa_next_free_sgpr 0
		.amdhsa_reserve_vcc 0
		.amdhsa_reserve_flat_scratch 0
		.amdhsa_float_round_mode_32 0
		.amdhsa_float_round_mode_16_64 0
		.amdhsa_float_denorm_mode_32 3
		.amdhsa_float_denorm_mode_16_64 3
		.amdhsa_dx10_clamp 1
		.amdhsa_ieee_mode 1
		.amdhsa_fp16_overflow 0
		.amdhsa_exception_fp_ieee_invalid_op 0
		.amdhsa_exception_fp_denorm_src 0
		.amdhsa_exception_fp_ieee_div_zero 0
		.amdhsa_exception_fp_ieee_overflow 0
		.amdhsa_exception_fp_ieee_underflow 0
		.amdhsa_exception_fp_ieee_inexact 0
		.amdhsa_exception_int_div_zero 0
	.end_amdhsa_kernel
	.section	.text._ZN7rocprim17ROCPRIM_400000_NS6detail17trampoline_kernelINS0_14default_configENS1_32segmented_reduce_config_selectorIN3c108BFloat16EEEZNS1_21segmented_reduce_implIS3_PKS6_PS6_PKlS6_N6hipcub16HIPCUB_304000_NS6detail27convert_result_type_wrapperISA_SB_N2at6native12_GLOBAL__N_19CustomMinEEEEE10hipError_tPvRmT0_T1_jT2_SS_T4_T3_P12ihipStream_tbEUlT_E_NS1_11comp_targetILNS1_3genE10ELNS1_11target_archE1201ELNS1_3gpuE5ELNS1_3repE0EEENS1_30default_config_static_selectorELNS0_4arch9wavefront6targetE1EEEvSR_,"axG",@progbits,_ZN7rocprim17ROCPRIM_400000_NS6detail17trampoline_kernelINS0_14default_configENS1_32segmented_reduce_config_selectorIN3c108BFloat16EEEZNS1_21segmented_reduce_implIS3_PKS6_PS6_PKlS6_N6hipcub16HIPCUB_304000_NS6detail27convert_result_type_wrapperISA_SB_N2at6native12_GLOBAL__N_19CustomMinEEEEE10hipError_tPvRmT0_T1_jT2_SS_T4_T3_P12ihipStream_tbEUlT_E_NS1_11comp_targetILNS1_3genE10ELNS1_11target_archE1201ELNS1_3gpuE5ELNS1_3repE0EEENS1_30default_config_static_selectorELNS0_4arch9wavefront6targetE1EEEvSR_,comdat
.Lfunc_end266:
	.size	_ZN7rocprim17ROCPRIM_400000_NS6detail17trampoline_kernelINS0_14default_configENS1_32segmented_reduce_config_selectorIN3c108BFloat16EEEZNS1_21segmented_reduce_implIS3_PKS6_PS6_PKlS6_N6hipcub16HIPCUB_304000_NS6detail27convert_result_type_wrapperISA_SB_N2at6native12_GLOBAL__N_19CustomMinEEEEE10hipError_tPvRmT0_T1_jT2_SS_T4_T3_P12ihipStream_tbEUlT_E_NS1_11comp_targetILNS1_3genE10ELNS1_11target_archE1201ELNS1_3gpuE5ELNS1_3repE0EEENS1_30default_config_static_selectorELNS0_4arch9wavefront6targetE1EEEvSR_, .Lfunc_end266-_ZN7rocprim17ROCPRIM_400000_NS6detail17trampoline_kernelINS0_14default_configENS1_32segmented_reduce_config_selectorIN3c108BFloat16EEEZNS1_21segmented_reduce_implIS3_PKS6_PS6_PKlS6_N6hipcub16HIPCUB_304000_NS6detail27convert_result_type_wrapperISA_SB_N2at6native12_GLOBAL__N_19CustomMinEEEEE10hipError_tPvRmT0_T1_jT2_SS_T4_T3_P12ihipStream_tbEUlT_E_NS1_11comp_targetILNS1_3genE10ELNS1_11target_archE1201ELNS1_3gpuE5ELNS1_3repE0EEENS1_30default_config_static_selectorELNS0_4arch9wavefront6targetE1EEEvSR_
                                        ; -- End function
	.set _ZN7rocprim17ROCPRIM_400000_NS6detail17trampoline_kernelINS0_14default_configENS1_32segmented_reduce_config_selectorIN3c108BFloat16EEEZNS1_21segmented_reduce_implIS3_PKS6_PS6_PKlS6_N6hipcub16HIPCUB_304000_NS6detail27convert_result_type_wrapperISA_SB_N2at6native12_GLOBAL__N_19CustomMinEEEEE10hipError_tPvRmT0_T1_jT2_SS_T4_T3_P12ihipStream_tbEUlT_E_NS1_11comp_targetILNS1_3genE10ELNS1_11target_archE1201ELNS1_3gpuE5ELNS1_3repE0EEENS1_30default_config_static_selectorELNS0_4arch9wavefront6targetE1EEEvSR_.num_vgpr, 0
	.set _ZN7rocprim17ROCPRIM_400000_NS6detail17trampoline_kernelINS0_14default_configENS1_32segmented_reduce_config_selectorIN3c108BFloat16EEEZNS1_21segmented_reduce_implIS3_PKS6_PS6_PKlS6_N6hipcub16HIPCUB_304000_NS6detail27convert_result_type_wrapperISA_SB_N2at6native12_GLOBAL__N_19CustomMinEEEEE10hipError_tPvRmT0_T1_jT2_SS_T4_T3_P12ihipStream_tbEUlT_E_NS1_11comp_targetILNS1_3genE10ELNS1_11target_archE1201ELNS1_3gpuE5ELNS1_3repE0EEENS1_30default_config_static_selectorELNS0_4arch9wavefront6targetE1EEEvSR_.num_agpr, 0
	.set _ZN7rocprim17ROCPRIM_400000_NS6detail17trampoline_kernelINS0_14default_configENS1_32segmented_reduce_config_selectorIN3c108BFloat16EEEZNS1_21segmented_reduce_implIS3_PKS6_PS6_PKlS6_N6hipcub16HIPCUB_304000_NS6detail27convert_result_type_wrapperISA_SB_N2at6native12_GLOBAL__N_19CustomMinEEEEE10hipError_tPvRmT0_T1_jT2_SS_T4_T3_P12ihipStream_tbEUlT_E_NS1_11comp_targetILNS1_3genE10ELNS1_11target_archE1201ELNS1_3gpuE5ELNS1_3repE0EEENS1_30default_config_static_selectorELNS0_4arch9wavefront6targetE1EEEvSR_.numbered_sgpr, 0
	.set _ZN7rocprim17ROCPRIM_400000_NS6detail17trampoline_kernelINS0_14default_configENS1_32segmented_reduce_config_selectorIN3c108BFloat16EEEZNS1_21segmented_reduce_implIS3_PKS6_PS6_PKlS6_N6hipcub16HIPCUB_304000_NS6detail27convert_result_type_wrapperISA_SB_N2at6native12_GLOBAL__N_19CustomMinEEEEE10hipError_tPvRmT0_T1_jT2_SS_T4_T3_P12ihipStream_tbEUlT_E_NS1_11comp_targetILNS1_3genE10ELNS1_11target_archE1201ELNS1_3gpuE5ELNS1_3repE0EEENS1_30default_config_static_selectorELNS0_4arch9wavefront6targetE1EEEvSR_.num_named_barrier, 0
	.set _ZN7rocprim17ROCPRIM_400000_NS6detail17trampoline_kernelINS0_14default_configENS1_32segmented_reduce_config_selectorIN3c108BFloat16EEEZNS1_21segmented_reduce_implIS3_PKS6_PS6_PKlS6_N6hipcub16HIPCUB_304000_NS6detail27convert_result_type_wrapperISA_SB_N2at6native12_GLOBAL__N_19CustomMinEEEEE10hipError_tPvRmT0_T1_jT2_SS_T4_T3_P12ihipStream_tbEUlT_E_NS1_11comp_targetILNS1_3genE10ELNS1_11target_archE1201ELNS1_3gpuE5ELNS1_3repE0EEENS1_30default_config_static_selectorELNS0_4arch9wavefront6targetE1EEEvSR_.private_seg_size, 0
	.set _ZN7rocprim17ROCPRIM_400000_NS6detail17trampoline_kernelINS0_14default_configENS1_32segmented_reduce_config_selectorIN3c108BFloat16EEEZNS1_21segmented_reduce_implIS3_PKS6_PS6_PKlS6_N6hipcub16HIPCUB_304000_NS6detail27convert_result_type_wrapperISA_SB_N2at6native12_GLOBAL__N_19CustomMinEEEEE10hipError_tPvRmT0_T1_jT2_SS_T4_T3_P12ihipStream_tbEUlT_E_NS1_11comp_targetILNS1_3genE10ELNS1_11target_archE1201ELNS1_3gpuE5ELNS1_3repE0EEENS1_30default_config_static_selectorELNS0_4arch9wavefront6targetE1EEEvSR_.uses_vcc, 0
	.set _ZN7rocprim17ROCPRIM_400000_NS6detail17trampoline_kernelINS0_14default_configENS1_32segmented_reduce_config_selectorIN3c108BFloat16EEEZNS1_21segmented_reduce_implIS3_PKS6_PS6_PKlS6_N6hipcub16HIPCUB_304000_NS6detail27convert_result_type_wrapperISA_SB_N2at6native12_GLOBAL__N_19CustomMinEEEEE10hipError_tPvRmT0_T1_jT2_SS_T4_T3_P12ihipStream_tbEUlT_E_NS1_11comp_targetILNS1_3genE10ELNS1_11target_archE1201ELNS1_3gpuE5ELNS1_3repE0EEENS1_30default_config_static_selectorELNS0_4arch9wavefront6targetE1EEEvSR_.uses_flat_scratch, 0
	.set _ZN7rocprim17ROCPRIM_400000_NS6detail17trampoline_kernelINS0_14default_configENS1_32segmented_reduce_config_selectorIN3c108BFloat16EEEZNS1_21segmented_reduce_implIS3_PKS6_PS6_PKlS6_N6hipcub16HIPCUB_304000_NS6detail27convert_result_type_wrapperISA_SB_N2at6native12_GLOBAL__N_19CustomMinEEEEE10hipError_tPvRmT0_T1_jT2_SS_T4_T3_P12ihipStream_tbEUlT_E_NS1_11comp_targetILNS1_3genE10ELNS1_11target_archE1201ELNS1_3gpuE5ELNS1_3repE0EEENS1_30default_config_static_selectorELNS0_4arch9wavefront6targetE1EEEvSR_.has_dyn_sized_stack, 0
	.set _ZN7rocprim17ROCPRIM_400000_NS6detail17trampoline_kernelINS0_14default_configENS1_32segmented_reduce_config_selectorIN3c108BFloat16EEEZNS1_21segmented_reduce_implIS3_PKS6_PS6_PKlS6_N6hipcub16HIPCUB_304000_NS6detail27convert_result_type_wrapperISA_SB_N2at6native12_GLOBAL__N_19CustomMinEEEEE10hipError_tPvRmT0_T1_jT2_SS_T4_T3_P12ihipStream_tbEUlT_E_NS1_11comp_targetILNS1_3genE10ELNS1_11target_archE1201ELNS1_3gpuE5ELNS1_3repE0EEENS1_30default_config_static_selectorELNS0_4arch9wavefront6targetE1EEEvSR_.has_recursion, 0
	.set _ZN7rocprim17ROCPRIM_400000_NS6detail17trampoline_kernelINS0_14default_configENS1_32segmented_reduce_config_selectorIN3c108BFloat16EEEZNS1_21segmented_reduce_implIS3_PKS6_PS6_PKlS6_N6hipcub16HIPCUB_304000_NS6detail27convert_result_type_wrapperISA_SB_N2at6native12_GLOBAL__N_19CustomMinEEEEE10hipError_tPvRmT0_T1_jT2_SS_T4_T3_P12ihipStream_tbEUlT_E_NS1_11comp_targetILNS1_3genE10ELNS1_11target_archE1201ELNS1_3gpuE5ELNS1_3repE0EEENS1_30default_config_static_selectorELNS0_4arch9wavefront6targetE1EEEvSR_.has_indirect_call, 0
	.section	.AMDGPU.csdata,"",@progbits
; Kernel info:
; codeLenInByte = 0
; TotalNumSgprs: 4
; NumVgprs: 0
; ScratchSize: 0
; MemoryBound: 0
; FloatMode: 240
; IeeeMode: 1
; LDSByteSize: 0 bytes/workgroup (compile time only)
; SGPRBlocks: 0
; VGPRBlocks: 0
; NumSGPRsForWavesPerEU: 4
; NumVGPRsForWavesPerEU: 1
; Occupancy: 10
; WaveLimiterHint : 0
; COMPUTE_PGM_RSRC2:SCRATCH_EN: 0
; COMPUTE_PGM_RSRC2:USER_SGPR: 6
; COMPUTE_PGM_RSRC2:TRAP_HANDLER: 0
; COMPUTE_PGM_RSRC2:TGID_X_EN: 1
; COMPUTE_PGM_RSRC2:TGID_Y_EN: 0
; COMPUTE_PGM_RSRC2:TGID_Z_EN: 0
; COMPUTE_PGM_RSRC2:TIDIG_COMP_CNT: 0
	.section	.text._ZN7rocprim17ROCPRIM_400000_NS6detail17trampoline_kernelINS0_14default_configENS1_32segmented_reduce_config_selectorIN3c108BFloat16EEEZNS1_21segmented_reduce_implIS3_PKS6_PS6_PKlS6_N6hipcub16HIPCUB_304000_NS6detail27convert_result_type_wrapperISA_SB_N2at6native12_GLOBAL__N_19CustomMinEEEEE10hipError_tPvRmT0_T1_jT2_SS_T4_T3_P12ihipStream_tbEUlT_E_NS1_11comp_targetILNS1_3genE4ELNS1_11target_archE910ELNS1_3gpuE8ELNS1_3repE0EEENS1_30default_config_static_selectorELNS0_4arch9wavefront6targetE1EEEvSR_,"axG",@progbits,_ZN7rocprim17ROCPRIM_400000_NS6detail17trampoline_kernelINS0_14default_configENS1_32segmented_reduce_config_selectorIN3c108BFloat16EEEZNS1_21segmented_reduce_implIS3_PKS6_PS6_PKlS6_N6hipcub16HIPCUB_304000_NS6detail27convert_result_type_wrapperISA_SB_N2at6native12_GLOBAL__N_19CustomMinEEEEE10hipError_tPvRmT0_T1_jT2_SS_T4_T3_P12ihipStream_tbEUlT_E_NS1_11comp_targetILNS1_3genE4ELNS1_11target_archE910ELNS1_3gpuE8ELNS1_3repE0EEENS1_30default_config_static_selectorELNS0_4arch9wavefront6targetE1EEEvSR_,comdat
	.globl	_ZN7rocprim17ROCPRIM_400000_NS6detail17trampoline_kernelINS0_14default_configENS1_32segmented_reduce_config_selectorIN3c108BFloat16EEEZNS1_21segmented_reduce_implIS3_PKS6_PS6_PKlS6_N6hipcub16HIPCUB_304000_NS6detail27convert_result_type_wrapperISA_SB_N2at6native12_GLOBAL__N_19CustomMinEEEEE10hipError_tPvRmT0_T1_jT2_SS_T4_T3_P12ihipStream_tbEUlT_E_NS1_11comp_targetILNS1_3genE4ELNS1_11target_archE910ELNS1_3gpuE8ELNS1_3repE0EEENS1_30default_config_static_selectorELNS0_4arch9wavefront6targetE1EEEvSR_ ; -- Begin function _ZN7rocprim17ROCPRIM_400000_NS6detail17trampoline_kernelINS0_14default_configENS1_32segmented_reduce_config_selectorIN3c108BFloat16EEEZNS1_21segmented_reduce_implIS3_PKS6_PS6_PKlS6_N6hipcub16HIPCUB_304000_NS6detail27convert_result_type_wrapperISA_SB_N2at6native12_GLOBAL__N_19CustomMinEEEEE10hipError_tPvRmT0_T1_jT2_SS_T4_T3_P12ihipStream_tbEUlT_E_NS1_11comp_targetILNS1_3genE4ELNS1_11target_archE910ELNS1_3gpuE8ELNS1_3repE0EEENS1_30default_config_static_selectorELNS0_4arch9wavefront6targetE1EEEvSR_
	.p2align	8
	.type	_ZN7rocprim17ROCPRIM_400000_NS6detail17trampoline_kernelINS0_14default_configENS1_32segmented_reduce_config_selectorIN3c108BFloat16EEEZNS1_21segmented_reduce_implIS3_PKS6_PS6_PKlS6_N6hipcub16HIPCUB_304000_NS6detail27convert_result_type_wrapperISA_SB_N2at6native12_GLOBAL__N_19CustomMinEEEEE10hipError_tPvRmT0_T1_jT2_SS_T4_T3_P12ihipStream_tbEUlT_E_NS1_11comp_targetILNS1_3genE4ELNS1_11target_archE910ELNS1_3gpuE8ELNS1_3repE0EEENS1_30default_config_static_selectorELNS0_4arch9wavefront6targetE1EEEvSR_,@function
_ZN7rocprim17ROCPRIM_400000_NS6detail17trampoline_kernelINS0_14default_configENS1_32segmented_reduce_config_selectorIN3c108BFloat16EEEZNS1_21segmented_reduce_implIS3_PKS6_PS6_PKlS6_N6hipcub16HIPCUB_304000_NS6detail27convert_result_type_wrapperISA_SB_N2at6native12_GLOBAL__N_19CustomMinEEEEE10hipError_tPvRmT0_T1_jT2_SS_T4_T3_P12ihipStream_tbEUlT_E_NS1_11comp_targetILNS1_3genE4ELNS1_11target_archE910ELNS1_3gpuE8ELNS1_3repE0EEENS1_30default_config_static_selectorELNS0_4arch9wavefront6targetE1EEEvSR_: ; @_ZN7rocprim17ROCPRIM_400000_NS6detail17trampoline_kernelINS0_14default_configENS1_32segmented_reduce_config_selectorIN3c108BFloat16EEEZNS1_21segmented_reduce_implIS3_PKS6_PS6_PKlS6_N6hipcub16HIPCUB_304000_NS6detail27convert_result_type_wrapperISA_SB_N2at6native12_GLOBAL__N_19CustomMinEEEEE10hipError_tPvRmT0_T1_jT2_SS_T4_T3_P12ihipStream_tbEUlT_E_NS1_11comp_targetILNS1_3genE4ELNS1_11target_archE910ELNS1_3gpuE8ELNS1_3repE0EEENS1_30default_config_static_selectorELNS0_4arch9wavefront6targetE1EEEvSR_
; %bb.0:
	.section	.rodata,"a",@progbits
	.p2align	6, 0x0
	.amdhsa_kernel _ZN7rocprim17ROCPRIM_400000_NS6detail17trampoline_kernelINS0_14default_configENS1_32segmented_reduce_config_selectorIN3c108BFloat16EEEZNS1_21segmented_reduce_implIS3_PKS6_PS6_PKlS6_N6hipcub16HIPCUB_304000_NS6detail27convert_result_type_wrapperISA_SB_N2at6native12_GLOBAL__N_19CustomMinEEEEE10hipError_tPvRmT0_T1_jT2_SS_T4_T3_P12ihipStream_tbEUlT_E_NS1_11comp_targetILNS1_3genE4ELNS1_11target_archE910ELNS1_3gpuE8ELNS1_3repE0EEENS1_30default_config_static_selectorELNS0_4arch9wavefront6targetE1EEEvSR_
		.amdhsa_group_segment_fixed_size 0
		.amdhsa_private_segment_fixed_size 0
		.amdhsa_kernarg_size 48
		.amdhsa_user_sgpr_count 6
		.amdhsa_user_sgpr_private_segment_buffer 1
		.amdhsa_user_sgpr_dispatch_ptr 0
		.amdhsa_user_sgpr_queue_ptr 0
		.amdhsa_user_sgpr_kernarg_segment_ptr 1
		.amdhsa_user_sgpr_dispatch_id 0
		.amdhsa_user_sgpr_flat_scratch_init 0
		.amdhsa_user_sgpr_private_segment_size 0
		.amdhsa_uses_dynamic_stack 0
		.amdhsa_system_sgpr_private_segment_wavefront_offset 0
		.amdhsa_system_sgpr_workgroup_id_x 1
		.amdhsa_system_sgpr_workgroup_id_y 0
		.amdhsa_system_sgpr_workgroup_id_z 0
		.amdhsa_system_sgpr_workgroup_info 0
		.amdhsa_system_vgpr_workitem_id 0
		.amdhsa_next_free_vgpr 1
		.amdhsa_next_free_sgpr 0
		.amdhsa_reserve_vcc 0
		.amdhsa_reserve_flat_scratch 0
		.amdhsa_float_round_mode_32 0
		.amdhsa_float_round_mode_16_64 0
		.amdhsa_float_denorm_mode_32 3
		.amdhsa_float_denorm_mode_16_64 3
		.amdhsa_dx10_clamp 1
		.amdhsa_ieee_mode 1
		.amdhsa_fp16_overflow 0
		.amdhsa_exception_fp_ieee_invalid_op 0
		.amdhsa_exception_fp_denorm_src 0
		.amdhsa_exception_fp_ieee_div_zero 0
		.amdhsa_exception_fp_ieee_overflow 0
		.amdhsa_exception_fp_ieee_underflow 0
		.amdhsa_exception_fp_ieee_inexact 0
		.amdhsa_exception_int_div_zero 0
	.end_amdhsa_kernel
	.section	.text._ZN7rocprim17ROCPRIM_400000_NS6detail17trampoline_kernelINS0_14default_configENS1_32segmented_reduce_config_selectorIN3c108BFloat16EEEZNS1_21segmented_reduce_implIS3_PKS6_PS6_PKlS6_N6hipcub16HIPCUB_304000_NS6detail27convert_result_type_wrapperISA_SB_N2at6native12_GLOBAL__N_19CustomMinEEEEE10hipError_tPvRmT0_T1_jT2_SS_T4_T3_P12ihipStream_tbEUlT_E_NS1_11comp_targetILNS1_3genE4ELNS1_11target_archE910ELNS1_3gpuE8ELNS1_3repE0EEENS1_30default_config_static_selectorELNS0_4arch9wavefront6targetE1EEEvSR_,"axG",@progbits,_ZN7rocprim17ROCPRIM_400000_NS6detail17trampoline_kernelINS0_14default_configENS1_32segmented_reduce_config_selectorIN3c108BFloat16EEEZNS1_21segmented_reduce_implIS3_PKS6_PS6_PKlS6_N6hipcub16HIPCUB_304000_NS6detail27convert_result_type_wrapperISA_SB_N2at6native12_GLOBAL__N_19CustomMinEEEEE10hipError_tPvRmT0_T1_jT2_SS_T4_T3_P12ihipStream_tbEUlT_E_NS1_11comp_targetILNS1_3genE4ELNS1_11target_archE910ELNS1_3gpuE8ELNS1_3repE0EEENS1_30default_config_static_selectorELNS0_4arch9wavefront6targetE1EEEvSR_,comdat
.Lfunc_end267:
	.size	_ZN7rocprim17ROCPRIM_400000_NS6detail17trampoline_kernelINS0_14default_configENS1_32segmented_reduce_config_selectorIN3c108BFloat16EEEZNS1_21segmented_reduce_implIS3_PKS6_PS6_PKlS6_N6hipcub16HIPCUB_304000_NS6detail27convert_result_type_wrapperISA_SB_N2at6native12_GLOBAL__N_19CustomMinEEEEE10hipError_tPvRmT0_T1_jT2_SS_T4_T3_P12ihipStream_tbEUlT_E_NS1_11comp_targetILNS1_3genE4ELNS1_11target_archE910ELNS1_3gpuE8ELNS1_3repE0EEENS1_30default_config_static_selectorELNS0_4arch9wavefront6targetE1EEEvSR_, .Lfunc_end267-_ZN7rocprim17ROCPRIM_400000_NS6detail17trampoline_kernelINS0_14default_configENS1_32segmented_reduce_config_selectorIN3c108BFloat16EEEZNS1_21segmented_reduce_implIS3_PKS6_PS6_PKlS6_N6hipcub16HIPCUB_304000_NS6detail27convert_result_type_wrapperISA_SB_N2at6native12_GLOBAL__N_19CustomMinEEEEE10hipError_tPvRmT0_T1_jT2_SS_T4_T3_P12ihipStream_tbEUlT_E_NS1_11comp_targetILNS1_3genE4ELNS1_11target_archE910ELNS1_3gpuE8ELNS1_3repE0EEENS1_30default_config_static_selectorELNS0_4arch9wavefront6targetE1EEEvSR_
                                        ; -- End function
	.set _ZN7rocprim17ROCPRIM_400000_NS6detail17trampoline_kernelINS0_14default_configENS1_32segmented_reduce_config_selectorIN3c108BFloat16EEEZNS1_21segmented_reduce_implIS3_PKS6_PS6_PKlS6_N6hipcub16HIPCUB_304000_NS6detail27convert_result_type_wrapperISA_SB_N2at6native12_GLOBAL__N_19CustomMinEEEEE10hipError_tPvRmT0_T1_jT2_SS_T4_T3_P12ihipStream_tbEUlT_E_NS1_11comp_targetILNS1_3genE4ELNS1_11target_archE910ELNS1_3gpuE8ELNS1_3repE0EEENS1_30default_config_static_selectorELNS0_4arch9wavefront6targetE1EEEvSR_.num_vgpr, 0
	.set _ZN7rocprim17ROCPRIM_400000_NS6detail17trampoline_kernelINS0_14default_configENS1_32segmented_reduce_config_selectorIN3c108BFloat16EEEZNS1_21segmented_reduce_implIS3_PKS6_PS6_PKlS6_N6hipcub16HIPCUB_304000_NS6detail27convert_result_type_wrapperISA_SB_N2at6native12_GLOBAL__N_19CustomMinEEEEE10hipError_tPvRmT0_T1_jT2_SS_T4_T3_P12ihipStream_tbEUlT_E_NS1_11comp_targetILNS1_3genE4ELNS1_11target_archE910ELNS1_3gpuE8ELNS1_3repE0EEENS1_30default_config_static_selectorELNS0_4arch9wavefront6targetE1EEEvSR_.num_agpr, 0
	.set _ZN7rocprim17ROCPRIM_400000_NS6detail17trampoline_kernelINS0_14default_configENS1_32segmented_reduce_config_selectorIN3c108BFloat16EEEZNS1_21segmented_reduce_implIS3_PKS6_PS6_PKlS6_N6hipcub16HIPCUB_304000_NS6detail27convert_result_type_wrapperISA_SB_N2at6native12_GLOBAL__N_19CustomMinEEEEE10hipError_tPvRmT0_T1_jT2_SS_T4_T3_P12ihipStream_tbEUlT_E_NS1_11comp_targetILNS1_3genE4ELNS1_11target_archE910ELNS1_3gpuE8ELNS1_3repE0EEENS1_30default_config_static_selectorELNS0_4arch9wavefront6targetE1EEEvSR_.numbered_sgpr, 0
	.set _ZN7rocprim17ROCPRIM_400000_NS6detail17trampoline_kernelINS0_14default_configENS1_32segmented_reduce_config_selectorIN3c108BFloat16EEEZNS1_21segmented_reduce_implIS3_PKS6_PS6_PKlS6_N6hipcub16HIPCUB_304000_NS6detail27convert_result_type_wrapperISA_SB_N2at6native12_GLOBAL__N_19CustomMinEEEEE10hipError_tPvRmT0_T1_jT2_SS_T4_T3_P12ihipStream_tbEUlT_E_NS1_11comp_targetILNS1_3genE4ELNS1_11target_archE910ELNS1_3gpuE8ELNS1_3repE0EEENS1_30default_config_static_selectorELNS0_4arch9wavefront6targetE1EEEvSR_.num_named_barrier, 0
	.set _ZN7rocprim17ROCPRIM_400000_NS6detail17trampoline_kernelINS0_14default_configENS1_32segmented_reduce_config_selectorIN3c108BFloat16EEEZNS1_21segmented_reduce_implIS3_PKS6_PS6_PKlS6_N6hipcub16HIPCUB_304000_NS6detail27convert_result_type_wrapperISA_SB_N2at6native12_GLOBAL__N_19CustomMinEEEEE10hipError_tPvRmT0_T1_jT2_SS_T4_T3_P12ihipStream_tbEUlT_E_NS1_11comp_targetILNS1_3genE4ELNS1_11target_archE910ELNS1_3gpuE8ELNS1_3repE0EEENS1_30default_config_static_selectorELNS0_4arch9wavefront6targetE1EEEvSR_.private_seg_size, 0
	.set _ZN7rocprim17ROCPRIM_400000_NS6detail17trampoline_kernelINS0_14default_configENS1_32segmented_reduce_config_selectorIN3c108BFloat16EEEZNS1_21segmented_reduce_implIS3_PKS6_PS6_PKlS6_N6hipcub16HIPCUB_304000_NS6detail27convert_result_type_wrapperISA_SB_N2at6native12_GLOBAL__N_19CustomMinEEEEE10hipError_tPvRmT0_T1_jT2_SS_T4_T3_P12ihipStream_tbEUlT_E_NS1_11comp_targetILNS1_3genE4ELNS1_11target_archE910ELNS1_3gpuE8ELNS1_3repE0EEENS1_30default_config_static_selectorELNS0_4arch9wavefront6targetE1EEEvSR_.uses_vcc, 0
	.set _ZN7rocprim17ROCPRIM_400000_NS6detail17trampoline_kernelINS0_14default_configENS1_32segmented_reduce_config_selectorIN3c108BFloat16EEEZNS1_21segmented_reduce_implIS3_PKS6_PS6_PKlS6_N6hipcub16HIPCUB_304000_NS6detail27convert_result_type_wrapperISA_SB_N2at6native12_GLOBAL__N_19CustomMinEEEEE10hipError_tPvRmT0_T1_jT2_SS_T4_T3_P12ihipStream_tbEUlT_E_NS1_11comp_targetILNS1_3genE4ELNS1_11target_archE910ELNS1_3gpuE8ELNS1_3repE0EEENS1_30default_config_static_selectorELNS0_4arch9wavefront6targetE1EEEvSR_.uses_flat_scratch, 0
	.set _ZN7rocprim17ROCPRIM_400000_NS6detail17trampoline_kernelINS0_14default_configENS1_32segmented_reduce_config_selectorIN3c108BFloat16EEEZNS1_21segmented_reduce_implIS3_PKS6_PS6_PKlS6_N6hipcub16HIPCUB_304000_NS6detail27convert_result_type_wrapperISA_SB_N2at6native12_GLOBAL__N_19CustomMinEEEEE10hipError_tPvRmT0_T1_jT2_SS_T4_T3_P12ihipStream_tbEUlT_E_NS1_11comp_targetILNS1_3genE4ELNS1_11target_archE910ELNS1_3gpuE8ELNS1_3repE0EEENS1_30default_config_static_selectorELNS0_4arch9wavefront6targetE1EEEvSR_.has_dyn_sized_stack, 0
	.set _ZN7rocprim17ROCPRIM_400000_NS6detail17trampoline_kernelINS0_14default_configENS1_32segmented_reduce_config_selectorIN3c108BFloat16EEEZNS1_21segmented_reduce_implIS3_PKS6_PS6_PKlS6_N6hipcub16HIPCUB_304000_NS6detail27convert_result_type_wrapperISA_SB_N2at6native12_GLOBAL__N_19CustomMinEEEEE10hipError_tPvRmT0_T1_jT2_SS_T4_T3_P12ihipStream_tbEUlT_E_NS1_11comp_targetILNS1_3genE4ELNS1_11target_archE910ELNS1_3gpuE8ELNS1_3repE0EEENS1_30default_config_static_selectorELNS0_4arch9wavefront6targetE1EEEvSR_.has_recursion, 0
	.set _ZN7rocprim17ROCPRIM_400000_NS6detail17trampoline_kernelINS0_14default_configENS1_32segmented_reduce_config_selectorIN3c108BFloat16EEEZNS1_21segmented_reduce_implIS3_PKS6_PS6_PKlS6_N6hipcub16HIPCUB_304000_NS6detail27convert_result_type_wrapperISA_SB_N2at6native12_GLOBAL__N_19CustomMinEEEEE10hipError_tPvRmT0_T1_jT2_SS_T4_T3_P12ihipStream_tbEUlT_E_NS1_11comp_targetILNS1_3genE4ELNS1_11target_archE910ELNS1_3gpuE8ELNS1_3repE0EEENS1_30default_config_static_selectorELNS0_4arch9wavefront6targetE1EEEvSR_.has_indirect_call, 0
	.section	.AMDGPU.csdata,"",@progbits
; Kernel info:
; codeLenInByte = 0
; TotalNumSgprs: 4
; NumVgprs: 0
; ScratchSize: 0
; MemoryBound: 0
; FloatMode: 240
; IeeeMode: 1
; LDSByteSize: 0 bytes/workgroup (compile time only)
; SGPRBlocks: 0
; VGPRBlocks: 0
; NumSGPRsForWavesPerEU: 4
; NumVGPRsForWavesPerEU: 1
; Occupancy: 10
; WaveLimiterHint : 0
; COMPUTE_PGM_RSRC2:SCRATCH_EN: 0
; COMPUTE_PGM_RSRC2:USER_SGPR: 6
; COMPUTE_PGM_RSRC2:TRAP_HANDLER: 0
; COMPUTE_PGM_RSRC2:TGID_X_EN: 1
; COMPUTE_PGM_RSRC2:TGID_Y_EN: 0
; COMPUTE_PGM_RSRC2:TGID_Z_EN: 0
; COMPUTE_PGM_RSRC2:TIDIG_COMP_CNT: 0
	.section	.text._ZN7rocprim17ROCPRIM_400000_NS6detail17trampoline_kernelINS0_14default_configENS1_32segmented_reduce_config_selectorIN3c108BFloat16EEEZNS1_21segmented_reduce_implIS3_PKS6_PS6_PKlS6_N6hipcub16HIPCUB_304000_NS6detail27convert_result_type_wrapperISA_SB_N2at6native12_GLOBAL__N_19CustomMinEEEEE10hipError_tPvRmT0_T1_jT2_SS_T4_T3_P12ihipStream_tbEUlT_E_NS1_11comp_targetILNS1_3genE3ELNS1_11target_archE908ELNS1_3gpuE7ELNS1_3repE0EEENS1_30default_config_static_selectorELNS0_4arch9wavefront6targetE1EEEvSR_,"axG",@progbits,_ZN7rocprim17ROCPRIM_400000_NS6detail17trampoline_kernelINS0_14default_configENS1_32segmented_reduce_config_selectorIN3c108BFloat16EEEZNS1_21segmented_reduce_implIS3_PKS6_PS6_PKlS6_N6hipcub16HIPCUB_304000_NS6detail27convert_result_type_wrapperISA_SB_N2at6native12_GLOBAL__N_19CustomMinEEEEE10hipError_tPvRmT0_T1_jT2_SS_T4_T3_P12ihipStream_tbEUlT_E_NS1_11comp_targetILNS1_3genE3ELNS1_11target_archE908ELNS1_3gpuE7ELNS1_3repE0EEENS1_30default_config_static_selectorELNS0_4arch9wavefront6targetE1EEEvSR_,comdat
	.globl	_ZN7rocprim17ROCPRIM_400000_NS6detail17trampoline_kernelINS0_14default_configENS1_32segmented_reduce_config_selectorIN3c108BFloat16EEEZNS1_21segmented_reduce_implIS3_PKS6_PS6_PKlS6_N6hipcub16HIPCUB_304000_NS6detail27convert_result_type_wrapperISA_SB_N2at6native12_GLOBAL__N_19CustomMinEEEEE10hipError_tPvRmT0_T1_jT2_SS_T4_T3_P12ihipStream_tbEUlT_E_NS1_11comp_targetILNS1_3genE3ELNS1_11target_archE908ELNS1_3gpuE7ELNS1_3repE0EEENS1_30default_config_static_selectorELNS0_4arch9wavefront6targetE1EEEvSR_ ; -- Begin function _ZN7rocprim17ROCPRIM_400000_NS6detail17trampoline_kernelINS0_14default_configENS1_32segmented_reduce_config_selectorIN3c108BFloat16EEEZNS1_21segmented_reduce_implIS3_PKS6_PS6_PKlS6_N6hipcub16HIPCUB_304000_NS6detail27convert_result_type_wrapperISA_SB_N2at6native12_GLOBAL__N_19CustomMinEEEEE10hipError_tPvRmT0_T1_jT2_SS_T4_T3_P12ihipStream_tbEUlT_E_NS1_11comp_targetILNS1_3genE3ELNS1_11target_archE908ELNS1_3gpuE7ELNS1_3repE0EEENS1_30default_config_static_selectorELNS0_4arch9wavefront6targetE1EEEvSR_
	.p2align	8
	.type	_ZN7rocprim17ROCPRIM_400000_NS6detail17trampoline_kernelINS0_14default_configENS1_32segmented_reduce_config_selectorIN3c108BFloat16EEEZNS1_21segmented_reduce_implIS3_PKS6_PS6_PKlS6_N6hipcub16HIPCUB_304000_NS6detail27convert_result_type_wrapperISA_SB_N2at6native12_GLOBAL__N_19CustomMinEEEEE10hipError_tPvRmT0_T1_jT2_SS_T4_T3_P12ihipStream_tbEUlT_E_NS1_11comp_targetILNS1_3genE3ELNS1_11target_archE908ELNS1_3gpuE7ELNS1_3repE0EEENS1_30default_config_static_selectorELNS0_4arch9wavefront6targetE1EEEvSR_,@function
_ZN7rocprim17ROCPRIM_400000_NS6detail17trampoline_kernelINS0_14default_configENS1_32segmented_reduce_config_selectorIN3c108BFloat16EEEZNS1_21segmented_reduce_implIS3_PKS6_PS6_PKlS6_N6hipcub16HIPCUB_304000_NS6detail27convert_result_type_wrapperISA_SB_N2at6native12_GLOBAL__N_19CustomMinEEEEE10hipError_tPvRmT0_T1_jT2_SS_T4_T3_P12ihipStream_tbEUlT_E_NS1_11comp_targetILNS1_3genE3ELNS1_11target_archE908ELNS1_3gpuE7ELNS1_3repE0EEENS1_30default_config_static_selectorELNS0_4arch9wavefront6targetE1EEEvSR_: ; @_ZN7rocprim17ROCPRIM_400000_NS6detail17trampoline_kernelINS0_14default_configENS1_32segmented_reduce_config_selectorIN3c108BFloat16EEEZNS1_21segmented_reduce_implIS3_PKS6_PS6_PKlS6_N6hipcub16HIPCUB_304000_NS6detail27convert_result_type_wrapperISA_SB_N2at6native12_GLOBAL__N_19CustomMinEEEEE10hipError_tPvRmT0_T1_jT2_SS_T4_T3_P12ihipStream_tbEUlT_E_NS1_11comp_targetILNS1_3genE3ELNS1_11target_archE908ELNS1_3gpuE7ELNS1_3repE0EEENS1_30default_config_static_selectorELNS0_4arch9wavefront6targetE1EEEvSR_
; %bb.0:
	.section	.rodata,"a",@progbits
	.p2align	6, 0x0
	.amdhsa_kernel _ZN7rocprim17ROCPRIM_400000_NS6detail17trampoline_kernelINS0_14default_configENS1_32segmented_reduce_config_selectorIN3c108BFloat16EEEZNS1_21segmented_reduce_implIS3_PKS6_PS6_PKlS6_N6hipcub16HIPCUB_304000_NS6detail27convert_result_type_wrapperISA_SB_N2at6native12_GLOBAL__N_19CustomMinEEEEE10hipError_tPvRmT0_T1_jT2_SS_T4_T3_P12ihipStream_tbEUlT_E_NS1_11comp_targetILNS1_3genE3ELNS1_11target_archE908ELNS1_3gpuE7ELNS1_3repE0EEENS1_30default_config_static_selectorELNS0_4arch9wavefront6targetE1EEEvSR_
		.amdhsa_group_segment_fixed_size 0
		.amdhsa_private_segment_fixed_size 0
		.amdhsa_kernarg_size 48
		.amdhsa_user_sgpr_count 6
		.amdhsa_user_sgpr_private_segment_buffer 1
		.amdhsa_user_sgpr_dispatch_ptr 0
		.amdhsa_user_sgpr_queue_ptr 0
		.amdhsa_user_sgpr_kernarg_segment_ptr 1
		.amdhsa_user_sgpr_dispatch_id 0
		.amdhsa_user_sgpr_flat_scratch_init 0
		.amdhsa_user_sgpr_private_segment_size 0
		.amdhsa_uses_dynamic_stack 0
		.amdhsa_system_sgpr_private_segment_wavefront_offset 0
		.amdhsa_system_sgpr_workgroup_id_x 1
		.amdhsa_system_sgpr_workgroup_id_y 0
		.amdhsa_system_sgpr_workgroup_id_z 0
		.amdhsa_system_sgpr_workgroup_info 0
		.amdhsa_system_vgpr_workitem_id 0
		.amdhsa_next_free_vgpr 1
		.amdhsa_next_free_sgpr 0
		.amdhsa_reserve_vcc 0
		.amdhsa_reserve_flat_scratch 0
		.amdhsa_float_round_mode_32 0
		.amdhsa_float_round_mode_16_64 0
		.amdhsa_float_denorm_mode_32 3
		.amdhsa_float_denorm_mode_16_64 3
		.amdhsa_dx10_clamp 1
		.amdhsa_ieee_mode 1
		.amdhsa_fp16_overflow 0
		.amdhsa_exception_fp_ieee_invalid_op 0
		.amdhsa_exception_fp_denorm_src 0
		.amdhsa_exception_fp_ieee_div_zero 0
		.amdhsa_exception_fp_ieee_overflow 0
		.amdhsa_exception_fp_ieee_underflow 0
		.amdhsa_exception_fp_ieee_inexact 0
		.amdhsa_exception_int_div_zero 0
	.end_amdhsa_kernel
	.section	.text._ZN7rocprim17ROCPRIM_400000_NS6detail17trampoline_kernelINS0_14default_configENS1_32segmented_reduce_config_selectorIN3c108BFloat16EEEZNS1_21segmented_reduce_implIS3_PKS6_PS6_PKlS6_N6hipcub16HIPCUB_304000_NS6detail27convert_result_type_wrapperISA_SB_N2at6native12_GLOBAL__N_19CustomMinEEEEE10hipError_tPvRmT0_T1_jT2_SS_T4_T3_P12ihipStream_tbEUlT_E_NS1_11comp_targetILNS1_3genE3ELNS1_11target_archE908ELNS1_3gpuE7ELNS1_3repE0EEENS1_30default_config_static_selectorELNS0_4arch9wavefront6targetE1EEEvSR_,"axG",@progbits,_ZN7rocprim17ROCPRIM_400000_NS6detail17trampoline_kernelINS0_14default_configENS1_32segmented_reduce_config_selectorIN3c108BFloat16EEEZNS1_21segmented_reduce_implIS3_PKS6_PS6_PKlS6_N6hipcub16HIPCUB_304000_NS6detail27convert_result_type_wrapperISA_SB_N2at6native12_GLOBAL__N_19CustomMinEEEEE10hipError_tPvRmT0_T1_jT2_SS_T4_T3_P12ihipStream_tbEUlT_E_NS1_11comp_targetILNS1_3genE3ELNS1_11target_archE908ELNS1_3gpuE7ELNS1_3repE0EEENS1_30default_config_static_selectorELNS0_4arch9wavefront6targetE1EEEvSR_,comdat
.Lfunc_end268:
	.size	_ZN7rocprim17ROCPRIM_400000_NS6detail17trampoline_kernelINS0_14default_configENS1_32segmented_reduce_config_selectorIN3c108BFloat16EEEZNS1_21segmented_reduce_implIS3_PKS6_PS6_PKlS6_N6hipcub16HIPCUB_304000_NS6detail27convert_result_type_wrapperISA_SB_N2at6native12_GLOBAL__N_19CustomMinEEEEE10hipError_tPvRmT0_T1_jT2_SS_T4_T3_P12ihipStream_tbEUlT_E_NS1_11comp_targetILNS1_3genE3ELNS1_11target_archE908ELNS1_3gpuE7ELNS1_3repE0EEENS1_30default_config_static_selectorELNS0_4arch9wavefront6targetE1EEEvSR_, .Lfunc_end268-_ZN7rocprim17ROCPRIM_400000_NS6detail17trampoline_kernelINS0_14default_configENS1_32segmented_reduce_config_selectorIN3c108BFloat16EEEZNS1_21segmented_reduce_implIS3_PKS6_PS6_PKlS6_N6hipcub16HIPCUB_304000_NS6detail27convert_result_type_wrapperISA_SB_N2at6native12_GLOBAL__N_19CustomMinEEEEE10hipError_tPvRmT0_T1_jT2_SS_T4_T3_P12ihipStream_tbEUlT_E_NS1_11comp_targetILNS1_3genE3ELNS1_11target_archE908ELNS1_3gpuE7ELNS1_3repE0EEENS1_30default_config_static_selectorELNS0_4arch9wavefront6targetE1EEEvSR_
                                        ; -- End function
	.set _ZN7rocprim17ROCPRIM_400000_NS6detail17trampoline_kernelINS0_14default_configENS1_32segmented_reduce_config_selectorIN3c108BFloat16EEEZNS1_21segmented_reduce_implIS3_PKS6_PS6_PKlS6_N6hipcub16HIPCUB_304000_NS6detail27convert_result_type_wrapperISA_SB_N2at6native12_GLOBAL__N_19CustomMinEEEEE10hipError_tPvRmT0_T1_jT2_SS_T4_T3_P12ihipStream_tbEUlT_E_NS1_11comp_targetILNS1_3genE3ELNS1_11target_archE908ELNS1_3gpuE7ELNS1_3repE0EEENS1_30default_config_static_selectorELNS0_4arch9wavefront6targetE1EEEvSR_.num_vgpr, 0
	.set _ZN7rocprim17ROCPRIM_400000_NS6detail17trampoline_kernelINS0_14default_configENS1_32segmented_reduce_config_selectorIN3c108BFloat16EEEZNS1_21segmented_reduce_implIS3_PKS6_PS6_PKlS6_N6hipcub16HIPCUB_304000_NS6detail27convert_result_type_wrapperISA_SB_N2at6native12_GLOBAL__N_19CustomMinEEEEE10hipError_tPvRmT0_T1_jT2_SS_T4_T3_P12ihipStream_tbEUlT_E_NS1_11comp_targetILNS1_3genE3ELNS1_11target_archE908ELNS1_3gpuE7ELNS1_3repE0EEENS1_30default_config_static_selectorELNS0_4arch9wavefront6targetE1EEEvSR_.num_agpr, 0
	.set _ZN7rocprim17ROCPRIM_400000_NS6detail17trampoline_kernelINS0_14default_configENS1_32segmented_reduce_config_selectorIN3c108BFloat16EEEZNS1_21segmented_reduce_implIS3_PKS6_PS6_PKlS6_N6hipcub16HIPCUB_304000_NS6detail27convert_result_type_wrapperISA_SB_N2at6native12_GLOBAL__N_19CustomMinEEEEE10hipError_tPvRmT0_T1_jT2_SS_T4_T3_P12ihipStream_tbEUlT_E_NS1_11comp_targetILNS1_3genE3ELNS1_11target_archE908ELNS1_3gpuE7ELNS1_3repE0EEENS1_30default_config_static_selectorELNS0_4arch9wavefront6targetE1EEEvSR_.numbered_sgpr, 0
	.set _ZN7rocprim17ROCPRIM_400000_NS6detail17trampoline_kernelINS0_14default_configENS1_32segmented_reduce_config_selectorIN3c108BFloat16EEEZNS1_21segmented_reduce_implIS3_PKS6_PS6_PKlS6_N6hipcub16HIPCUB_304000_NS6detail27convert_result_type_wrapperISA_SB_N2at6native12_GLOBAL__N_19CustomMinEEEEE10hipError_tPvRmT0_T1_jT2_SS_T4_T3_P12ihipStream_tbEUlT_E_NS1_11comp_targetILNS1_3genE3ELNS1_11target_archE908ELNS1_3gpuE7ELNS1_3repE0EEENS1_30default_config_static_selectorELNS0_4arch9wavefront6targetE1EEEvSR_.num_named_barrier, 0
	.set _ZN7rocprim17ROCPRIM_400000_NS6detail17trampoline_kernelINS0_14default_configENS1_32segmented_reduce_config_selectorIN3c108BFloat16EEEZNS1_21segmented_reduce_implIS3_PKS6_PS6_PKlS6_N6hipcub16HIPCUB_304000_NS6detail27convert_result_type_wrapperISA_SB_N2at6native12_GLOBAL__N_19CustomMinEEEEE10hipError_tPvRmT0_T1_jT2_SS_T4_T3_P12ihipStream_tbEUlT_E_NS1_11comp_targetILNS1_3genE3ELNS1_11target_archE908ELNS1_3gpuE7ELNS1_3repE0EEENS1_30default_config_static_selectorELNS0_4arch9wavefront6targetE1EEEvSR_.private_seg_size, 0
	.set _ZN7rocprim17ROCPRIM_400000_NS6detail17trampoline_kernelINS0_14default_configENS1_32segmented_reduce_config_selectorIN3c108BFloat16EEEZNS1_21segmented_reduce_implIS3_PKS6_PS6_PKlS6_N6hipcub16HIPCUB_304000_NS6detail27convert_result_type_wrapperISA_SB_N2at6native12_GLOBAL__N_19CustomMinEEEEE10hipError_tPvRmT0_T1_jT2_SS_T4_T3_P12ihipStream_tbEUlT_E_NS1_11comp_targetILNS1_3genE3ELNS1_11target_archE908ELNS1_3gpuE7ELNS1_3repE0EEENS1_30default_config_static_selectorELNS0_4arch9wavefront6targetE1EEEvSR_.uses_vcc, 0
	.set _ZN7rocprim17ROCPRIM_400000_NS6detail17trampoline_kernelINS0_14default_configENS1_32segmented_reduce_config_selectorIN3c108BFloat16EEEZNS1_21segmented_reduce_implIS3_PKS6_PS6_PKlS6_N6hipcub16HIPCUB_304000_NS6detail27convert_result_type_wrapperISA_SB_N2at6native12_GLOBAL__N_19CustomMinEEEEE10hipError_tPvRmT0_T1_jT2_SS_T4_T3_P12ihipStream_tbEUlT_E_NS1_11comp_targetILNS1_3genE3ELNS1_11target_archE908ELNS1_3gpuE7ELNS1_3repE0EEENS1_30default_config_static_selectorELNS0_4arch9wavefront6targetE1EEEvSR_.uses_flat_scratch, 0
	.set _ZN7rocprim17ROCPRIM_400000_NS6detail17trampoline_kernelINS0_14default_configENS1_32segmented_reduce_config_selectorIN3c108BFloat16EEEZNS1_21segmented_reduce_implIS3_PKS6_PS6_PKlS6_N6hipcub16HIPCUB_304000_NS6detail27convert_result_type_wrapperISA_SB_N2at6native12_GLOBAL__N_19CustomMinEEEEE10hipError_tPvRmT0_T1_jT2_SS_T4_T3_P12ihipStream_tbEUlT_E_NS1_11comp_targetILNS1_3genE3ELNS1_11target_archE908ELNS1_3gpuE7ELNS1_3repE0EEENS1_30default_config_static_selectorELNS0_4arch9wavefront6targetE1EEEvSR_.has_dyn_sized_stack, 0
	.set _ZN7rocprim17ROCPRIM_400000_NS6detail17trampoline_kernelINS0_14default_configENS1_32segmented_reduce_config_selectorIN3c108BFloat16EEEZNS1_21segmented_reduce_implIS3_PKS6_PS6_PKlS6_N6hipcub16HIPCUB_304000_NS6detail27convert_result_type_wrapperISA_SB_N2at6native12_GLOBAL__N_19CustomMinEEEEE10hipError_tPvRmT0_T1_jT2_SS_T4_T3_P12ihipStream_tbEUlT_E_NS1_11comp_targetILNS1_3genE3ELNS1_11target_archE908ELNS1_3gpuE7ELNS1_3repE0EEENS1_30default_config_static_selectorELNS0_4arch9wavefront6targetE1EEEvSR_.has_recursion, 0
	.set _ZN7rocprim17ROCPRIM_400000_NS6detail17trampoline_kernelINS0_14default_configENS1_32segmented_reduce_config_selectorIN3c108BFloat16EEEZNS1_21segmented_reduce_implIS3_PKS6_PS6_PKlS6_N6hipcub16HIPCUB_304000_NS6detail27convert_result_type_wrapperISA_SB_N2at6native12_GLOBAL__N_19CustomMinEEEEE10hipError_tPvRmT0_T1_jT2_SS_T4_T3_P12ihipStream_tbEUlT_E_NS1_11comp_targetILNS1_3genE3ELNS1_11target_archE908ELNS1_3gpuE7ELNS1_3repE0EEENS1_30default_config_static_selectorELNS0_4arch9wavefront6targetE1EEEvSR_.has_indirect_call, 0
	.section	.AMDGPU.csdata,"",@progbits
; Kernel info:
; codeLenInByte = 0
; TotalNumSgprs: 4
; NumVgprs: 0
; ScratchSize: 0
; MemoryBound: 0
; FloatMode: 240
; IeeeMode: 1
; LDSByteSize: 0 bytes/workgroup (compile time only)
; SGPRBlocks: 0
; VGPRBlocks: 0
; NumSGPRsForWavesPerEU: 4
; NumVGPRsForWavesPerEU: 1
; Occupancy: 10
; WaveLimiterHint : 0
; COMPUTE_PGM_RSRC2:SCRATCH_EN: 0
; COMPUTE_PGM_RSRC2:USER_SGPR: 6
; COMPUTE_PGM_RSRC2:TRAP_HANDLER: 0
; COMPUTE_PGM_RSRC2:TGID_X_EN: 1
; COMPUTE_PGM_RSRC2:TGID_Y_EN: 0
; COMPUTE_PGM_RSRC2:TGID_Z_EN: 0
; COMPUTE_PGM_RSRC2:TIDIG_COMP_CNT: 0
	.section	.text._ZN7rocprim17ROCPRIM_400000_NS6detail17trampoline_kernelINS0_14default_configENS1_32segmented_reduce_config_selectorIN3c108BFloat16EEEZNS1_21segmented_reduce_implIS3_PKS6_PS6_PKlS6_N6hipcub16HIPCUB_304000_NS6detail27convert_result_type_wrapperISA_SB_N2at6native12_GLOBAL__N_19CustomMinEEEEE10hipError_tPvRmT0_T1_jT2_SS_T4_T3_P12ihipStream_tbEUlT_E_NS1_11comp_targetILNS1_3genE2ELNS1_11target_archE906ELNS1_3gpuE6ELNS1_3repE0EEENS1_30default_config_static_selectorELNS0_4arch9wavefront6targetE1EEEvSR_,"axG",@progbits,_ZN7rocprim17ROCPRIM_400000_NS6detail17trampoline_kernelINS0_14default_configENS1_32segmented_reduce_config_selectorIN3c108BFloat16EEEZNS1_21segmented_reduce_implIS3_PKS6_PS6_PKlS6_N6hipcub16HIPCUB_304000_NS6detail27convert_result_type_wrapperISA_SB_N2at6native12_GLOBAL__N_19CustomMinEEEEE10hipError_tPvRmT0_T1_jT2_SS_T4_T3_P12ihipStream_tbEUlT_E_NS1_11comp_targetILNS1_3genE2ELNS1_11target_archE906ELNS1_3gpuE6ELNS1_3repE0EEENS1_30default_config_static_selectorELNS0_4arch9wavefront6targetE1EEEvSR_,comdat
	.globl	_ZN7rocprim17ROCPRIM_400000_NS6detail17trampoline_kernelINS0_14default_configENS1_32segmented_reduce_config_selectorIN3c108BFloat16EEEZNS1_21segmented_reduce_implIS3_PKS6_PS6_PKlS6_N6hipcub16HIPCUB_304000_NS6detail27convert_result_type_wrapperISA_SB_N2at6native12_GLOBAL__N_19CustomMinEEEEE10hipError_tPvRmT0_T1_jT2_SS_T4_T3_P12ihipStream_tbEUlT_E_NS1_11comp_targetILNS1_3genE2ELNS1_11target_archE906ELNS1_3gpuE6ELNS1_3repE0EEENS1_30default_config_static_selectorELNS0_4arch9wavefront6targetE1EEEvSR_ ; -- Begin function _ZN7rocprim17ROCPRIM_400000_NS6detail17trampoline_kernelINS0_14default_configENS1_32segmented_reduce_config_selectorIN3c108BFloat16EEEZNS1_21segmented_reduce_implIS3_PKS6_PS6_PKlS6_N6hipcub16HIPCUB_304000_NS6detail27convert_result_type_wrapperISA_SB_N2at6native12_GLOBAL__N_19CustomMinEEEEE10hipError_tPvRmT0_T1_jT2_SS_T4_T3_P12ihipStream_tbEUlT_E_NS1_11comp_targetILNS1_3genE2ELNS1_11target_archE906ELNS1_3gpuE6ELNS1_3repE0EEENS1_30default_config_static_selectorELNS0_4arch9wavefront6targetE1EEEvSR_
	.p2align	8
	.type	_ZN7rocprim17ROCPRIM_400000_NS6detail17trampoline_kernelINS0_14default_configENS1_32segmented_reduce_config_selectorIN3c108BFloat16EEEZNS1_21segmented_reduce_implIS3_PKS6_PS6_PKlS6_N6hipcub16HIPCUB_304000_NS6detail27convert_result_type_wrapperISA_SB_N2at6native12_GLOBAL__N_19CustomMinEEEEE10hipError_tPvRmT0_T1_jT2_SS_T4_T3_P12ihipStream_tbEUlT_E_NS1_11comp_targetILNS1_3genE2ELNS1_11target_archE906ELNS1_3gpuE6ELNS1_3repE0EEENS1_30default_config_static_selectorELNS0_4arch9wavefront6targetE1EEEvSR_,@function
_ZN7rocprim17ROCPRIM_400000_NS6detail17trampoline_kernelINS0_14default_configENS1_32segmented_reduce_config_selectorIN3c108BFloat16EEEZNS1_21segmented_reduce_implIS3_PKS6_PS6_PKlS6_N6hipcub16HIPCUB_304000_NS6detail27convert_result_type_wrapperISA_SB_N2at6native12_GLOBAL__N_19CustomMinEEEEE10hipError_tPvRmT0_T1_jT2_SS_T4_T3_P12ihipStream_tbEUlT_E_NS1_11comp_targetILNS1_3genE2ELNS1_11target_archE906ELNS1_3gpuE6ELNS1_3repE0EEENS1_30default_config_static_selectorELNS0_4arch9wavefront6targetE1EEEvSR_: ; @_ZN7rocprim17ROCPRIM_400000_NS6detail17trampoline_kernelINS0_14default_configENS1_32segmented_reduce_config_selectorIN3c108BFloat16EEEZNS1_21segmented_reduce_implIS3_PKS6_PS6_PKlS6_N6hipcub16HIPCUB_304000_NS6detail27convert_result_type_wrapperISA_SB_N2at6native12_GLOBAL__N_19CustomMinEEEEE10hipError_tPvRmT0_T1_jT2_SS_T4_T3_P12ihipStream_tbEUlT_E_NS1_11comp_targetILNS1_3genE2ELNS1_11target_archE906ELNS1_3gpuE6ELNS1_3repE0EEENS1_30default_config_static_selectorELNS0_4arch9wavefront6targetE1EEEvSR_
; %bb.0:
	s_load_dword s2, s[4:5], 0x28
	s_load_dwordx8 s[36:43], s[4:5], 0x0
	s_load_dwordx2 s[0:1], s[4:5], 0x20
	s_mov_b32 s7, 0
	s_waitcnt lgkmcnt(0)
	s_lshr_b32 s33, s2, 16
	s_lshl_b64 s[2:3], s[40:41], 3
	s_add_u32 s4, s42, s2
	s_addc_u32 s5, s43, s3
	s_add_u32 s8, s0, s2
	s_addc_u32 s9, s1, s3
	s_lshl_b64 s[0:1], s[6:7], 3
	s_add_u32 s2, s4, s0
	s_addc_u32 s3, s5, s1
	s_load_dwordx2 s[44:45], s[2:3], 0x0
	s_add_u32 s0, s8, s0
	s_addc_u32 s1, s9, s1
	s_load_dwordx2 s[42:43], s[0:1], 0x0
	v_cmp_eq_u32_e64 s[0:1], 0, v0
	s_waitcnt lgkmcnt(0)
	v_mov_b32_e32 v1, s44
	v_mov_b32_e32 v2, s45
	v_cmp_gt_i64_e32 vcc, s[42:43], v[1:2]
	s_cbranch_vccnz .LBB269_3
; %bb.1:
	s_and_b64 s[34:35], s[0:1], exec
	s_cbranch_execz .LBB269_4
; %bb.2:
	v_mov_b32_e32 v1, s33
	s_and_saveexec_b64 s[0:1], s[34:35]
	s_cbranch_execnz .LBB269_409
	s_branch .LBB269_410
.LBB269_3:
	s_mov_b64 s[34:35], 0
.LBB269_4:
	s_add_u32 s0, s44, 0x1000
	v_mov_b32_e32 v1, s42
	s_addc_u32 s1, s45, 0
	v_mov_b32_e32 v2, s43
	v_cmp_le_i64_e32 vcc, s[0:1], v[1:2]
	s_cbranch_vccz .LBB269_20
; %bb.5:
	s_lshl_b64 s[2:3], s[44:45], 1
	s_add_u32 s4, s36, s2
	s_addc_u32 s5, s37, s3
	v_lshlrev_b32_e32 v20, 1, v0
	v_mov_b32_e32 v1, s5
	v_add_co_u32_e32 v2, vcc, s4, v20
	v_addc_co_u32_e32 v3, vcc, 0, v1, vcc
	global_load_ushort v19, v20, s[4:5]
	global_load_ushort v18, v20, s[4:5] offset:512
	global_load_ushort v17, v20, s[4:5] offset:1024
	;; [unrolled: 1-line block ×7, first 2 shown]
	s_movk_i32 s4, 0x1000
	v_add_co_u32_e32 v1, vcc, s4, v2
	v_addc_co_u32_e32 v2, vcc, 0, v3, vcc
	global_load_ushort v10, v[1:2], off
	global_load_ushort v9, v[1:2], off offset:512
	global_load_ushort v8, v[1:2], off offset:1024
	;; [unrolled: 1-line block ×7, first 2 shown]
	s_waitcnt vmcnt(15)
	v_lshlrev_b32_e32 v1, 16, v19
	v_cmp_o_f32_e32 vcc, v1, v1
	v_mov_b32_e32 v11, v19
	s_and_saveexec_b64 s[4:5], vcc
	s_cbranch_execnz .LBB269_21
; %bb.6:
	s_or_b64 exec, exec, s[4:5]
	v_cmp_o_f32_e32 vcc, v1, v1
	s_and_saveexec_b64 s[4:5], vcc
	s_cbranch_execnz .LBB269_24
.LBB269_7:
	s_or_b64 exec, exec, s[4:5]
	v_cmp_o_f32_e32 vcc, v1, v1
	s_and_saveexec_b64 s[4:5], vcc
	s_cbranch_execnz .LBB269_27
.LBB269_8:
	s_or_b64 exec, exec, s[4:5]
	v_cmp_o_f32_e32 vcc, v1, v1
	s_and_saveexec_b64 s[4:5], vcc
	s_cbranch_execnz .LBB269_30
.LBB269_9:
	s_or_b64 exec, exec, s[4:5]
	v_cmp_o_f32_e32 vcc, v1, v1
	s_and_saveexec_b64 s[4:5], vcc
	s_cbranch_execnz .LBB269_33
.LBB269_10:
	s_or_b64 exec, exec, s[4:5]
	v_cmp_o_f32_e32 vcc, v1, v1
	s_and_saveexec_b64 s[4:5], vcc
	s_cbranch_execnz .LBB269_36
.LBB269_11:
	s_or_b64 exec, exec, s[4:5]
	v_cmp_o_f32_e32 vcc, v1, v1
	s_and_saveexec_b64 s[4:5], vcc
	s_cbranch_execnz .LBB269_39
.LBB269_12:
	s_or_b64 exec, exec, s[4:5]
	v_cmp_o_f32_e32 vcc, v1, v1
	s_and_saveexec_b64 s[4:5], vcc
	s_cbranch_execnz .LBB269_42
.LBB269_13:
	s_or_b64 exec, exec, s[4:5]
	v_cmp_o_f32_e32 vcc, v1, v1
	s_and_saveexec_b64 s[4:5], vcc
	s_cbranch_execnz .LBB269_45
.LBB269_14:
	s_or_b64 exec, exec, s[4:5]
	v_cmp_o_f32_e32 vcc, v1, v1
	s_and_saveexec_b64 s[4:5], vcc
	s_cbranch_execnz .LBB269_48
.LBB269_15:
	s_or_b64 exec, exec, s[4:5]
	v_cmp_o_f32_e32 vcc, v1, v1
	s_and_saveexec_b64 s[4:5], vcc
	s_cbranch_execnz .LBB269_51
.LBB269_16:
	s_or_b64 exec, exec, s[4:5]
	v_cmp_o_f32_e32 vcc, v1, v1
	s_and_saveexec_b64 s[4:5], vcc
	s_cbranch_execnz .LBB269_54
.LBB269_17:
	s_or_b64 exec, exec, s[4:5]
	v_cmp_o_f32_e32 vcc, v1, v1
	s_and_saveexec_b64 s[4:5], vcc
	s_cbranch_execnz .LBB269_57
.LBB269_18:
	s_or_b64 exec, exec, s[4:5]
	v_cmp_o_f32_e32 vcc, v1, v1
	s_and_saveexec_b64 s[4:5], vcc
	s_cbranch_execnz .LBB269_60
.LBB269_19:
	s_or_b64 exec, exec, s[4:5]
	v_cmp_o_f32_e32 vcc, v1, v1
	s_and_saveexec_b64 s[4:5], vcc
	s_cbranch_execnz .LBB269_63
	s_branch .LBB269_66
.LBB269_20:
                                        ; implicit-def: $vgpr3
	s_cbranch_execnz .LBB269_300
	s_branch .LBB269_402
.LBB269_21:
	s_waitcnt vmcnt(14)
	v_lshlrev_b32_e32 v2, 16, v18
	v_cmp_o_f32_e32 vcc, v2, v2
	v_mov_b32_e32 v11, v18
	s_and_saveexec_b64 s[8:9], vcc
; %bb.22:
	v_cmp_lt_f32_e32 vcc, v2, v1
	v_cndmask_b32_e32 v11, v19, v18, vcc
	v_lshlrev_b32_e32 v2, 16, v11
; %bb.23:
	s_or_b64 exec, exec, s[8:9]
	v_mov_b32_e32 v1, v2
	s_or_b64 exec, exec, s[4:5]
	v_cmp_o_f32_e32 vcc, v1, v1
	s_and_saveexec_b64 s[4:5], vcc
	s_cbranch_execz .LBB269_7
.LBB269_24:
	s_waitcnt vmcnt(13)
	v_lshlrev_b32_e32 v2, 16, v17
	v_cmp_o_f32_e32 vcc, v2, v2
	v_mov_b32_e32 v21, v17
	s_and_saveexec_b64 s[8:9], vcc
; %bb.25:
	v_cmp_gt_f32_e32 vcc, v1, v2
	v_cndmask_b32_e32 v21, v11, v17, vcc
	v_lshlrev_b32_e32 v2, 16, v21
; %bb.26:
	s_or_b64 exec, exec, s[8:9]
	v_mov_b32_e32 v1, v2
	v_mov_b32_e32 v11, v21
	s_or_b64 exec, exec, s[4:5]
	v_cmp_o_f32_e32 vcc, v1, v1
	s_and_saveexec_b64 s[4:5], vcc
	s_cbranch_execz .LBB269_8
.LBB269_27:
	s_waitcnt vmcnt(12)
	v_lshlrev_b32_e32 v2, 16, v16
	v_cmp_o_f32_e32 vcc, v2, v2
	v_mov_b32_e32 v21, v16
	s_and_saveexec_b64 s[8:9], vcc
; %bb.28:
	v_cmp_gt_f32_e32 vcc, v1, v2
	v_cndmask_b32_e32 v21, v11, v16, vcc
	v_lshlrev_b32_e32 v2, 16, v21
; %bb.29:
	s_or_b64 exec, exec, s[8:9]
	v_mov_b32_e32 v1, v2
	v_mov_b32_e32 v11, v21
	s_or_b64 exec, exec, s[4:5]
	v_cmp_o_f32_e32 vcc, v1, v1
	s_and_saveexec_b64 s[4:5], vcc
	s_cbranch_execz .LBB269_9
.LBB269_30:
	s_waitcnt vmcnt(11)
	v_lshlrev_b32_e32 v2, 16, v15
	v_cmp_o_f32_e32 vcc, v2, v2
	v_mov_b32_e32 v21, v15
	s_and_saveexec_b64 s[8:9], vcc
; %bb.31:
	v_cmp_gt_f32_e32 vcc, v1, v2
	v_cndmask_b32_e32 v21, v11, v15, vcc
	v_lshlrev_b32_e32 v2, 16, v21
; %bb.32:
	s_or_b64 exec, exec, s[8:9]
	v_mov_b32_e32 v1, v2
	v_mov_b32_e32 v11, v21
	s_or_b64 exec, exec, s[4:5]
	v_cmp_o_f32_e32 vcc, v1, v1
	s_and_saveexec_b64 s[4:5], vcc
	s_cbranch_execz .LBB269_10
.LBB269_33:
	s_waitcnt vmcnt(10)
	v_lshlrev_b32_e32 v2, 16, v14
	v_cmp_o_f32_e32 vcc, v2, v2
	v_mov_b32_e32 v21, v14
	s_and_saveexec_b64 s[8:9], vcc
; %bb.34:
	v_cmp_gt_f32_e32 vcc, v1, v2
	v_cndmask_b32_e32 v21, v11, v14, vcc
	v_lshlrev_b32_e32 v2, 16, v21
; %bb.35:
	s_or_b64 exec, exec, s[8:9]
	v_mov_b32_e32 v1, v2
	v_mov_b32_e32 v11, v21
	s_or_b64 exec, exec, s[4:5]
	v_cmp_o_f32_e32 vcc, v1, v1
	s_and_saveexec_b64 s[4:5], vcc
	s_cbranch_execz .LBB269_11
.LBB269_36:
	s_waitcnt vmcnt(9)
	v_lshlrev_b32_e32 v2, 16, v13
	v_cmp_o_f32_e32 vcc, v2, v2
	v_mov_b32_e32 v21, v13
	s_and_saveexec_b64 s[8:9], vcc
; %bb.37:
	v_cmp_gt_f32_e32 vcc, v1, v2
	v_cndmask_b32_e32 v21, v11, v13, vcc
	v_lshlrev_b32_e32 v2, 16, v21
; %bb.38:
	s_or_b64 exec, exec, s[8:9]
	v_mov_b32_e32 v1, v2
	v_mov_b32_e32 v11, v21
	s_or_b64 exec, exec, s[4:5]
	v_cmp_o_f32_e32 vcc, v1, v1
	s_and_saveexec_b64 s[4:5], vcc
	s_cbranch_execz .LBB269_12
.LBB269_39:
	s_waitcnt vmcnt(8)
	v_lshlrev_b32_e32 v2, 16, v12
	v_cmp_o_f32_e32 vcc, v2, v2
	v_mov_b32_e32 v21, v12
	s_and_saveexec_b64 s[8:9], vcc
; %bb.40:
	v_cmp_gt_f32_e32 vcc, v1, v2
	v_cndmask_b32_e32 v21, v11, v12, vcc
	v_lshlrev_b32_e32 v2, 16, v21
; %bb.41:
	s_or_b64 exec, exec, s[8:9]
	v_mov_b32_e32 v1, v2
	v_mov_b32_e32 v11, v21
	s_or_b64 exec, exec, s[4:5]
	v_cmp_o_f32_e32 vcc, v1, v1
	s_and_saveexec_b64 s[4:5], vcc
	s_cbranch_execz .LBB269_13
.LBB269_42:
	s_waitcnt vmcnt(7)
	v_lshlrev_b32_e32 v2, 16, v10
	v_cmp_o_f32_e32 vcc, v2, v2
	v_mov_b32_e32 v21, v10
	s_and_saveexec_b64 s[8:9], vcc
; %bb.43:
	v_cmp_gt_f32_e32 vcc, v1, v2
	v_cndmask_b32_e32 v21, v11, v10, vcc
	v_lshlrev_b32_e32 v2, 16, v21
; %bb.44:
	s_or_b64 exec, exec, s[8:9]
	v_mov_b32_e32 v1, v2
	v_mov_b32_e32 v11, v21
	s_or_b64 exec, exec, s[4:5]
	v_cmp_o_f32_e32 vcc, v1, v1
	s_and_saveexec_b64 s[4:5], vcc
	s_cbranch_execz .LBB269_14
.LBB269_45:
	s_waitcnt vmcnt(6)
	v_lshlrev_b32_e32 v2, 16, v9
	v_cmp_o_f32_e32 vcc, v2, v2
	v_mov_b32_e32 v21, v9
	s_and_saveexec_b64 s[8:9], vcc
; %bb.46:
	v_cmp_gt_f32_e32 vcc, v1, v2
	v_cndmask_b32_e32 v21, v11, v9, vcc
	v_lshlrev_b32_e32 v2, 16, v21
; %bb.47:
	s_or_b64 exec, exec, s[8:9]
	v_mov_b32_e32 v1, v2
	v_mov_b32_e32 v11, v21
	s_or_b64 exec, exec, s[4:5]
	v_cmp_o_f32_e32 vcc, v1, v1
	s_and_saveexec_b64 s[4:5], vcc
	s_cbranch_execz .LBB269_15
.LBB269_48:
	s_waitcnt vmcnt(5)
	v_lshlrev_b32_e32 v2, 16, v8
	v_cmp_o_f32_e32 vcc, v2, v2
	v_mov_b32_e32 v21, v8
	s_and_saveexec_b64 s[8:9], vcc
; %bb.49:
	v_cmp_gt_f32_e32 vcc, v1, v2
	v_cndmask_b32_e32 v21, v11, v8, vcc
	v_lshlrev_b32_e32 v2, 16, v21
; %bb.50:
	s_or_b64 exec, exec, s[8:9]
	v_mov_b32_e32 v1, v2
	v_mov_b32_e32 v11, v21
	s_or_b64 exec, exec, s[4:5]
	v_cmp_o_f32_e32 vcc, v1, v1
	s_and_saveexec_b64 s[4:5], vcc
	s_cbranch_execz .LBB269_16
.LBB269_51:
	s_waitcnt vmcnt(4)
	v_lshlrev_b32_e32 v2, 16, v7
	v_cmp_o_f32_e32 vcc, v2, v2
	v_mov_b32_e32 v21, v7
	s_and_saveexec_b64 s[8:9], vcc
; %bb.52:
	v_cmp_gt_f32_e32 vcc, v1, v2
	v_cndmask_b32_e32 v21, v11, v7, vcc
	v_lshlrev_b32_e32 v2, 16, v21
; %bb.53:
	s_or_b64 exec, exec, s[8:9]
	v_mov_b32_e32 v1, v2
	v_mov_b32_e32 v11, v21
	s_or_b64 exec, exec, s[4:5]
	v_cmp_o_f32_e32 vcc, v1, v1
	s_and_saveexec_b64 s[4:5], vcc
	s_cbranch_execz .LBB269_17
.LBB269_54:
	s_waitcnt vmcnt(3)
	v_lshlrev_b32_e32 v2, 16, v6
	v_cmp_o_f32_e32 vcc, v2, v2
	v_mov_b32_e32 v21, v6
	s_and_saveexec_b64 s[8:9], vcc
; %bb.55:
	v_cmp_gt_f32_e32 vcc, v1, v2
	v_cndmask_b32_e32 v21, v11, v6, vcc
	v_lshlrev_b32_e32 v2, 16, v21
; %bb.56:
	s_or_b64 exec, exec, s[8:9]
	v_mov_b32_e32 v1, v2
	v_mov_b32_e32 v11, v21
	s_or_b64 exec, exec, s[4:5]
	v_cmp_o_f32_e32 vcc, v1, v1
	s_and_saveexec_b64 s[4:5], vcc
	s_cbranch_execz .LBB269_18
.LBB269_57:
	s_waitcnt vmcnt(2)
	v_lshlrev_b32_e32 v2, 16, v5
	v_cmp_o_f32_e32 vcc, v2, v2
	v_mov_b32_e32 v21, v5
	s_and_saveexec_b64 s[8:9], vcc
; %bb.58:
	v_cmp_gt_f32_e32 vcc, v1, v2
	v_cndmask_b32_e32 v21, v11, v5, vcc
	v_lshlrev_b32_e32 v2, 16, v21
; %bb.59:
	s_or_b64 exec, exec, s[8:9]
	v_mov_b32_e32 v1, v2
	v_mov_b32_e32 v11, v21
	s_or_b64 exec, exec, s[4:5]
	v_cmp_o_f32_e32 vcc, v1, v1
	s_and_saveexec_b64 s[4:5], vcc
	s_cbranch_execz .LBB269_19
.LBB269_60:
	s_waitcnt vmcnt(1)
	v_lshlrev_b32_e32 v2, 16, v4
	v_cmp_o_f32_e32 vcc, v2, v2
	v_mov_b32_e32 v21, v4
	s_and_saveexec_b64 s[8:9], vcc
; %bb.61:
	v_cmp_gt_f32_e32 vcc, v1, v2
	v_cndmask_b32_e32 v21, v11, v4, vcc
	v_lshlrev_b32_e32 v2, 16, v21
; %bb.62:
	s_or_b64 exec, exec, s[8:9]
	v_mov_b32_e32 v1, v2
	v_mov_b32_e32 v11, v21
	s_or_b64 exec, exec, s[4:5]
	v_cmp_o_f32_e32 vcc, v1, v1
	s_and_saveexec_b64 s[4:5], vcc
	s_cbranch_execz .LBB269_66
.LBB269_63:
	s_waitcnt vmcnt(0)
	v_lshlrev_b32_e32 v21, 16, v3
	v_cmp_o_f32_e32 vcc, v21, v21
	v_mov_b32_e32 v2, v3
	s_and_saveexec_b64 s[8:9], vcc
; %bb.64:
	v_cmp_gt_f32_e32 vcc, v1, v21
	v_cndmask_b32_e32 v2, v11, v3, vcc
; %bb.65:
	s_or_b64 exec, exec, s[8:9]
	v_mov_b32_e32 v11, v2
.LBB269_66:
	s_or_b64 exec, exec, s[4:5]
	s_add_u32 s4, s44, 0x2000
	v_mov_b32_e32 v1, s42
	s_addc_u32 s5, s45, 0
	v_mov_b32_e32 v2, s43
	v_cmp_ge_i64_e32 vcc, s[4:5], v[1:2]
	s_cbranch_vccnz .LBB269_134
; %bb.67:
	s_add_u32 s2, s36, s2
	s_addc_u32 s3, s37, s3
	v_mov_b32_e32 v1, s3
	v_add_co_u32_e32 v2, vcc, s2, v20
	s_waitcnt vmcnt(0)
	v_addc_co_u32_e32 v3, vcc, 0, v1, vcc
	v_add_co_u32_e32 v1, vcc, 0x2000, v2
	v_addc_co_u32_e32 v2, vcc, 0, v3, vcc
.LBB269_68:                             ; =>This Inner Loop Header: Depth=1
	v_add_co_u32_e32 v21, vcc, 0x1000, v1
	v_addc_co_u32_e32 v22, vcc, 0, v2, vcc
	global_load_ushort v19, v[1:2], off
	global_load_ushort v18, v[1:2], off offset:512
	global_load_ushort v17, v[1:2], off offset:1024
	;; [unrolled: 1-line block ×7, first 2 shown]
	global_load_ushort v10, v[21:22], off
	global_load_ushort v9, v[21:22], off offset:512
	global_load_ushort v8, v[21:22], off offset:1024
	;; [unrolled: 1-line block ×7, first 2 shown]
	v_lshlrev_b32_e32 v21, 16, v11
	v_cmp_o_f32_e32 vcc, v21, v21
	s_and_saveexec_b64 s[2:3], vcc
	s_cbranch_execnz .LBB269_84
; %bb.69:                               ;   in Loop: Header=BB269_68 Depth=1
	s_or_b64 exec, exec, s[2:3]
	v_cmp_o_f32_e32 vcc, v21, v21
	s_and_saveexec_b64 s[2:3], vcc
	s_cbranch_execnz .LBB269_87
.LBB269_70:                             ;   in Loop: Header=BB269_68 Depth=1
	s_or_b64 exec, exec, s[2:3]
	v_cmp_o_f32_e32 vcc, v21, v21
	s_and_saveexec_b64 s[2:3], vcc
	s_cbranch_execnz .LBB269_90
.LBB269_71:                             ;   in Loop: Header=BB269_68 Depth=1
	s_or_b64 exec, exec, s[2:3]
	v_cmp_o_f32_e32 vcc, v21, v21
	s_and_saveexec_b64 s[2:3], vcc
	s_cbranch_execnz .LBB269_93
.LBB269_72:                             ;   in Loop: Header=BB269_68 Depth=1
	s_or_b64 exec, exec, s[2:3]
	v_cmp_o_f32_e32 vcc, v21, v21
	s_and_saveexec_b64 s[2:3], vcc
	s_cbranch_execnz .LBB269_96
.LBB269_73:                             ;   in Loop: Header=BB269_68 Depth=1
	s_or_b64 exec, exec, s[2:3]
	v_cmp_o_f32_e32 vcc, v21, v21
	s_and_saveexec_b64 s[2:3], vcc
	s_cbranch_execnz .LBB269_99
.LBB269_74:                             ;   in Loop: Header=BB269_68 Depth=1
	s_or_b64 exec, exec, s[2:3]
	v_cmp_o_f32_e32 vcc, v21, v21
	s_and_saveexec_b64 s[2:3], vcc
	s_cbranch_execnz .LBB269_102
.LBB269_75:                             ;   in Loop: Header=BB269_68 Depth=1
	s_or_b64 exec, exec, s[2:3]
	v_cmp_o_f32_e32 vcc, v21, v21
	s_and_saveexec_b64 s[2:3], vcc
	s_cbranch_execnz .LBB269_105
.LBB269_76:                             ;   in Loop: Header=BB269_68 Depth=1
	s_or_b64 exec, exec, s[2:3]
	v_cmp_o_f32_e32 vcc, v21, v21
	s_and_saveexec_b64 s[2:3], vcc
	s_cbranch_execnz .LBB269_108
.LBB269_77:                             ;   in Loop: Header=BB269_68 Depth=1
	s_or_b64 exec, exec, s[2:3]
	v_cmp_o_f32_e32 vcc, v21, v21
	s_and_saveexec_b64 s[2:3], vcc
	s_cbranch_execnz .LBB269_111
.LBB269_78:                             ;   in Loop: Header=BB269_68 Depth=1
	s_or_b64 exec, exec, s[2:3]
	v_cmp_o_f32_e32 vcc, v21, v21
	s_and_saveexec_b64 s[2:3], vcc
	s_cbranch_execnz .LBB269_114
.LBB269_79:                             ;   in Loop: Header=BB269_68 Depth=1
	s_or_b64 exec, exec, s[2:3]
	v_cmp_o_f32_e32 vcc, v21, v21
	s_and_saveexec_b64 s[2:3], vcc
	s_cbranch_execnz .LBB269_117
.LBB269_80:                             ;   in Loop: Header=BB269_68 Depth=1
	s_or_b64 exec, exec, s[2:3]
	v_cmp_o_f32_e32 vcc, v21, v21
	s_and_saveexec_b64 s[2:3], vcc
	s_cbranch_execnz .LBB269_120
.LBB269_81:                             ;   in Loop: Header=BB269_68 Depth=1
	s_or_b64 exec, exec, s[2:3]
	v_cmp_o_f32_e32 vcc, v21, v21
	s_and_saveexec_b64 s[2:3], vcc
	s_cbranch_execnz .LBB269_123
.LBB269_82:                             ;   in Loop: Header=BB269_68 Depth=1
	s_or_b64 exec, exec, s[2:3]
	v_cmp_o_f32_e32 vcc, v21, v21
	s_and_saveexec_b64 s[2:3], vcc
	s_cbranch_execnz .LBB269_126
.LBB269_83:                             ;   in Loop: Header=BB269_68 Depth=1
	s_or_b64 exec, exec, s[2:3]
	v_cmp_o_f32_e32 vcc, v21, v21
	s_and_saveexec_b64 s[2:3], vcc
	s_cbranch_execnz .LBB269_129
	s_branch .LBB269_132
.LBB269_84:                             ;   in Loop: Header=BB269_68 Depth=1
	s_waitcnt vmcnt(15)
	v_lshlrev_b32_e32 v22, 16, v19
	v_cmp_o_f32_e32 vcc, v22, v22
	v_mov_b32_e32 v23, v19
	s_and_saveexec_b64 s[4:5], vcc
; %bb.85:                               ;   in Loop: Header=BB269_68 Depth=1
	v_cmp_lt_f32_e32 vcc, v22, v21
	v_cndmask_b32_e32 v23, v11, v19, vcc
	v_lshlrev_b32_e32 v22, 16, v23
; %bb.86:                               ;   in Loop: Header=BB269_68 Depth=1
	s_or_b64 exec, exec, s[4:5]
	v_mov_b32_e32 v21, v22
	v_mov_b32_e32 v11, v23
	s_or_b64 exec, exec, s[2:3]
	v_cmp_o_f32_e32 vcc, v21, v21
	s_and_saveexec_b64 s[2:3], vcc
	s_cbranch_execz .LBB269_70
.LBB269_87:                             ;   in Loop: Header=BB269_68 Depth=1
	s_waitcnt vmcnt(14)
	v_lshlrev_b32_e32 v22, 16, v18
	v_cmp_o_f32_e32 vcc, v22, v22
	v_mov_b32_e32 v23, v18
	s_and_saveexec_b64 s[4:5], vcc
; %bb.88:                               ;   in Loop: Header=BB269_68 Depth=1
	v_cmp_gt_f32_e32 vcc, v21, v22
	v_cndmask_b32_e32 v23, v11, v18, vcc
	v_lshlrev_b32_e32 v22, 16, v23
; %bb.89:                               ;   in Loop: Header=BB269_68 Depth=1
	s_or_b64 exec, exec, s[4:5]
	v_mov_b32_e32 v21, v22
	v_mov_b32_e32 v11, v23
	s_or_b64 exec, exec, s[2:3]
	v_cmp_o_f32_e32 vcc, v21, v21
	s_and_saveexec_b64 s[2:3], vcc
	s_cbranch_execz .LBB269_71
.LBB269_90:                             ;   in Loop: Header=BB269_68 Depth=1
	s_waitcnt vmcnt(13)
	v_lshlrev_b32_e32 v22, 16, v17
	v_cmp_o_f32_e32 vcc, v22, v22
	v_mov_b32_e32 v23, v17
	s_and_saveexec_b64 s[4:5], vcc
; %bb.91:                               ;   in Loop: Header=BB269_68 Depth=1
	v_cmp_gt_f32_e32 vcc, v21, v22
	v_cndmask_b32_e32 v23, v11, v17, vcc
	v_lshlrev_b32_e32 v22, 16, v23
; %bb.92:                               ;   in Loop: Header=BB269_68 Depth=1
	s_or_b64 exec, exec, s[4:5]
	v_mov_b32_e32 v21, v22
	v_mov_b32_e32 v11, v23
	s_or_b64 exec, exec, s[2:3]
	v_cmp_o_f32_e32 vcc, v21, v21
	s_and_saveexec_b64 s[2:3], vcc
	s_cbranch_execz .LBB269_72
.LBB269_93:                             ;   in Loop: Header=BB269_68 Depth=1
	s_waitcnt vmcnt(12)
	v_lshlrev_b32_e32 v22, 16, v16
	v_cmp_o_f32_e32 vcc, v22, v22
	v_mov_b32_e32 v23, v16
	s_and_saveexec_b64 s[4:5], vcc
; %bb.94:                               ;   in Loop: Header=BB269_68 Depth=1
	v_cmp_gt_f32_e32 vcc, v21, v22
	v_cndmask_b32_e32 v23, v11, v16, vcc
	v_lshlrev_b32_e32 v22, 16, v23
; %bb.95:                               ;   in Loop: Header=BB269_68 Depth=1
	s_or_b64 exec, exec, s[4:5]
	v_mov_b32_e32 v21, v22
	v_mov_b32_e32 v11, v23
	s_or_b64 exec, exec, s[2:3]
	v_cmp_o_f32_e32 vcc, v21, v21
	s_and_saveexec_b64 s[2:3], vcc
	s_cbranch_execz .LBB269_73
.LBB269_96:                             ;   in Loop: Header=BB269_68 Depth=1
	s_waitcnt vmcnt(11)
	v_lshlrev_b32_e32 v22, 16, v15
	v_cmp_o_f32_e32 vcc, v22, v22
	v_mov_b32_e32 v23, v15
	s_and_saveexec_b64 s[4:5], vcc
; %bb.97:                               ;   in Loop: Header=BB269_68 Depth=1
	v_cmp_gt_f32_e32 vcc, v21, v22
	v_cndmask_b32_e32 v23, v11, v15, vcc
	v_lshlrev_b32_e32 v22, 16, v23
; %bb.98:                               ;   in Loop: Header=BB269_68 Depth=1
	s_or_b64 exec, exec, s[4:5]
	v_mov_b32_e32 v21, v22
	v_mov_b32_e32 v11, v23
	s_or_b64 exec, exec, s[2:3]
	v_cmp_o_f32_e32 vcc, v21, v21
	s_and_saveexec_b64 s[2:3], vcc
	s_cbranch_execz .LBB269_74
.LBB269_99:                             ;   in Loop: Header=BB269_68 Depth=1
	s_waitcnt vmcnt(10)
	v_lshlrev_b32_e32 v22, 16, v14
	v_cmp_o_f32_e32 vcc, v22, v22
	v_mov_b32_e32 v23, v14
	s_and_saveexec_b64 s[4:5], vcc
; %bb.100:                              ;   in Loop: Header=BB269_68 Depth=1
	v_cmp_gt_f32_e32 vcc, v21, v22
	v_cndmask_b32_e32 v23, v11, v14, vcc
	v_lshlrev_b32_e32 v22, 16, v23
; %bb.101:                              ;   in Loop: Header=BB269_68 Depth=1
	s_or_b64 exec, exec, s[4:5]
	v_mov_b32_e32 v21, v22
	v_mov_b32_e32 v11, v23
	s_or_b64 exec, exec, s[2:3]
	v_cmp_o_f32_e32 vcc, v21, v21
	s_and_saveexec_b64 s[2:3], vcc
	s_cbranch_execz .LBB269_75
.LBB269_102:                            ;   in Loop: Header=BB269_68 Depth=1
	s_waitcnt vmcnt(9)
	v_lshlrev_b32_e32 v22, 16, v13
	v_cmp_o_f32_e32 vcc, v22, v22
	v_mov_b32_e32 v23, v13
	s_and_saveexec_b64 s[4:5], vcc
; %bb.103:                              ;   in Loop: Header=BB269_68 Depth=1
	v_cmp_gt_f32_e32 vcc, v21, v22
	v_cndmask_b32_e32 v23, v11, v13, vcc
	v_lshlrev_b32_e32 v22, 16, v23
; %bb.104:                              ;   in Loop: Header=BB269_68 Depth=1
	s_or_b64 exec, exec, s[4:5]
	v_mov_b32_e32 v21, v22
	v_mov_b32_e32 v11, v23
	s_or_b64 exec, exec, s[2:3]
	v_cmp_o_f32_e32 vcc, v21, v21
	s_and_saveexec_b64 s[2:3], vcc
	s_cbranch_execz .LBB269_76
.LBB269_105:                            ;   in Loop: Header=BB269_68 Depth=1
	s_waitcnt vmcnt(8)
	v_lshlrev_b32_e32 v22, 16, v12
	v_cmp_o_f32_e32 vcc, v22, v22
	v_mov_b32_e32 v23, v12
	s_and_saveexec_b64 s[4:5], vcc
; %bb.106:                              ;   in Loop: Header=BB269_68 Depth=1
	v_cmp_gt_f32_e32 vcc, v21, v22
	v_cndmask_b32_e32 v23, v11, v12, vcc
	v_lshlrev_b32_e32 v22, 16, v23
; %bb.107:                              ;   in Loop: Header=BB269_68 Depth=1
	s_or_b64 exec, exec, s[4:5]
	v_mov_b32_e32 v21, v22
	v_mov_b32_e32 v11, v23
	s_or_b64 exec, exec, s[2:3]
	v_cmp_o_f32_e32 vcc, v21, v21
	s_and_saveexec_b64 s[2:3], vcc
	s_cbranch_execz .LBB269_77
.LBB269_108:                            ;   in Loop: Header=BB269_68 Depth=1
	s_waitcnt vmcnt(7)
	v_lshlrev_b32_e32 v22, 16, v10
	v_cmp_o_f32_e32 vcc, v22, v22
	v_mov_b32_e32 v23, v10
	s_and_saveexec_b64 s[4:5], vcc
; %bb.109:                              ;   in Loop: Header=BB269_68 Depth=1
	v_cmp_gt_f32_e32 vcc, v21, v22
	v_cndmask_b32_e32 v23, v11, v10, vcc
	v_lshlrev_b32_e32 v22, 16, v23
; %bb.110:                              ;   in Loop: Header=BB269_68 Depth=1
	s_or_b64 exec, exec, s[4:5]
	v_mov_b32_e32 v21, v22
	v_mov_b32_e32 v11, v23
	s_or_b64 exec, exec, s[2:3]
	v_cmp_o_f32_e32 vcc, v21, v21
	s_and_saveexec_b64 s[2:3], vcc
	s_cbranch_execz .LBB269_78
.LBB269_111:                            ;   in Loop: Header=BB269_68 Depth=1
	s_waitcnt vmcnt(6)
	v_lshlrev_b32_e32 v22, 16, v9
	v_cmp_o_f32_e32 vcc, v22, v22
	v_mov_b32_e32 v23, v9
	s_and_saveexec_b64 s[4:5], vcc
; %bb.112:                              ;   in Loop: Header=BB269_68 Depth=1
	v_cmp_gt_f32_e32 vcc, v21, v22
	v_cndmask_b32_e32 v23, v11, v9, vcc
	v_lshlrev_b32_e32 v22, 16, v23
; %bb.113:                              ;   in Loop: Header=BB269_68 Depth=1
	s_or_b64 exec, exec, s[4:5]
	v_mov_b32_e32 v21, v22
	v_mov_b32_e32 v11, v23
	s_or_b64 exec, exec, s[2:3]
	v_cmp_o_f32_e32 vcc, v21, v21
	s_and_saveexec_b64 s[2:3], vcc
	s_cbranch_execz .LBB269_79
.LBB269_114:                            ;   in Loop: Header=BB269_68 Depth=1
	s_waitcnt vmcnt(5)
	v_lshlrev_b32_e32 v22, 16, v8
	v_cmp_o_f32_e32 vcc, v22, v22
	v_mov_b32_e32 v23, v8
	s_and_saveexec_b64 s[4:5], vcc
; %bb.115:                              ;   in Loop: Header=BB269_68 Depth=1
	v_cmp_gt_f32_e32 vcc, v21, v22
	v_cndmask_b32_e32 v23, v11, v8, vcc
	v_lshlrev_b32_e32 v22, 16, v23
; %bb.116:                              ;   in Loop: Header=BB269_68 Depth=1
	s_or_b64 exec, exec, s[4:5]
	v_mov_b32_e32 v21, v22
	v_mov_b32_e32 v11, v23
	s_or_b64 exec, exec, s[2:3]
	v_cmp_o_f32_e32 vcc, v21, v21
	s_and_saveexec_b64 s[2:3], vcc
	s_cbranch_execz .LBB269_80
.LBB269_117:                            ;   in Loop: Header=BB269_68 Depth=1
	s_waitcnt vmcnt(4)
	v_lshlrev_b32_e32 v22, 16, v7
	v_cmp_o_f32_e32 vcc, v22, v22
	v_mov_b32_e32 v23, v7
	s_and_saveexec_b64 s[4:5], vcc
; %bb.118:                              ;   in Loop: Header=BB269_68 Depth=1
	v_cmp_gt_f32_e32 vcc, v21, v22
	v_cndmask_b32_e32 v23, v11, v7, vcc
	v_lshlrev_b32_e32 v22, 16, v23
; %bb.119:                              ;   in Loop: Header=BB269_68 Depth=1
	s_or_b64 exec, exec, s[4:5]
	v_mov_b32_e32 v21, v22
	v_mov_b32_e32 v11, v23
	s_or_b64 exec, exec, s[2:3]
	v_cmp_o_f32_e32 vcc, v21, v21
	s_and_saveexec_b64 s[2:3], vcc
	s_cbranch_execz .LBB269_81
.LBB269_120:                            ;   in Loop: Header=BB269_68 Depth=1
	s_waitcnt vmcnt(3)
	v_lshlrev_b32_e32 v22, 16, v6
	v_cmp_o_f32_e32 vcc, v22, v22
	v_mov_b32_e32 v23, v6
	s_and_saveexec_b64 s[4:5], vcc
; %bb.121:                              ;   in Loop: Header=BB269_68 Depth=1
	v_cmp_gt_f32_e32 vcc, v21, v22
	v_cndmask_b32_e32 v23, v11, v6, vcc
	v_lshlrev_b32_e32 v22, 16, v23
; %bb.122:                              ;   in Loop: Header=BB269_68 Depth=1
	s_or_b64 exec, exec, s[4:5]
	v_mov_b32_e32 v21, v22
	v_mov_b32_e32 v11, v23
	s_or_b64 exec, exec, s[2:3]
	v_cmp_o_f32_e32 vcc, v21, v21
	s_and_saveexec_b64 s[2:3], vcc
	s_cbranch_execz .LBB269_82
.LBB269_123:                            ;   in Loop: Header=BB269_68 Depth=1
	s_waitcnt vmcnt(2)
	v_lshlrev_b32_e32 v22, 16, v5
	v_cmp_o_f32_e32 vcc, v22, v22
	v_mov_b32_e32 v23, v5
	s_and_saveexec_b64 s[4:5], vcc
; %bb.124:                              ;   in Loop: Header=BB269_68 Depth=1
	v_cmp_gt_f32_e32 vcc, v21, v22
	v_cndmask_b32_e32 v23, v11, v5, vcc
	v_lshlrev_b32_e32 v22, 16, v23
; %bb.125:                              ;   in Loop: Header=BB269_68 Depth=1
	s_or_b64 exec, exec, s[4:5]
	v_mov_b32_e32 v21, v22
	v_mov_b32_e32 v11, v23
	s_or_b64 exec, exec, s[2:3]
	v_cmp_o_f32_e32 vcc, v21, v21
	s_and_saveexec_b64 s[2:3], vcc
	s_cbranch_execz .LBB269_83
.LBB269_126:                            ;   in Loop: Header=BB269_68 Depth=1
	s_waitcnt vmcnt(1)
	v_lshlrev_b32_e32 v22, 16, v4
	v_cmp_o_f32_e32 vcc, v22, v22
	v_mov_b32_e32 v23, v4
	s_and_saveexec_b64 s[4:5], vcc
; %bb.127:                              ;   in Loop: Header=BB269_68 Depth=1
	v_cmp_gt_f32_e32 vcc, v21, v22
	v_cndmask_b32_e32 v23, v11, v4, vcc
	v_lshlrev_b32_e32 v22, 16, v23
; %bb.128:                              ;   in Loop: Header=BB269_68 Depth=1
	s_or_b64 exec, exec, s[4:5]
	v_mov_b32_e32 v21, v22
	v_mov_b32_e32 v11, v23
	s_or_b64 exec, exec, s[2:3]
	v_cmp_o_f32_e32 vcc, v21, v21
	s_and_saveexec_b64 s[2:3], vcc
	s_cbranch_execz .LBB269_132
.LBB269_129:                            ;   in Loop: Header=BB269_68 Depth=1
	s_waitcnt vmcnt(0)
	v_lshlrev_b32_e32 v23, 16, v3
	v_cmp_o_f32_e32 vcc, v23, v23
	v_mov_b32_e32 v22, v3
	s_and_saveexec_b64 s[4:5], vcc
; %bb.130:                              ;   in Loop: Header=BB269_68 Depth=1
	v_cmp_gt_f32_e32 vcc, v21, v23
	v_cndmask_b32_e32 v22, v11, v3, vcc
; %bb.131:                              ;   in Loop: Header=BB269_68 Depth=1
	s_or_b64 exec, exec, s[4:5]
	v_mov_b32_e32 v11, v22
.LBB269_132:                            ;   in Loop: Header=BB269_68 Depth=1
	s_or_b64 exec, exec, s[2:3]
	s_add_u32 s2, s0, 0x1000
	s_addc_u32 s3, s1, 0
	s_add_u32 s0, s0, 0x2000
	v_mov_b32_e32 v21, s42
	s_addc_u32 s1, s1, 0
	v_mov_b32_e32 v22, s43
	v_add_co_u32_e32 v1, vcc, 0x2000, v1
	v_cmp_lt_i64_e64 s[0:1], s[0:1], v[21:22]
	v_addc_co_u32_e32 v2, vcc, 0, v2, vcc
	s_and_b64 vcc, exec, s[0:1]
	s_cbranch_vccz .LBB269_135
; %bb.133:                              ;   in Loop: Header=BB269_68 Depth=1
	s_mov_b64 s[0:1], s[2:3]
	s_branch .LBB269_68
.LBB269_134:
	s_mov_b64 s[2:3], s[0:1]
.LBB269_135:
	s_sub_i32 s50, s42, s2
	s_lshl_b64 s[0:1], s[2:3], 1
	s_add_u32 s46, s36, s0
	s_addc_u32 s47, s37, s1
	v_cmp_gt_u32_e64 s[30:31], s50, v0
	s_and_saveexec_b64 s[0:1], s[30:31]
	s_cbranch_execz .LBB269_137
; %bb.136:
	global_load_ushort v19, v20, s[46:47]
.LBB269_137:
	s_or_b64 exec, exec, s[0:1]
	v_or_b32_e32 v1, 0x100, v0
	v_cmp_gt_u32_e64 s[28:29], s50, v1
	s_and_saveexec_b64 s[0:1], s[28:29]
	s_cbranch_execz .LBB269_139
; %bb.138:
	global_load_ushort v18, v20, s[46:47] offset:512
.LBB269_139:
	s_or_b64 exec, exec, s[0:1]
	v_or_b32_e32 v1, 0x200, v0
	v_cmp_gt_u32_e64 s[26:27], s50, v1
	s_and_saveexec_b64 s[0:1], s[26:27]
	s_cbranch_execz .LBB269_141
; %bb.140:
	global_load_ushort v17, v20, s[46:47] offset:1024
.LBB269_141:
	;; [unrolled: 8-line block ×7, first 2 shown]
	s_or_b64 exec, exec, s[0:1]
	v_or_b32_e32 v1, 0x800, v0
	v_cmp_gt_u32_e64 s[14:15], s50, v1
	s_and_saveexec_b64 s[0:1], s[14:15]
	s_cbranch_execz .LBB269_153
; %bb.152:
	v_lshlrev_b32_e32 v1, 1, v1
	global_load_ushort v10, v1, s[46:47]
.LBB269_153:
	s_or_b64 exec, exec, s[0:1]
	v_or_b32_e32 v1, 0x900, v0
	v_cmp_gt_u32_e64 s[12:13], s50, v1
	s_and_saveexec_b64 s[0:1], s[12:13]
	s_cbranch_execz .LBB269_155
; %bb.154:
	v_lshlrev_b32_e32 v1, 1, v1
	global_load_ushort v9, v1, s[46:47]
.LBB269_155:
	s_or_b64 exec, exec, s[0:1]
	v_or_b32_e32 v1, 0xa00, v0
	v_cmp_gt_u32_e64 s[10:11], s50, v1
	s_and_saveexec_b64 s[0:1], s[10:11]
	s_cbranch_execz .LBB269_157
; %bb.156:
	v_lshlrev_b32_e32 v1, 1, v1
	global_load_ushort v8, v1, s[46:47]
.LBB269_157:
	s_or_b64 exec, exec, s[0:1]
	v_or_b32_e32 v1, 0xb00, v0
	v_cmp_gt_u32_e64 s[8:9], s50, v1
	s_and_saveexec_b64 s[0:1], s[8:9]
	s_cbranch_execz .LBB269_159
; %bb.158:
	v_lshlrev_b32_e32 v1, 1, v1
	global_load_ushort v7, v1, s[46:47]
.LBB269_159:
	s_or_b64 exec, exec, s[0:1]
	v_or_b32_e32 v1, 0xc00, v0
	v_cmp_gt_u32_e64 s[4:5], s50, v1
	s_and_saveexec_b64 s[0:1], s[4:5]
	s_cbranch_execz .LBB269_161
; %bb.160:
	v_lshlrev_b32_e32 v1, 1, v1
	global_load_ushort v6, v1, s[46:47]
.LBB269_161:
	s_or_b64 exec, exec, s[0:1]
	v_or_b32_e32 v1, 0xd00, v0
	v_cmp_gt_u32_e64 s[2:3], s50, v1
	s_and_saveexec_b64 s[0:1], s[2:3]
	s_cbranch_execz .LBB269_163
; %bb.162:
	v_lshlrev_b32_e32 v1, 1, v1
	global_load_ushort v5, v1, s[46:47]
.LBB269_163:
	s_or_b64 exec, exec, s[0:1]
	v_or_b32_e32 v1, 0xe00, v0
	v_cmp_gt_u32_e64 s[0:1], s50, v1
	s_and_saveexec_b64 s[48:49], s[0:1]
	s_cbranch_execz .LBB269_165
; %bb.164:
	v_lshlrev_b32_e32 v1, 1, v1
	global_load_ushort v4, v1, s[46:47]
.LBB269_165:
	s_or_b64 exec, exec, s[48:49]
	v_or_b32_e32 v1, 0xf00, v0
	v_cmp_gt_u32_e32 vcc, s50, v1
	s_and_saveexec_b64 s[48:49], vcc
	s_cbranch_execnz .LBB269_182
; %bb.166:
	s_or_b64 exec, exec, s[48:49]
	s_and_saveexec_b64 s[46:47], s[30:31]
	s_cbranch_execnz .LBB269_183
.LBB269_167:
	s_or_b64 exec, exec, s[46:47]
	s_and_saveexec_b64 s[30:31], s[28:29]
	s_cbranch_execnz .LBB269_188
.LBB269_168:
	s_or_b64 exec, exec, s[30:31]
	s_and_saveexec_b64 s[28:29], s[26:27]
	s_cbranch_execnz .LBB269_193
.LBB269_169:
	s_or_b64 exec, exec, s[28:29]
	s_and_saveexec_b64 s[26:27], s[24:25]
	s_cbranch_execnz .LBB269_198
.LBB269_170:
	s_or_b64 exec, exec, s[26:27]
	s_and_saveexec_b64 s[24:25], s[22:23]
	s_cbranch_execnz .LBB269_203
.LBB269_171:
	s_or_b64 exec, exec, s[24:25]
	s_and_saveexec_b64 s[22:23], s[20:21]
	s_cbranch_execnz .LBB269_208
.LBB269_172:
	s_or_b64 exec, exec, s[22:23]
	s_and_saveexec_b64 s[20:21], s[18:19]
	s_cbranch_execnz .LBB269_213
.LBB269_173:
	s_or_b64 exec, exec, s[20:21]
	s_and_saveexec_b64 s[18:19], s[16:17]
	s_cbranch_execnz .LBB269_218
.LBB269_174:
	s_or_b64 exec, exec, s[18:19]
	s_and_saveexec_b64 s[16:17], s[14:15]
	s_cbranch_execnz .LBB269_223
.LBB269_175:
	s_or_b64 exec, exec, s[16:17]
	s_and_saveexec_b64 s[14:15], s[12:13]
	s_cbranch_execnz .LBB269_228
.LBB269_176:
	s_or_b64 exec, exec, s[14:15]
	s_and_saveexec_b64 s[12:13], s[10:11]
	s_cbranch_execnz .LBB269_233
.LBB269_177:
	s_or_b64 exec, exec, s[12:13]
	s_and_saveexec_b64 s[10:11], s[8:9]
	s_cbranch_execnz .LBB269_238
.LBB269_178:
	s_or_b64 exec, exec, s[10:11]
	s_and_saveexec_b64 s[8:9], s[4:5]
	s_cbranch_execnz .LBB269_243
.LBB269_179:
	s_or_b64 exec, exec, s[8:9]
	s_and_saveexec_b64 s[4:5], s[2:3]
	s_cbranch_execnz .LBB269_248
.LBB269_180:
	s_or_b64 exec, exec, s[4:5]
	s_and_saveexec_b64 s[2:3], s[0:1]
	s_cbranch_execnz .LBB269_253
.LBB269_181:
	s_or_b64 exec, exec, s[2:3]
	s_and_saveexec_b64 s[0:1], vcc
	s_cbranch_execnz .LBB269_258
	s_branch .LBB269_263
.LBB269_182:
	v_lshlrev_b32_e32 v1, 1, v1
	global_load_ushort v3, v1, s[46:47]
	s_or_b64 exec, exec, s[48:49]
	s_and_saveexec_b64 s[46:47], s[30:31]
	s_cbranch_execz .LBB269_167
.LBB269_183:
	v_lshlrev_b32_e32 v1, 16, v11
	v_cmp_o_f32_e64 s[30:31], v1, v1
	s_and_saveexec_b64 s[48:49], s[30:31]
	s_cbranch_execz .LBB269_187
; %bb.184:
	s_waitcnt vmcnt(0)
	v_lshlrev_b32_e32 v2, 16, v19
	v_cmp_o_f32_e64 s[30:31], v2, v2
	s_and_saveexec_b64 s[50:51], s[30:31]
; %bb.185:
	v_cmp_lt_f32_e64 s[30:31], v2, v1
	v_cndmask_b32_e64 v19, v11, v19, s[30:31]
; %bb.186:
	s_or_b64 exec, exec, s[50:51]
	v_mov_b32_e32 v11, v19
.LBB269_187:
	s_or_b64 exec, exec, s[48:49]
	s_or_b64 exec, exec, s[46:47]
	s_and_saveexec_b64 s[30:31], s[28:29]
	s_cbranch_execz .LBB269_168
.LBB269_188:
	v_lshlrev_b32_e32 v1, 16, v11
	v_cmp_o_f32_e64 s[28:29], v1, v1
	s_and_saveexec_b64 s[46:47], s[28:29]
	s_cbranch_execz .LBB269_192
; %bb.189:
	s_waitcnt vmcnt(0)
	v_lshlrev_b32_e32 v2, 16, v18
	v_cmp_o_f32_e64 s[28:29], v2, v2
	s_and_saveexec_b64 s[48:49], s[28:29]
; %bb.190:
	v_cmp_lt_f32_e64 s[28:29], v2, v1
	v_cndmask_b32_e64 v18, v11, v18, s[28:29]
; %bb.191:
	s_or_b64 exec, exec, s[48:49]
	v_mov_b32_e32 v11, v18
.LBB269_192:
	s_or_b64 exec, exec, s[46:47]
	s_or_b64 exec, exec, s[30:31]
	s_and_saveexec_b64 s[28:29], s[26:27]
	s_cbranch_execz .LBB269_169
.LBB269_193:
	v_lshlrev_b32_e32 v1, 16, v11
	v_cmp_o_f32_e64 s[26:27], v1, v1
	s_and_saveexec_b64 s[30:31], s[26:27]
	s_cbranch_execz .LBB269_197
; %bb.194:
	s_waitcnt vmcnt(0)
	v_lshlrev_b32_e32 v2, 16, v17
	v_cmp_o_f32_e64 s[26:27], v2, v2
	s_and_saveexec_b64 s[46:47], s[26:27]
; %bb.195:
	v_cmp_lt_f32_e64 s[26:27], v2, v1
	v_cndmask_b32_e64 v17, v11, v17, s[26:27]
; %bb.196:
	s_or_b64 exec, exec, s[46:47]
	v_mov_b32_e32 v11, v17
.LBB269_197:
	s_or_b64 exec, exec, s[30:31]
	s_or_b64 exec, exec, s[28:29]
	s_and_saveexec_b64 s[26:27], s[24:25]
	s_cbranch_execz .LBB269_170
.LBB269_198:
	v_lshlrev_b32_e32 v1, 16, v11
	v_cmp_o_f32_e64 s[24:25], v1, v1
	s_and_saveexec_b64 s[28:29], s[24:25]
	s_cbranch_execz .LBB269_202
; %bb.199:
	s_waitcnt vmcnt(0)
	v_lshlrev_b32_e32 v2, 16, v16
	v_cmp_o_f32_e64 s[24:25], v2, v2
	s_and_saveexec_b64 s[30:31], s[24:25]
; %bb.200:
	v_cmp_lt_f32_e64 s[24:25], v2, v1
	v_cndmask_b32_e64 v16, v11, v16, s[24:25]
; %bb.201:
	s_or_b64 exec, exec, s[30:31]
	v_mov_b32_e32 v11, v16
.LBB269_202:
	s_or_b64 exec, exec, s[28:29]
	s_or_b64 exec, exec, s[26:27]
	s_and_saveexec_b64 s[24:25], s[22:23]
	s_cbranch_execz .LBB269_171
.LBB269_203:
	v_lshlrev_b32_e32 v1, 16, v11
	v_cmp_o_f32_e64 s[22:23], v1, v1
	s_and_saveexec_b64 s[26:27], s[22:23]
	s_cbranch_execz .LBB269_207
; %bb.204:
	s_waitcnt vmcnt(0)
	v_lshlrev_b32_e32 v2, 16, v15
	v_cmp_o_f32_e64 s[22:23], v2, v2
	s_and_saveexec_b64 s[28:29], s[22:23]
; %bb.205:
	v_cmp_lt_f32_e64 s[22:23], v2, v1
	v_cndmask_b32_e64 v15, v11, v15, s[22:23]
; %bb.206:
	s_or_b64 exec, exec, s[28:29]
	v_mov_b32_e32 v11, v15
.LBB269_207:
	s_or_b64 exec, exec, s[26:27]
	s_or_b64 exec, exec, s[24:25]
	s_and_saveexec_b64 s[22:23], s[20:21]
	s_cbranch_execz .LBB269_172
.LBB269_208:
	v_lshlrev_b32_e32 v1, 16, v11
	v_cmp_o_f32_e64 s[20:21], v1, v1
	s_and_saveexec_b64 s[24:25], s[20:21]
	s_cbranch_execz .LBB269_212
; %bb.209:
	s_waitcnt vmcnt(0)
	v_lshlrev_b32_e32 v2, 16, v14
	v_cmp_o_f32_e64 s[20:21], v2, v2
	s_and_saveexec_b64 s[26:27], s[20:21]
; %bb.210:
	v_cmp_lt_f32_e64 s[20:21], v2, v1
	v_cndmask_b32_e64 v14, v11, v14, s[20:21]
; %bb.211:
	s_or_b64 exec, exec, s[26:27]
	v_mov_b32_e32 v11, v14
.LBB269_212:
	s_or_b64 exec, exec, s[24:25]
	s_or_b64 exec, exec, s[22:23]
	s_and_saveexec_b64 s[20:21], s[18:19]
	s_cbranch_execz .LBB269_173
.LBB269_213:
	v_lshlrev_b32_e32 v1, 16, v11
	v_cmp_o_f32_e64 s[18:19], v1, v1
	s_and_saveexec_b64 s[22:23], s[18:19]
	s_cbranch_execz .LBB269_217
; %bb.214:
	s_waitcnt vmcnt(0)
	v_lshlrev_b32_e32 v2, 16, v13
	v_cmp_o_f32_e64 s[18:19], v2, v2
	s_and_saveexec_b64 s[24:25], s[18:19]
; %bb.215:
	v_cmp_lt_f32_e64 s[18:19], v2, v1
	v_cndmask_b32_e64 v13, v11, v13, s[18:19]
; %bb.216:
	s_or_b64 exec, exec, s[24:25]
	v_mov_b32_e32 v11, v13
.LBB269_217:
	s_or_b64 exec, exec, s[22:23]
	s_or_b64 exec, exec, s[20:21]
	s_and_saveexec_b64 s[18:19], s[16:17]
	s_cbranch_execz .LBB269_174
.LBB269_218:
	v_lshlrev_b32_e32 v1, 16, v11
	v_cmp_o_f32_e64 s[16:17], v1, v1
	s_and_saveexec_b64 s[20:21], s[16:17]
	s_cbranch_execz .LBB269_222
; %bb.219:
	s_waitcnt vmcnt(0)
	v_lshlrev_b32_e32 v2, 16, v12
	v_cmp_o_f32_e64 s[16:17], v2, v2
	s_and_saveexec_b64 s[22:23], s[16:17]
; %bb.220:
	v_cmp_lt_f32_e64 s[16:17], v2, v1
	v_cndmask_b32_e64 v12, v11, v12, s[16:17]
; %bb.221:
	s_or_b64 exec, exec, s[22:23]
	v_mov_b32_e32 v11, v12
.LBB269_222:
	s_or_b64 exec, exec, s[20:21]
	s_or_b64 exec, exec, s[18:19]
	s_and_saveexec_b64 s[16:17], s[14:15]
	s_cbranch_execz .LBB269_175
.LBB269_223:
	v_lshlrev_b32_e32 v1, 16, v11
	v_cmp_o_f32_e64 s[14:15], v1, v1
	s_and_saveexec_b64 s[18:19], s[14:15]
	s_cbranch_execz .LBB269_227
; %bb.224:
	s_waitcnt vmcnt(0)
	v_lshlrev_b32_e32 v2, 16, v10
	v_cmp_o_f32_e64 s[14:15], v2, v2
	s_and_saveexec_b64 s[20:21], s[14:15]
; %bb.225:
	v_cmp_lt_f32_e64 s[14:15], v2, v1
	v_cndmask_b32_e64 v10, v11, v10, s[14:15]
; %bb.226:
	s_or_b64 exec, exec, s[20:21]
	v_mov_b32_e32 v11, v10
.LBB269_227:
	s_or_b64 exec, exec, s[18:19]
	s_or_b64 exec, exec, s[16:17]
	s_and_saveexec_b64 s[14:15], s[12:13]
	s_cbranch_execz .LBB269_176
.LBB269_228:
	v_lshlrev_b32_e32 v1, 16, v11
	v_cmp_o_f32_e64 s[12:13], v1, v1
	s_and_saveexec_b64 s[16:17], s[12:13]
	s_cbranch_execz .LBB269_232
; %bb.229:
	s_waitcnt vmcnt(0)
	v_lshlrev_b32_e32 v2, 16, v9
	v_cmp_o_f32_e64 s[12:13], v2, v2
	s_and_saveexec_b64 s[18:19], s[12:13]
; %bb.230:
	v_cmp_lt_f32_e64 s[12:13], v2, v1
	v_cndmask_b32_e64 v9, v11, v9, s[12:13]
; %bb.231:
	s_or_b64 exec, exec, s[18:19]
	v_mov_b32_e32 v11, v9
.LBB269_232:
	s_or_b64 exec, exec, s[16:17]
	s_or_b64 exec, exec, s[14:15]
	s_and_saveexec_b64 s[12:13], s[10:11]
	s_cbranch_execz .LBB269_177
.LBB269_233:
	v_lshlrev_b32_e32 v1, 16, v11
	v_cmp_o_f32_e64 s[10:11], v1, v1
	s_and_saveexec_b64 s[14:15], s[10:11]
	s_cbranch_execz .LBB269_237
; %bb.234:
	s_waitcnt vmcnt(0)
	v_lshlrev_b32_e32 v2, 16, v8
	v_cmp_o_f32_e64 s[10:11], v2, v2
	s_and_saveexec_b64 s[16:17], s[10:11]
; %bb.235:
	v_cmp_lt_f32_e64 s[10:11], v2, v1
	v_cndmask_b32_e64 v8, v11, v8, s[10:11]
; %bb.236:
	s_or_b64 exec, exec, s[16:17]
	v_mov_b32_e32 v11, v8
.LBB269_237:
	s_or_b64 exec, exec, s[14:15]
	s_or_b64 exec, exec, s[12:13]
	s_and_saveexec_b64 s[10:11], s[8:9]
	s_cbranch_execz .LBB269_178
.LBB269_238:
	v_lshlrev_b32_e32 v1, 16, v11
	v_cmp_o_f32_e64 s[8:9], v1, v1
	s_and_saveexec_b64 s[12:13], s[8:9]
	s_cbranch_execz .LBB269_242
; %bb.239:
	s_waitcnt vmcnt(0)
	v_lshlrev_b32_e32 v2, 16, v7
	v_cmp_o_f32_e64 s[8:9], v2, v2
	s_and_saveexec_b64 s[14:15], s[8:9]
; %bb.240:
	v_cmp_lt_f32_e64 s[8:9], v2, v1
	v_cndmask_b32_e64 v7, v11, v7, s[8:9]
; %bb.241:
	s_or_b64 exec, exec, s[14:15]
	v_mov_b32_e32 v11, v7
.LBB269_242:
	s_or_b64 exec, exec, s[12:13]
	s_or_b64 exec, exec, s[10:11]
	s_and_saveexec_b64 s[8:9], s[4:5]
	s_cbranch_execz .LBB269_179
.LBB269_243:
	v_lshlrev_b32_e32 v1, 16, v11
	v_cmp_o_f32_e64 s[4:5], v1, v1
	s_and_saveexec_b64 s[10:11], s[4:5]
	s_cbranch_execz .LBB269_247
; %bb.244:
	s_waitcnt vmcnt(0)
	v_lshlrev_b32_e32 v2, 16, v6
	v_cmp_o_f32_e64 s[4:5], v2, v2
	s_and_saveexec_b64 s[12:13], s[4:5]
; %bb.245:
	v_cmp_lt_f32_e64 s[4:5], v2, v1
	v_cndmask_b32_e64 v6, v11, v6, s[4:5]
; %bb.246:
	s_or_b64 exec, exec, s[12:13]
	v_mov_b32_e32 v11, v6
.LBB269_247:
	s_or_b64 exec, exec, s[10:11]
	s_or_b64 exec, exec, s[8:9]
	s_and_saveexec_b64 s[4:5], s[2:3]
	s_cbranch_execz .LBB269_180
.LBB269_248:
	v_lshlrev_b32_e32 v1, 16, v11
	v_cmp_o_f32_e64 s[2:3], v1, v1
	s_and_saveexec_b64 s[8:9], s[2:3]
	s_cbranch_execz .LBB269_252
; %bb.249:
	s_waitcnt vmcnt(0)
	v_lshlrev_b32_e32 v2, 16, v5
	v_cmp_o_f32_e64 s[2:3], v2, v2
	s_and_saveexec_b64 s[10:11], s[2:3]
; %bb.250:
	v_cmp_lt_f32_e64 s[2:3], v2, v1
	v_cndmask_b32_e64 v5, v11, v5, s[2:3]
; %bb.251:
	s_or_b64 exec, exec, s[10:11]
	v_mov_b32_e32 v11, v5
.LBB269_252:
	s_or_b64 exec, exec, s[8:9]
	s_or_b64 exec, exec, s[4:5]
	s_and_saveexec_b64 s[2:3], s[0:1]
	s_cbranch_execz .LBB269_181
.LBB269_253:
	v_lshlrev_b32_e32 v1, 16, v11
	v_cmp_o_f32_e64 s[0:1], v1, v1
	s_and_saveexec_b64 s[4:5], s[0:1]
	s_cbranch_execz .LBB269_257
; %bb.254:
	s_waitcnt vmcnt(0)
	v_lshlrev_b32_e32 v2, 16, v4
	v_cmp_o_f32_e64 s[0:1], v2, v2
	s_and_saveexec_b64 s[8:9], s[0:1]
; %bb.255:
	v_cmp_lt_f32_e64 s[0:1], v2, v1
	v_cndmask_b32_e64 v4, v11, v4, s[0:1]
; %bb.256:
	s_or_b64 exec, exec, s[8:9]
	v_mov_b32_e32 v11, v4
.LBB269_257:
	s_or_b64 exec, exec, s[4:5]
	s_or_b64 exec, exec, s[2:3]
	s_and_saveexec_b64 s[0:1], vcc
	s_cbranch_execz .LBB269_263
.LBB269_258:
	v_lshlrev_b32_e32 v1, 16, v11
	v_cmp_o_f32_e32 vcc, v1, v1
	s_and_saveexec_b64 s[2:3], vcc
	s_cbranch_execz .LBB269_262
; %bb.259:
	s_waitcnt vmcnt(0)
	v_lshlrev_b32_e32 v2, 16, v3
	v_cmp_o_f32_e32 vcc, v2, v2
	s_and_saveexec_b64 s[4:5], vcc
; %bb.260:
	v_cmp_lt_f32_e32 vcc, v2, v1
	v_cndmask_b32_e32 v3, v11, v3, vcc
; %bb.261:
	s_or_b64 exec, exec, s[4:5]
	v_mov_b32_e32 v11, v3
.LBB269_262:
	s_or_b64 exec, exec, s[2:3]
.LBB269_263:
	s_or_b64 exec, exec, s[0:1]
	s_waitcnt vmcnt(0)
	v_and_b32_e32 v3, 0xffff, v11
	s_nop 1
	v_mov_b32_dpp v1, v3 quad_perm:[1,0,3,2] row_mask:0xf bank_mask:0xf bound_ctrl:1
	v_lshlrev_b32_e32 v2, 16, v1
	v_cmp_o_f32_e32 vcc, v2, v2
	s_and_saveexec_b64 s[0:1], vcc
	s_xor_b64 s[0:1], exec, s[0:1]
	s_cbranch_execz .LBB269_267
; %bb.264:
	v_lshlrev_b32_e32 v3, 16, v3
	v_cmp_o_f32_e32 vcc, v3, v3
	s_and_saveexec_b64 s[2:3], vcc
; %bb.265:
	v_cmp_lt_f32_e32 vcc, v3, v2
	v_cndmask_b32_e32 v11, v1, v11, vcc
; %bb.266:
	s_or_b64 exec, exec, s[2:3]
	v_mov_b32_e32 v1, v11
.LBB269_267:
	s_or_b64 exec, exec, s[0:1]
	v_and_b32_e32 v4, 0xffff, v1
	s_nop 1
	v_mov_b32_dpp v2, v4 quad_perm:[2,3,0,1] row_mask:0xf bank_mask:0xf bound_ctrl:1
	v_lshlrev_b32_e32 v3, 16, v2
	v_cmp_o_f32_e32 vcc, v3, v3
	s_and_saveexec_b64 s[0:1], vcc
	s_cbranch_execz .LBB269_271
; %bb.268:
	v_lshlrev_b32_e32 v4, 16, v4
	v_cmp_o_f32_e32 vcc, v4, v4
	s_and_saveexec_b64 s[2:3], vcc
; %bb.269:
	v_cmp_lt_f32_e32 vcc, v4, v3
	v_cndmask_b32_e32 v1, v2, v1, vcc
; %bb.270:
	s_or_b64 exec, exec, s[2:3]
	v_mov_b32_e32 v2, v1
.LBB269_271:
	s_or_b64 exec, exec, s[0:1]
	v_and_b32_e32 v4, 0xffff, v2
	s_nop 1
	v_mov_b32_dpp v1, v4 row_ror:4 row_mask:0xf bank_mask:0xf bound_ctrl:1
	v_lshlrev_b32_e32 v3, 16, v1
	v_cmp_o_f32_e32 vcc, v3, v3
	s_and_saveexec_b64 s[0:1], vcc
	s_cbranch_execz .LBB269_275
; %bb.272:
	v_lshlrev_b32_e32 v4, 16, v4
	v_cmp_o_f32_e32 vcc, v4, v4
	s_and_saveexec_b64 s[2:3], vcc
; %bb.273:
	v_cmp_lt_f32_e32 vcc, v4, v3
	v_cndmask_b32_e32 v2, v1, v2, vcc
; %bb.274:
	s_or_b64 exec, exec, s[2:3]
	v_mov_b32_e32 v1, v2
.LBB269_275:
	s_or_b64 exec, exec, s[0:1]
	v_and_b32_e32 v4, 0xffff, v1
	s_nop 1
	v_mov_b32_dpp v2, v4 row_ror:8 row_mask:0xf bank_mask:0xf bound_ctrl:1
	v_lshlrev_b32_e32 v3, 16, v2
	v_cmp_o_f32_e32 vcc, v3, v3
	s_and_saveexec_b64 s[0:1], vcc
	s_cbranch_execz .LBB269_279
; %bb.276:
	v_lshlrev_b32_e32 v4, 16, v4
	v_cmp_o_f32_e32 vcc, v4, v4
	s_and_saveexec_b64 s[2:3], vcc
; %bb.277:
	v_cmp_lt_f32_e32 vcc, v4, v3
	v_cndmask_b32_e32 v1, v2, v1, vcc
; %bb.278:
	s_or_b64 exec, exec, s[2:3]
	v_mov_b32_e32 v2, v1
.LBB269_279:
	s_or_b64 exec, exec, s[0:1]
	v_and_b32_e32 v4, 0xffff, v2
	s_nop 1
	v_mov_b32_dpp v1, v4 row_bcast:15 row_mask:0xf bank_mask:0xf bound_ctrl:1
	v_lshlrev_b32_e32 v3, 16, v1
	v_cmp_o_f32_e32 vcc, v3, v3
	s_and_saveexec_b64 s[0:1], vcc
	s_cbranch_execz .LBB269_283
; %bb.280:
	v_lshlrev_b32_e32 v4, 16, v4
	v_cmp_o_f32_e32 vcc, v4, v4
	s_and_saveexec_b64 s[2:3], vcc
; %bb.281:
	v_cmp_lt_f32_e32 vcc, v4, v3
	v_cndmask_b32_e32 v2, v1, v2, vcc
; %bb.282:
	s_or_b64 exec, exec, s[2:3]
	v_mov_b32_e32 v1, v2
.LBB269_283:
	s_or_b64 exec, exec, s[0:1]
	v_and_b32_e32 v4, 0xffff, v1
	s_nop 1
	v_mov_b32_dpp v3, v4 row_bcast:31 row_mask:0xf bank_mask:0xf bound_ctrl:1
	v_lshlrev_b32_e32 v2, 16, v3
	v_cmp_o_f32_e32 vcc, v2, v2
	s_and_saveexec_b64 s[0:1], vcc
	s_cbranch_execz .LBB269_287
; %bb.284:
	v_lshlrev_b32_e32 v4, 16, v4
	v_cmp_o_f32_e32 vcc, v4, v4
	s_and_saveexec_b64 s[2:3], vcc
; %bb.285:
	v_cmp_lt_f32_e32 vcc, v4, v2
	v_cndmask_b32_e32 v1, v3, v1, vcc
; %bb.286:
	s_or_b64 exec, exec, s[2:3]
	v_mov_b32_e32 v3, v1
.LBB269_287:
	s_or_b64 exec, exec, s[0:1]
	v_mbcnt_lo_u32_b32 v1, -1, 0
	v_mbcnt_hi_u32_b32 v2, -1, v1
	v_lshlrev_b32_e32 v1, 2, v2
	v_or_b32_e32 v4, 0xfc, v1
	v_and_b32_e32 v3, 0xffff, v3
	ds_bpermute_b32 v3, v4, v3
	v_cmp_eq_u32_e32 vcc, 0, v2
	s_and_saveexec_b64 s[0:1], vcc
	s_cbranch_execz .LBB269_289
; %bb.288:
	v_lshrrev_b32_e32 v4, 5, v0
	v_and_b32_e32 v4, 6, v4
	s_waitcnt lgkmcnt(0)
	ds_write_b16 v4, v3
.LBB269_289:
	s_or_b64 exec, exec, s[0:1]
	v_cmp_gt_u32_e32 vcc, 64, v0
	s_waitcnt lgkmcnt(0)
	s_barrier
	s_and_saveexec_b64 s[0:1], vcc
	s_cbranch_execz .LBB269_299
; %bb.290:
	v_and_b32_e32 v4, 3, v2
	v_lshlrev_b32_e32 v3, 1, v4
	ds_read_u16 v3, v3
	v_cmp_ne_u32_e32 vcc, 3, v4
	v_addc_co_u32_e32 v2, vcc, 0, v2, vcc
	v_lshlrev_b32_e32 v2, 2, v2
	s_waitcnt lgkmcnt(0)
	v_and_b32_e32 v4, 0xffff, v3
	ds_bpermute_b32 v2, v2, v4
	v_lshlrev_b32_e32 v4, 16, v3
	v_cmp_o_f32_e32 vcc, v4, v4
	s_and_saveexec_b64 s[2:3], vcc
	s_cbranch_execz .LBB269_294
; %bb.291:
	s_waitcnt lgkmcnt(0)
	v_lshlrev_b32_e32 v5, 16, v2
	v_cmp_o_f32_e32 vcc, v5, v5
	s_and_saveexec_b64 s[4:5], vcc
; %bb.292:
	v_cmp_lt_f32_e32 vcc, v5, v4
	v_cndmask_b32_e32 v2, v3, v2, vcc
; %bb.293:
	s_or_b64 exec, exec, s[4:5]
	v_mov_b32_e32 v3, v2
.LBB269_294:
	s_or_b64 exec, exec, s[2:3]
	v_or_b32_e32 v1, 8, v1
	s_waitcnt lgkmcnt(0)
	v_and_b32_e32 v2, 0xffff, v3
	ds_bpermute_b32 v1, v1, v2
	v_lshlrev_b32_e32 v2, 16, v3
	v_cmp_o_f32_e32 vcc, v2, v2
	s_and_saveexec_b64 s[2:3], vcc
	s_cbranch_execz .LBB269_298
; %bb.295:
	s_waitcnt lgkmcnt(0)
	v_lshlrev_b32_e32 v4, 16, v1
	v_cmp_o_f32_e32 vcc, v4, v4
	s_and_saveexec_b64 s[4:5], vcc
; %bb.296:
	v_cmp_lt_f32_e32 vcc, v4, v2
	v_cndmask_b32_e32 v1, v3, v1, vcc
; %bb.297:
	s_or_b64 exec, exec, s[4:5]
	v_mov_b32_e32 v3, v1
.LBB269_298:
	s_or_b64 exec, exec, s[2:3]
.LBB269_299:
	s_or_b64 exec, exec, s[0:1]
	s_branch .LBB269_402
.LBB269_300:
	s_sub_i32 s12, s42, s44
	v_cmp_gt_u32_e32 vcc, s12, v0
                                        ; implicit-def: $vgpr5
	s_and_saveexec_b64 s[2:3], vcc
	s_cbranch_execz .LBB269_310
; %bb.301:
	s_waitcnt lgkmcnt(0)
	v_mov_b32_e32 v1, s45
	v_add_co_u32_e32 v6, vcc, s44, v0
	v_addc_co_u32_e32 v7, vcc, 0, v1, vcc
	v_lshlrev_b64 v[2:3], 1, v[6:7]
	v_mov_b32_e32 v1, s37
	v_add_co_u32_e64 v4, s[0:1], s36, v2
	v_addc_co_u32_e64 v5, vcc, v1, v3, s[0:1]
	global_load_ushort v5, v[4:5], off
	v_add_co_u32_e32 v1, vcc, 0x100, v6
	v_addc_co_u32_e32 v2, vcc, 0, v7, vcc
	v_cmp_gt_i64_e32 vcc, s[42:43], v[1:2]
	s_and_saveexec_b64 s[4:5], vcc
	s_cbranch_execz .LBB269_309
; %bb.302:
	v_mov_b32_e32 v6, s37
	v_addc_co_u32_e64 v6, vcc, v6, v3, s[0:1]
	v_add_co_u32_e32 v3, vcc, 0x200, v4
	v_addc_co_u32_e32 v4, vcc, 0, v6, vcc
	s_mov_b64 s[8:9], 0
	s_branch .LBB269_305
.LBB269_303:                            ;   in Loop: Header=BB269_305 Depth=1
	s_or_b64 exec, exec, s[10:11]
	v_mov_b32_e32 v5, v7
.LBB269_304:                            ;   in Loop: Header=BB269_305 Depth=1
	s_or_b64 exec, exec, s[0:1]
	v_add_co_u32_e32 v1, vcc, 0x100, v1
	v_addc_co_u32_e32 v2, vcc, 0, v2, vcc
	v_cmp_le_i64_e64 s[0:1], s[42:43], v[1:2]
	v_add_co_u32_e32 v3, vcc, 0x200, v3
	s_or_b64 s[8:9], s[0:1], s[8:9]
	v_addc_co_u32_e32 v4, vcc, 0, v4, vcc
	s_andn2_b64 exec, exec, s[8:9]
	s_cbranch_execz .LBB269_308
.LBB269_305:                            ; =>This Inner Loop Header: Depth=1
	s_waitcnt vmcnt(0)
	v_lshlrev_b32_e32 v6, 16, v5
	v_cmp_o_f32_e32 vcc, v6, v6
	s_and_saveexec_b64 s[0:1], vcc
	s_cbranch_execz .LBB269_304
; %bb.306:                              ;   in Loop: Header=BB269_305 Depth=1
	global_load_ushort v7, v[3:4], off
	s_waitcnt vmcnt(0)
	v_lshlrev_b32_e32 v8, 16, v7
	v_cmp_o_f32_e32 vcc, v8, v8
	s_and_saveexec_b64 s[10:11], vcc
	s_cbranch_execz .LBB269_303
; %bb.307:                              ;   in Loop: Header=BB269_305 Depth=1
	v_cmp_lt_f32_e32 vcc, v8, v6
	v_cndmask_b32_e32 v7, v5, v7, vcc
	s_branch .LBB269_303
.LBB269_308:
	s_or_b64 exec, exec, s[8:9]
.LBB269_309:
	s_or_b64 exec, exec, s[4:5]
.LBB269_310:
	s_or_b64 exec, exec, s[2:3]
	s_waitcnt lgkmcnt(0)
	v_mbcnt_lo_u32_b32 v1, -1, 0
	s_cmpk_lt_u32 s12, 0x100
	v_lshrrev_b32_e32 v2, 6, v0
	v_mbcnt_hi_u32_b32 v1, -1, v1
	s_cbranch_scc0 .LBB269_364
; %bb.311:
	v_and_b32_e32 v4, 63, v1
	v_cmp_ne_u32_e32 vcc, 63, v4
	v_addc_co_u32_e32 v6, vcc, 0, v1, vcc
	v_lshlrev_b32_e32 v6, 2, v6
	s_waitcnt vmcnt(0)
	v_and_b32_e32 v7, 0xffff, v5
	ds_bpermute_b32 v8, v6, v7
	v_and_b32_e32 v3, 0xc0, v0
	v_sub_u32_e64 v6, s12, v3 clamp
	v_add_u32_e32 v3, 1, v4
	v_cmp_lt_u32_e32 vcc, v3, v6
	v_mov_b32_e32 v3, v5
	s_and_saveexec_b64 s[0:1], vcc
	s_cbranch_execz .LBB269_317
; %bb.312:
	v_lshlrev_b32_e32 v7, 16, v7
	v_cmp_o_f32_e32 vcc, v7, v7
	v_mov_b32_e32 v3, v5
	s_and_saveexec_b64 s[2:3], vcc
	s_cbranch_execz .LBB269_316
; %bb.313:
	s_waitcnt lgkmcnt(0)
	v_lshlrev_b32_e32 v3, 16, v8
	v_cmp_o_f32_e32 vcc, v3, v3
	s_and_saveexec_b64 s[4:5], vcc
; %bb.314:
	v_cmp_lt_f32_e32 vcc, v3, v7
	v_cndmask_b32_e32 v8, v5, v8, vcc
; %bb.315:
	s_or_b64 exec, exec, s[4:5]
	v_mov_b32_e32 v3, v8
.LBB269_316:
	s_or_b64 exec, exec, s[2:3]
	v_and_b32_e32 v7, 0xffff, v3
.LBB269_317:
	s_or_b64 exec, exec, s[0:1]
	v_cmp_gt_u32_e32 vcc, 62, v4
	s_waitcnt lgkmcnt(0)
	v_cndmask_b32_e64 v8, 0, 2, vcc
	v_add_lshl_u32 v8, v8, v1, 2
	ds_bpermute_b32 v8, v8, v7
	v_add_u32_e32 v9, 2, v4
	v_cmp_lt_u32_e32 vcc, v9, v6
	s_and_saveexec_b64 s[0:1], vcc
	s_cbranch_execz .LBB269_323
; %bb.318:
	v_lshlrev_b32_e32 v7, 16, v7
	v_cmp_o_f32_e32 vcc, v7, v7
	s_and_saveexec_b64 s[2:3], vcc
	s_cbranch_execz .LBB269_322
; %bb.319:
	s_waitcnt lgkmcnt(0)
	v_lshlrev_b32_e32 v9, 16, v8
	v_cmp_o_f32_e32 vcc, v9, v9
	s_and_saveexec_b64 s[4:5], vcc
; %bb.320:
	v_cmp_lt_f32_e32 vcc, v9, v7
	v_cndmask_b32_e32 v8, v3, v8, vcc
; %bb.321:
	s_or_b64 exec, exec, s[4:5]
	v_mov_b32_e32 v3, v8
.LBB269_322:
	s_or_b64 exec, exec, s[2:3]
	v_and_b32_e32 v7, 0xffff, v3
.LBB269_323:
	s_or_b64 exec, exec, s[0:1]
	v_cmp_gt_u32_e32 vcc, 60, v4
	s_waitcnt lgkmcnt(0)
	v_cndmask_b32_e64 v8, 0, 4, vcc
	v_add_lshl_u32 v8, v8, v1, 2
	ds_bpermute_b32 v8, v8, v7
	v_add_u32_e32 v9, 4, v4
	v_cmp_lt_u32_e32 vcc, v9, v6
	s_and_saveexec_b64 s[0:1], vcc
	s_cbranch_execz .LBB269_329
; %bb.324:
	v_lshlrev_b32_e32 v7, 16, v7
	v_cmp_o_f32_e32 vcc, v7, v7
	s_and_saveexec_b64 s[2:3], vcc
	s_cbranch_execz .LBB269_328
; %bb.325:
	s_waitcnt lgkmcnt(0)
	v_lshlrev_b32_e32 v9, 16, v8
	v_cmp_o_f32_e32 vcc, v9, v9
	s_and_saveexec_b64 s[4:5], vcc
; %bb.326:
	v_cmp_lt_f32_e32 vcc, v9, v7
	v_cndmask_b32_e32 v8, v3, v8, vcc
; %bb.327:
	s_or_b64 exec, exec, s[4:5]
	v_mov_b32_e32 v3, v8
.LBB269_328:
	s_or_b64 exec, exec, s[2:3]
	v_and_b32_e32 v7, 0xffff, v3
.LBB269_329:
	;; [unrolled: 30-line block ×4, first 2 shown]
	s_or_b64 exec, exec, s[0:1]
	s_waitcnt lgkmcnt(0)
	v_lshlrev_b32_e32 v8, 2, v1
	v_or_b32_e32 v9, 0x80, v8
	ds_bpermute_b32 v9, v9, v7
	v_add_u32_e32 v4, 32, v4
	v_cmp_lt_u32_e32 vcc, v4, v6
	s_and_saveexec_b64 s[0:1], vcc
	s_cbranch_execz .LBB269_347
; %bb.342:
	v_lshlrev_b32_e32 v4, 16, v7
	v_cmp_o_f32_e32 vcc, v4, v4
	s_and_saveexec_b64 s[2:3], vcc
	s_cbranch_execz .LBB269_346
; %bb.343:
	s_waitcnt lgkmcnt(0)
	v_lshlrev_b32_e32 v6, 16, v9
	v_cmp_o_f32_e32 vcc, v6, v6
	s_and_saveexec_b64 s[4:5], vcc
; %bb.344:
	v_cmp_lt_f32_e32 vcc, v6, v4
	v_cndmask_b32_e32 v9, v3, v9, vcc
; %bb.345:
	s_or_b64 exec, exec, s[4:5]
	v_mov_b32_e32 v3, v9
.LBB269_346:
	s_or_b64 exec, exec, s[2:3]
.LBB269_347:
	s_or_b64 exec, exec, s[0:1]
	v_cmp_eq_u32_e32 vcc, 0, v1
	s_and_saveexec_b64 s[0:1], vcc
; %bb.348:
	v_lshlrev_b32_e32 v4, 1, v2
	ds_write_b16 v4, v3
; %bb.349:
	s_or_b64 exec, exec, s[0:1]
	v_cmp_gt_u32_e32 vcc, 4, v0
	s_waitcnt lgkmcnt(0)
	s_barrier
	s_and_saveexec_b64 s[0:1], vcc
	s_cbranch_execz .LBB269_363
; %bb.350:
	v_lshlrev_b32_e32 v3, 1, v1
	ds_read_u16 v3, v3
	v_and_b32_e32 v4, 3, v1
	v_cmp_ne_u32_e32 vcc, 3, v4
	v_addc_co_u32_e32 v6, vcc, 0, v1, vcc
	v_lshlrev_b32_e32 v6, 2, v6
	s_waitcnt lgkmcnt(0)
	v_and_b32_e32 v7, 0xffff, v3
	ds_bpermute_b32 v6, v6, v7
	s_add_i32 s12, s12, 63
	s_lshr_b32 s10, s12, 6
	v_add_u32_e32 v9, 1, v4
	v_cmp_gt_u32_e32 vcc, s10, v9
	s_and_saveexec_b64 s[2:3], vcc
	s_cbranch_execz .LBB269_356
; %bb.351:
	v_lshlrev_b32_e32 v7, 16, v7
	v_cmp_o_f32_e32 vcc, v7, v7
	s_and_saveexec_b64 s[4:5], vcc
	s_cbranch_execz .LBB269_355
; %bb.352:
	s_waitcnt lgkmcnt(0)
	v_lshlrev_b32_e32 v9, 16, v6
	v_cmp_o_f32_e32 vcc, v9, v9
	s_and_saveexec_b64 s[8:9], vcc
; %bb.353:
	v_cmp_lt_f32_e32 vcc, v9, v7
	v_cndmask_b32_e32 v6, v3, v6, vcc
; %bb.354:
	s_or_b64 exec, exec, s[8:9]
	v_mov_b32_e32 v3, v6
.LBB269_355:
	s_or_b64 exec, exec, s[4:5]
	v_and_b32_e32 v7, 0xffff, v3
.LBB269_356:
	s_or_b64 exec, exec, s[2:3]
	s_waitcnt lgkmcnt(0)
	v_or_b32_e32 v6, 8, v8
	ds_bpermute_b32 v6, v6, v7
	v_add_u32_e32 v4, 2, v4
	v_cmp_gt_u32_e32 vcc, s10, v4
	s_and_saveexec_b64 s[2:3], vcc
	s_cbranch_execz .LBB269_362
; %bb.357:
	v_lshlrev_b32_e32 v4, 16, v7
	v_cmp_o_f32_e32 vcc, v4, v4
	s_and_saveexec_b64 s[4:5], vcc
	s_cbranch_execz .LBB269_361
; %bb.358:
	s_waitcnt lgkmcnt(0)
	v_lshlrev_b32_e32 v7, 16, v6
	v_cmp_o_f32_e32 vcc, v7, v7
	s_and_saveexec_b64 s[8:9], vcc
; %bb.359:
	v_cmp_lt_f32_e32 vcc, v7, v4
	v_cndmask_b32_e32 v6, v3, v6, vcc
; %bb.360:
	s_or_b64 exec, exec, s[8:9]
	v_mov_b32_e32 v3, v6
.LBB269_361:
	s_or_b64 exec, exec, s[4:5]
.LBB269_362:
	s_or_b64 exec, exec, s[2:3]
.LBB269_363:
	s_or_b64 exec, exec, s[0:1]
	s_branch .LBB269_402
.LBB269_364:
                                        ; implicit-def: $vgpr3
	s_cbranch_execz .LBB269_402
; %bb.365:
	s_waitcnt vmcnt(0) lgkmcnt(0)
	v_and_b32_e32 v6, 0xffff, v5
	s_nop 1
	v_mov_b32_dpp v3, v6 quad_perm:[1,0,3,2] row_mask:0xf bank_mask:0xf bound_ctrl:1
	v_lshlrev_b32_e32 v4, 16, v3
	v_cmp_o_f32_e32 vcc, v4, v4
	s_and_saveexec_b64 s[0:1], vcc
	s_cbranch_execz .LBB269_369
; %bb.366:
	v_lshlrev_b32_e32 v6, 16, v6
	v_cmp_o_f32_e32 vcc, v6, v6
	s_and_saveexec_b64 s[2:3], vcc
; %bb.367:
	v_cmp_lt_f32_e32 vcc, v6, v4
	v_cndmask_b32_e32 v5, v3, v5, vcc
; %bb.368:
	s_or_b64 exec, exec, s[2:3]
	v_mov_b32_e32 v3, v5
.LBB269_369:
	s_or_b64 exec, exec, s[0:1]
	v_and_b32_e32 v6, 0xffff, v3
	s_nop 1
	v_mov_b32_dpp v4, v6 quad_perm:[2,3,0,1] row_mask:0xf bank_mask:0xf bound_ctrl:1
	v_lshlrev_b32_e32 v5, 16, v4
	v_cmp_o_f32_e32 vcc, v5, v5
	s_and_saveexec_b64 s[0:1], vcc
	s_cbranch_execz .LBB269_373
; %bb.370:
	v_lshlrev_b32_e32 v6, 16, v6
	v_cmp_o_f32_e32 vcc, v6, v6
	s_and_saveexec_b64 s[2:3], vcc
; %bb.371:
	v_cmp_lt_f32_e32 vcc, v6, v5
	v_cndmask_b32_e32 v3, v4, v3, vcc
; %bb.372:
	s_or_b64 exec, exec, s[2:3]
	v_mov_b32_e32 v4, v3
.LBB269_373:
	s_or_b64 exec, exec, s[0:1]
	v_and_b32_e32 v6, 0xffff, v4
	s_nop 1
	v_mov_b32_dpp v3, v6 row_ror:4 row_mask:0xf bank_mask:0xf bound_ctrl:1
	v_lshlrev_b32_e32 v5, 16, v3
	v_cmp_o_f32_e32 vcc, v5, v5
	s_and_saveexec_b64 s[0:1], vcc
	s_cbranch_execz .LBB269_377
; %bb.374:
	v_lshlrev_b32_e32 v6, 16, v6
	v_cmp_o_f32_e32 vcc, v6, v6
	s_and_saveexec_b64 s[2:3], vcc
; %bb.375:
	v_cmp_lt_f32_e32 vcc, v6, v5
	v_cndmask_b32_e32 v4, v3, v4, vcc
; %bb.376:
	s_or_b64 exec, exec, s[2:3]
	v_mov_b32_e32 v3, v4
.LBB269_377:
	s_or_b64 exec, exec, s[0:1]
	v_and_b32_e32 v6, 0xffff, v3
	s_nop 1
	v_mov_b32_dpp v4, v6 row_ror:8 row_mask:0xf bank_mask:0xf bound_ctrl:1
	v_lshlrev_b32_e32 v5, 16, v4
	v_cmp_o_f32_e32 vcc, v5, v5
	s_and_saveexec_b64 s[0:1], vcc
	s_cbranch_execz .LBB269_381
; %bb.378:
	v_lshlrev_b32_e32 v6, 16, v6
	v_cmp_o_f32_e32 vcc, v6, v6
	s_and_saveexec_b64 s[2:3], vcc
; %bb.379:
	v_cmp_lt_f32_e32 vcc, v6, v5
	v_cndmask_b32_e32 v3, v4, v3, vcc
; %bb.380:
	s_or_b64 exec, exec, s[2:3]
	v_mov_b32_e32 v4, v3
.LBB269_381:
	s_or_b64 exec, exec, s[0:1]
	v_and_b32_e32 v6, 0xffff, v4
	s_nop 1
	v_mov_b32_dpp v3, v6 row_bcast:15 row_mask:0xf bank_mask:0xf bound_ctrl:1
	v_lshlrev_b32_e32 v5, 16, v3
	v_cmp_o_f32_e32 vcc, v5, v5
	s_and_saveexec_b64 s[0:1], vcc
	s_cbranch_execz .LBB269_385
; %bb.382:
	v_lshlrev_b32_e32 v6, 16, v6
	v_cmp_o_f32_e32 vcc, v6, v6
	s_and_saveexec_b64 s[2:3], vcc
; %bb.383:
	v_cmp_lt_f32_e32 vcc, v6, v5
	v_cndmask_b32_e32 v4, v3, v4, vcc
; %bb.384:
	s_or_b64 exec, exec, s[2:3]
	v_mov_b32_e32 v3, v4
.LBB269_385:
	s_or_b64 exec, exec, s[0:1]
	v_and_b32_e32 v6, 0xffff, v3
	s_nop 1
	v_mov_b32_dpp v5, v6 row_bcast:31 row_mask:0xf bank_mask:0xf bound_ctrl:1
	v_lshlrev_b32_e32 v4, 16, v5
	v_cmp_o_f32_e32 vcc, v4, v4
	s_and_saveexec_b64 s[0:1], vcc
	s_cbranch_execz .LBB269_389
; %bb.386:
	v_lshlrev_b32_e32 v6, 16, v6
	v_cmp_o_f32_e32 vcc, v6, v6
	s_and_saveexec_b64 s[2:3], vcc
; %bb.387:
	v_cmp_lt_f32_e32 vcc, v6, v4
	v_cndmask_b32_e32 v3, v5, v3, vcc
; %bb.388:
	s_or_b64 exec, exec, s[2:3]
	v_mov_b32_e32 v5, v3
.LBB269_389:
	s_or_b64 exec, exec, s[0:1]
	v_lshlrev_b32_e32 v4, 2, v1
	v_or_b32_e32 v3, 0xfc, v4
	v_and_b32_e32 v5, 0xffff, v5
	ds_bpermute_b32 v3, v3, v5
	v_cmp_eq_u32_e32 vcc, 0, v1
	s_and_saveexec_b64 s[0:1], vcc
	s_cbranch_execz .LBB269_391
; %bb.390:
	v_lshlrev_b32_e32 v2, 1, v2
	s_waitcnt lgkmcnt(0)
	ds_write_b16 v2, v3
.LBB269_391:
	s_or_b64 exec, exec, s[0:1]
	v_cmp_gt_u32_e32 vcc, 64, v0
	s_waitcnt lgkmcnt(0)
	s_barrier
	s_and_saveexec_b64 s[0:1], vcc
	s_cbranch_execz .LBB269_401
; %bb.392:
	v_and_b32_e32 v2, 3, v1
	v_lshlrev_b32_e32 v3, 1, v2
	ds_read_u16 v3, v3
	v_cmp_ne_u32_e32 vcc, 3, v2
	v_addc_co_u32_e32 v1, vcc, 0, v1, vcc
	v_lshlrev_b32_e32 v1, 2, v1
	s_waitcnt lgkmcnt(0)
	v_and_b32_e32 v2, 0xffff, v3
	ds_bpermute_b32 v1, v1, v2
	v_lshlrev_b32_e32 v2, 16, v3
	v_cmp_o_f32_e32 vcc, v2, v2
	s_and_saveexec_b64 s[2:3], vcc
	s_cbranch_execz .LBB269_396
; %bb.393:
	s_waitcnt lgkmcnt(0)
	v_lshlrev_b32_e32 v5, 16, v1
	v_cmp_o_f32_e32 vcc, v5, v5
	s_and_saveexec_b64 s[4:5], vcc
; %bb.394:
	v_cmp_lt_f32_e32 vcc, v5, v2
	v_cndmask_b32_e32 v1, v3, v1, vcc
; %bb.395:
	s_or_b64 exec, exec, s[4:5]
	v_mov_b32_e32 v3, v1
.LBB269_396:
	s_or_b64 exec, exec, s[2:3]
	s_waitcnt lgkmcnt(0)
	v_or_b32_e32 v1, 8, v4
	v_and_b32_e32 v2, 0xffff, v3
	ds_bpermute_b32 v1, v1, v2
	v_lshlrev_b32_e32 v2, 16, v3
	v_cmp_o_f32_e32 vcc, v2, v2
	s_and_saveexec_b64 s[2:3], vcc
	s_cbranch_execz .LBB269_400
; %bb.397:
	s_waitcnt lgkmcnt(0)
	v_lshlrev_b32_e32 v4, 16, v1
	v_cmp_o_f32_e32 vcc, v4, v4
	s_and_saveexec_b64 s[4:5], vcc
; %bb.398:
	v_cmp_lt_f32_e32 vcc, v4, v2
	v_cndmask_b32_e32 v1, v3, v1, vcc
; %bb.399:
	s_or_b64 exec, exec, s[4:5]
	v_mov_b32_e32 v3, v1
.LBB269_400:
	s_or_b64 exec, exec, s[2:3]
.LBB269_401:
	s_or_b64 exec, exec, s[0:1]
.LBB269_402:
	v_cmp_eq_u32_e32 vcc, 0, v0
                                        ; implicit-def: $vgpr1
	s_and_saveexec_b64 s[0:1], vcc
	s_cbranch_execz .LBB269_408
; %bb.403:
	s_lshl_b32 s4, s33, 16
	v_cmp_u_f32_e64 s[2:3], s4, s4
	s_and_b64 vcc, exec, s[2:3]
	s_waitcnt lgkmcnt(0)
	v_mov_b32_e32 v1, s33
	s_cbranch_vccnz .LBB269_407
; %bb.404:
	v_lshlrev_b32_e32 v0, 16, v3
	v_cmp_o_f32_e32 vcc, v0, v0
	s_and_saveexec_b64 s[2:3], vcc
; %bb.405:
	v_mov_b32_e32 v1, s33
	v_cmp_gt_f32_e32 vcc, s4, v0
	v_cndmask_b32_e32 v3, v1, v3, vcc
; %bb.406:
	s_or_b64 exec, exec, s[2:3]
	v_mov_b32_e32 v1, v3
.LBB269_407:
	s_or_b64 s[34:35], s[34:35], exec
.LBB269_408:
	s_or_b64 exec, exec, s[0:1]
	s_and_saveexec_b64 s[0:1], s[34:35]
	s_cbranch_execz .LBB269_410
.LBB269_409:
	s_lshl_b64 s[0:1], s[40:41], 1
	s_add_u32 s2, s38, s0
	s_addc_u32 s3, s39, s1
	s_lshl_b64 s[0:1], s[6:7], 1
	s_add_u32 s0, s2, s0
	s_addc_u32 s1, s3, s1
	v_mov_b32_e32 v0, 0
	s_waitcnt lgkmcnt(0)
	global_store_short v0, v1, s[0:1]
.LBB269_410:
	s_endpgm
	.section	.rodata,"a",@progbits
	.p2align	6, 0x0
	.amdhsa_kernel _ZN7rocprim17ROCPRIM_400000_NS6detail17trampoline_kernelINS0_14default_configENS1_32segmented_reduce_config_selectorIN3c108BFloat16EEEZNS1_21segmented_reduce_implIS3_PKS6_PS6_PKlS6_N6hipcub16HIPCUB_304000_NS6detail27convert_result_type_wrapperISA_SB_N2at6native12_GLOBAL__N_19CustomMinEEEEE10hipError_tPvRmT0_T1_jT2_SS_T4_T3_P12ihipStream_tbEUlT_E_NS1_11comp_targetILNS1_3genE2ELNS1_11target_archE906ELNS1_3gpuE6ELNS1_3repE0EEENS1_30default_config_static_selectorELNS0_4arch9wavefront6targetE1EEEvSR_
		.amdhsa_group_segment_fixed_size 8
		.amdhsa_private_segment_fixed_size 0
		.amdhsa_kernarg_size 48
		.amdhsa_user_sgpr_count 6
		.amdhsa_user_sgpr_private_segment_buffer 1
		.amdhsa_user_sgpr_dispatch_ptr 0
		.amdhsa_user_sgpr_queue_ptr 0
		.amdhsa_user_sgpr_kernarg_segment_ptr 1
		.amdhsa_user_sgpr_dispatch_id 0
		.amdhsa_user_sgpr_flat_scratch_init 0
		.amdhsa_user_sgpr_private_segment_size 0
		.amdhsa_uses_dynamic_stack 0
		.amdhsa_system_sgpr_private_segment_wavefront_offset 0
		.amdhsa_system_sgpr_workgroup_id_x 1
		.amdhsa_system_sgpr_workgroup_id_y 0
		.amdhsa_system_sgpr_workgroup_id_z 0
		.amdhsa_system_sgpr_workgroup_info 0
		.amdhsa_system_vgpr_workitem_id 0
		.amdhsa_next_free_vgpr 24
		.amdhsa_next_free_sgpr 52
		.amdhsa_reserve_vcc 1
		.amdhsa_reserve_flat_scratch 0
		.amdhsa_float_round_mode_32 0
		.amdhsa_float_round_mode_16_64 0
		.amdhsa_float_denorm_mode_32 3
		.amdhsa_float_denorm_mode_16_64 3
		.amdhsa_dx10_clamp 1
		.amdhsa_ieee_mode 1
		.amdhsa_fp16_overflow 0
		.amdhsa_exception_fp_ieee_invalid_op 0
		.amdhsa_exception_fp_denorm_src 0
		.amdhsa_exception_fp_ieee_div_zero 0
		.amdhsa_exception_fp_ieee_overflow 0
		.amdhsa_exception_fp_ieee_underflow 0
		.amdhsa_exception_fp_ieee_inexact 0
		.amdhsa_exception_int_div_zero 0
	.end_amdhsa_kernel
	.section	.text._ZN7rocprim17ROCPRIM_400000_NS6detail17trampoline_kernelINS0_14default_configENS1_32segmented_reduce_config_selectorIN3c108BFloat16EEEZNS1_21segmented_reduce_implIS3_PKS6_PS6_PKlS6_N6hipcub16HIPCUB_304000_NS6detail27convert_result_type_wrapperISA_SB_N2at6native12_GLOBAL__N_19CustomMinEEEEE10hipError_tPvRmT0_T1_jT2_SS_T4_T3_P12ihipStream_tbEUlT_E_NS1_11comp_targetILNS1_3genE2ELNS1_11target_archE906ELNS1_3gpuE6ELNS1_3repE0EEENS1_30default_config_static_selectorELNS0_4arch9wavefront6targetE1EEEvSR_,"axG",@progbits,_ZN7rocprim17ROCPRIM_400000_NS6detail17trampoline_kernelINS0_14default_configENS1_32segmented_reduce_config_selectorIN3c108BFloat16EEEZNS1_21segmented_reduce_implIS3_PKS6_PS6_PKlS6_N6hipcub16HIPCUB_304000_NS6detail27convert_result_type_wrapperISA_SB_N2at6native12_GLOBAL__N_19CustomMinEEEEE10hipError_tPvRmT0_T1_jT2_SS_T4_T3_P12ihipStream_tbEUlT_E_NS1_11comp_targetILNS1_3genE2ELNS1_11target_archE906ELNS1_3gpuE6ELNS1_3repE0EEENS1_30default_config_static_selectorELNS0_4arch9wavefront6targetE1EEEvSR_,comdat
.Lfunc_end269:
	.size	_ZN7rocprim17ROCPRIM_400000_NS6detail17trampoline_kernelINS0_14default_configENS1_32segmented_reduce_config_selectorIN3c108BFloat16EEEZNS1_21segmented_reduce_implIS3_PKS6_PS6_PKlS6_N6hipcub16HIPCUB_304000_NS6detail27convert_result_type_wrapperISA_SB_N2at6native12_GLOBAL__N_19CustomMinEEEEE10hipError_tPvRmT0_T1_jT2_SS_T4_T3_P12ihipStream_tbEUlT_E_NS1_11comp_targetILNS1_3genE2ELNS1_11target_archE906ELNS1_3gpuE6ELNS1_3repE0EEENS1_30default_config_static_selectorELNS0_4arch9wavefront6targetE1EEEvSR_, .Lfunc_end269-_ZN7rocprim17ROCPRIM_400000_NS6detail17trampoline_kernelINS0_14default_configENS1_32segmented_reduce_config_selectorIN3c108BFloat16EEEZNS1_21segmented_reduce_implIS3_PKS6_PS6_PKlS6_N6hipcub16HIPCUB_304000_NS6detail27convert_result_type_wrapperISA_SB_N2at6native12_GLOBAL__N_19CustomMinEEEEE10hipError_tPvRmT0_T1_jT2_SS_T4_T3_P12ihipStream_tbEUlT_E_NS1_11comp_targetILNS1_3genE2ELNS1_11target_archE906ELNS1_3gpuE6ELNS1_3repE0EEENS1_30default_config_static_selectorELNS0_4arch9wavefront6targetE1EEEvSR_
                                        ; -- End function
	.set _ZN7rocprim17ROCPRIM_400000_NS6detail17trampoline_kernelINS0_14default_configENS1_32segmented_reduce_config_selectorIN3c108BFloat16EEEZNS1_21segmented_reduce_implIS3_PKS6_PS6_PKlS6_N6hipcub16HIPCUB_304000_NS6detail27convert_result_type_wrapperISA_SB_N2at6native12_GLOBAL__N_19CustomMinEEEEE10hipError_tPvRmT0_T1_jT2_SS_T4_T3_P12ihipStream_tbEUlT_E_NS1_11comp_targetILNS1_3genE2ELNS1_11target_archE906ELNS1_3gpuE6ELNS1_3repE0EEENS1_30default_config_static_selectorELNS0_4arch9wavefront6targetE1EEEvSR_.num_vgpr, 24
	.set _ZN7rocprim17ROCPRIM_400000_NS6detail17trampoline_kernelINS0_14default_configENS1_32segmented_reduce_config_selectorIN3c108BFloat16EEEZNS1_21segmented_reduce_implIS3_PKS6_PS6_PKlS6_N6hipcub16HIPCUB_304000_NS6detail27convert_result_type_wrapperISA_SB_N2at6native12_GLOBAL__N_19CustomMinEEEEE10hipError_tPvRmT0_T1_jT2_SS_T4_T3_P12ihipStream_tbEUlT_E_NS1_11comp_targetILNS1_3genE2ELNS1_11target_archE906ELNS1_3gpuE6ELNS1_3repE0EEENS1_30default_config_static_selectorELNS0_4arch9wavefront6targetE1EEEvSR_.num_agpr, 0
	.set _ZN7rocprim17ROCPRIM_400000_NS6detail17trampoline_kernelINS0_14default_configENS1_32segmented_reduce_config_selectorIN3c108BFloat16EEEZNS1_21segmented_reduce_implIS3_PKS6_PS6_PKlS6_N6hipcub16HIPCUB_304000_NS6detail27convert_result_type_wrapperISA_SB_N2at6native12_GLOBAL__N_19CustomMinEEEEE10hipError_tPvRmT0_T1_jT2_SS_T4_T3_P12ihipStream_tbEUlT_E_NS1_11comp_targetILNS1_3genE2ELNS1_11target_archE906ELNS1_3gpuE6ELNS1_3repE0EEENS1_30default_config_static_selectorELNS0_4arch9wavefront6targetE1EEEvSR_.numbered_sgpr, 52
	.set _ZN7rocprim17ROCPRIM_400000_NS6detail17trampoline_kernelINS0_14default_configENS1_32segmented_reduce_config_selectorIN3c108BFloat16EEEZNS1_21segmented_reduce_implIS3_PKS6_PS6_PKlS6_N6hipcub16HIPCUB_304000_NS6detail27convert_result_type_wrapperISA_SB_N2at6native12_GLOBAL__N_19CustomMinEEEEE10hipError_tPvRmT0_T1_jT2_SS_T4_T3_P12ihipStream_tbEUlT_E_NS1_11comp_targetILNS1_3genE2ELNS1_11target_archE906ELNS1_3gpuE6ELNS1_3repE0EEENS1_30default_config_static_selectorELNS0_4arch9wavefront6targetE1EEEvSR_.num_named_barrier, 0
	.set _ZN7rocprim17ROCPRIM_400000_NS6detail17trampoline_kernelINS0_14default_configENS1_32segmented_reduce_config_selectorIN3c108BFloat16EEEZNS1_21segmented_reduce_implIS3_PKS6_PS6_PKlS6_N6hipcub16HIPCUB_304000_NS6detail27convert_result_type_wrapperISA_SB_N2at6native12_GLOBAL__N_19CustomMinEEEEE10hipError_tPvRmT0_T1_jT2_SS_T4_T3_P12ihipStream_tbEUlT_E_NS1_11comp_targetILNS1_3genE2ELNS1_11target_archE906ELNS1_3gpuE6ELNS1_3repE0EEENS1_30default_config_static_selectorELNS0_4arch9wavefront6targetE1EEEvSR_.private_seg_size, 0
	.set _ZN7rocprim17ROCPRIM_400000_NS6detail17trampoline_kernelINS0_14default_configENS1_32segmented_reduce_config_selectorIN3c108BFloat16EEEZNS1_21segmented_reduce_implIS3_PKS6_PS6_PKlS6_N6hipcub16HIPCUB_304000_NS6detail27convert_result_type_wrapperISA_SB_N2at6native12_GLOBAL__N_19CustomMinEEEEE10hipError_tPvRmT0_T1_jT2_SS_T4_T3_P12ihipStream_tbEUlT_E_NS1_11comp_targetILNS1_3genE2ELNS1_11target_archE906ELNS1_3gpuE6ELNS1_3repE0EEENS1_30default_config_static_selectorELNS0_4arch9wavefront6targetE1EEEvSR_.uses_vcc, 1
	.set _ZN7rocprim17ROCPRIM_400000_NS6detail17trampoline_kernelINS0_14default_configENS1_32segmented_reduce_config_selectorIN3c108BFloat16EEEZNS1_21segmented_reduce_implIS3_PKS6_PS6_PKlS6_N6hipcub16HIPCUB_304000_NS6detail27convert_result_type_wrapperISA_SB_N2at6native12_GLOBAL__N_19CustomMinEEEEE10hipError_tPvRmT0_T1_jT2_SS_T4_T3_P12ihipStream_tbEUlT_E_NS1_11comp_targetILNS1_3genE2ELNS1_11target_archE906ELNS1_3gpuE6ELNS1_3repE0EEENS1_30default_config_static_selectorELNS0_4arch9wavefront6targetE1EEEvSR_.uses_flat_scratch, 0
	.set _ZN7rocprim17ROCPRIM_400000_NS6detail17trampoline_kernelINS0_14default_configENS1_32segmented_reduce_config_selectorIN3c108BFloat16EEEZNS1_21segmented_reduce_implIS3_PKS6_PS6_PKlS6_N6hipcub16HIPCUB_304000_NS6detail27convert_result_type_wrapperISA_SB_N2at6native12_GLOBAL__N_19CustomMinEEEEE10hipError_tPvRmT0_T1_jT2_SS_T4_T3_P12ihipStream_tbEUlT_E_NS1_11comp_targetILNS1_3genE2ELNS1_11target_archE906ELNS1_3gpuE6ELNS1_3repE0EEENS1_30default_config_static_selectorELNS0_4arch9wavefront6targetE1EEEvSR_.has_dyn_sized_stack, 0
	.set _ZN7rocprim17ROCPRIM_400000_NS6detail17trampoline_kernelINS0_14default_configENS1_32segmented_reduce_config_selectorIN3c108BFloat16EEEZNS1_21segmented_reduce_implIS3_PKS6_PS6_PKlS6_N6hipcub16HIPCUB_304000_NS6detail27convert_result_type_wrapperISA_SB_N2at6native12_GLOBAL__N_19CustomMinEEEEE10hipError_tPvRmT0_T1_jT2_SS_T4_T3_P12ihipStream_tbEUlT_E_NS1_11comp_targetILNS1_3genE2ELNS1_11target_archE906ELNS1_3gpuE6ELNS1_3repE0EEENS1_30default_config_static_selectorELNS0_4arch9wavefront6targetE1EEEvSR_.has_recursion, 0
	.set _ZN7rocprim17ROCPRIM_400000_NS6detail17trampoline_kernelINS0_14default_configENS1_32segmented_reduce_config_selectorIN3c108BFloat16EEEZNS1_21segmented_reduce_implIS3_PKS6_PS6_PKlS6_N6hipcub16HIPCUB_304000_NS6detail27convert_result_type_wrapperISA_SB_N2at6native12_GLOBAL__N_19CustomMinEEEEE10hipError_tPvRmT0_T1_jT2_SS_T4_T3_P12ihipStream_tbEUlT_E_NS1_11comp_targetILNS1_3genE2ELNS1_11target_archE906ELNS1_3gpuE6ELNS1_3repE0EEENS1_30default_config_static_selectorELNS0_4arch9wavefront6targetE1EEEvSR_.has_indirect_call, 0
	.section	.AMDGPU.csdata,"",@progbits
; Kernel info:
; codeLenInByte = 7780
; TotalNumSgprs: 56
; NumVgprs: 24
; ScratchSize: 0
; MemoryBound: 0
; FloatMode: 240
; IeeeMode: 1
; LDSByteSize: 8 bytes/workgroup (compile time only)
; SGPRBlocks: 6
; VGPRBlocks: 5
; NumSGPRsForWavesPerEU: 56
; NumVGPRsForWavesPerEU: 24
; Occupancy: 10
; WaveLimiterHint : 1
; COMPUTE_PGM_RSRC2:SCRATCH_EN: 0
; COMPUTE_PGM_RSRC2:USER_SGPR: 6
; COMPUTE_PGM_RSRC2:TRAP_HANDLER: 0
; COMPUTE_PGM_RSRC2:TGID_X_EN: 1
; COMPUTE_PGM_RSRC2:TGID_Y_EN: 0
; COMPUTE_PGM_RSRC2:TGID_Z_EN: 0
; COMPUTE_PGM_RSRC2:TIDIG_COMP_CNT: 0
	.section	.text._ZN7rocprim17ROCPRIM_400000_NS6detail17trampoline_kernelINS0_14default_configENS1_32segmented_reduce_config_selectorIN3c108BFloat16EEEZNS1_21segmented_reduce_implIS3_PKS6_PS6_PKlS6_N6hipcub16HIPCUB_304000_NS6detail27convert_result_type_wrapperISA_SB_N2at6native12_GLOBAL__N_19CustomMinEEEEE10hipError_tPvRmT0_T1_jT2_SS_T4_T3_P12ihipStream_tbEUlT_E_NS1_11comp_targetILNS1_3genE9ELNS1_11target_archE1100ELNS1_3gpuE3ELNS1_3repE0EEENS1_30default_config_static_selectorELNS0_4arch9wavefront6targetE1EEEvSR_,"axG",@progbits,_ZN7rocprim17ROCPRIM_400000_NS6detail17trampoline_kernelINS0_14default_configENS1_32segmented_reduce_config_selectorIN3c108BFloat16EEEZNS1_21segmented_reduce_implIS3_PKS6_PS6_PKlS6_N6hipcub16HIPCUB_304000_NS6detail27convert_result_type_wrapperISA_SB_N2at6native12_GLOBAL__N_19CustomMinEEEEE10hipError_tPvRmT0_T1_jT2_SS_T4_T3_P12ihipStream_tbEUlT_E_NS1_11comp_targetILNS1_3genE9ELNS1_11target_archE1100ELNS1_3gpuE3ELNS1_3repE0EEENS1_30default_config_static_selectorELNS0_4arch9wavefront6targetE1EEEvSR_,comdat
	.globl	_ZN7rocprim17ROCPRIM_400000_NS6detail17trampoline_kernelINS0_14default_configENS1_32segmented_reduce_config_selectorIN3c108BFloat16EEEZNS1_21segmented_reduce_implIS3_PKS6_PS6_PKlS6_N6hipcub16HIPCUB_304000_NS6detail27convert_result_type_wrapperISA_SB_N2at6native12_GLOBAL__N_19CustomMinEEEEE10hipError_tPvRmT0_T1_jT2_SS_T4_T3_P12ihipStream_tbEUlT_E_NS1_11comp_targetILNS1_3genE9ELNS1_11target_archE1100ELNS1_3gpuE3ELNS1_3repE0EEENS1_30default_config_static_selectorELNS0_4arch9wavefront6targetE1EEEvSR_ ; -- Begin function _ZN7rocprim17ROCPRIM_400000_NS6detail17trampoline_kernelINS0_14default_configENS1_32segmented_reduce_config_selectorIN3c108BFloat16EEEZNS1_21segmented_reduce_implIS3_PKS6_PS6_PKlS6_N6hipcub16HIPCUB_304000_NS6detail27convert_result_type_wrapperISA_SB_N2at6native12_GLOBAL__N_19CustomMinEEEEE10hipError_tPvRmT0_T1_jT2_SS_T4_T3_P12ihipStream_tbEUlT_E_NS1_11comp_targetILNS1_3genE9ELNS1_11target_archE1100ELNS1_3gpuE3ELNS1_3repE0EEENS1_30default_config_static_selectorELNS0_4arch9wavefront6targetE1EEEvSR_
	.p2align	8
	.type	_ZN7rocprim17ROCPRIM_400000_NS6detail17trampoline_kernelINS0_14default_configENS1_32segmented_reduce_config_selectorIN3c108BFloat16EEEZNS1_21segmented_reduce_implIS3_PKS6_PS6_PKlS6_N6hipcub16HIPCUB_304000_NS6detail27convert_result_type_wrapperISA_SB_N2at6native12_GLOBAL__N_19CustomMinEEEEE10hipError_tPvRmT0_T1_jT2_SS_T4_T3_P12ihipStream_tbEUlT_E_NS1_11comp_targetILNS1_3genE9ELNS1_11target_archE1100ELNS1_3gpuE3ELNS1_3repE0EEENS1_30default_config_static_selectorELNS0_4arch9wavefront6targetE1EEEvSR_,@function
_ZN7rocprim17ROCPRIM_400000_NS6detail17trampoline_kernelINS0_14default_configENS1_32segmented_reduce_config_selectorIN3c108BFloat16EEEZNS1_21segmented_reduce_implIS3_PKS6_PS6_PKlS6_N6hipcub16HIPCUB_304000_NS6detail27convert_result_type_wrapperISA_SB_N2at6native12_GLOBAL__N_19CustomMinEEEEE10hipError_tPvRmT0_T1_jT2_SS_T4_T3_P12ihipStream_tbEUlT_E_NS1_11comp_targetILNS1_3genE9ELNS1_11target_archE1100ELNS1_3gpuE3ELNS1_3repE0EEENS1_30default_config_static_selectorELNS0_4arch9wavefront6targetE1EEEvSR_: ; @_ZN7rocprim17ROCPRIM_400000_NS6detail17trampoline_kernelINS0_14default_configENS1_32segmented_reduce_config_selectorIN3c108BFloat16EEEZNS1_21segmented_reduce_implIS3_PKS6_PS6_PKlS6_N6hipcub16HIPCUB_304000_NS6detail27convert_result_type_wrapperISA_SB_N2at6native12_GLOBAL__N_19CustomMinEEEEE10hipError_tPvRmT0_T1_jT2_SS_T4_T3_P12ihipStream_tbEUlT_E_NS1_11comp_targetILNS1_3genE9ELNS1_11target_archE1100ELNS1_3gpuE3ELNS1_3repE0EEENS1_30default_config_static_selectorELNS0_4arch9wavefront6targetE1EEEvSR_
; %bb.0:
	.section	.rodata,"a",@progbits
	.p2align	6, 0x0
	.amdhsa_kernel _ZN7rocprim17ROCPRIM_400000_NS6detail17trampoline_kernelINS0_14default_configENS1_32segmented_reduce_config_selectorIN3c108BFloat16EEEZNS1_21segmented_reduce_implIS3_PKS6_PS6_PKlS6_N6hipcub16HIPCUB_304000_NS6detail27convert_result_type_wrapperISA_SB_N2at6native12_GLOBAL__N_19CustomMinEEEEE10hipError_tPvRmT0_T1_jT2_SS_T4_T3_P12ihipStream_tbEUlT_E_NS1_11comp_targetILNS1_3genE9ELNS1_11target_archE1100ELNS1_3gpuE3ELNS1_3repE0EEENS1_30default_config_static_selectorELNS0_4arch9wavefront6targetE1EEEvSR_
		.amdhsa_group_segment_fixed_size 0
		.amdhsa_private_segment_fixed_size 0
		.amdhsa_kernarg_size 48
		.amdhsa_user_sgpr_count 6
		.amdhsa_user_sgpr_private_segment_buffer 1
		.amdhsa_user_sgpr_dispatch_ptr 0
		.amdhsa_user_sgpr_queue_ptr 0
		.amdhsa_user_sgpr_kernarg_segment_ptr 1
		.amdhsa_user_sgpr_dispatch_id 0
		.amdhsa_user_sgpr_flat_scratch_init 0
		.amdhsa_user_sgpr_private_segment_size 0
		.amdhsa_uses_dynamic_stack 0
		.amdhsa_system_sgpr_private_segment_wavefront_offset 0
		.amdhsa_system_sgpr_workgroup_id_x 1
		.amdhsa_system_sgpr_workgroup_id_y 0
		.amdhsa_system_sgpr_workgroup_id_z 0
		.amdhsa_system_sgpr_workgroup_info 0
		.amdhsa_system_vgpr_workitem_id 0
		.amdhsa_next_free_vgpr 1
		.amdhsa_next_free_sgpr 0
		.amdhsa_reserve_vcc 0
		.amdhsa_reserve_flat_scratch 0
		.amdhsa_float_round_mode_32 0
		.amdhsa_float_round_mode_16_64 0
		.amdhsa_float_denorm_mode_32 3
		.amdhsa_float_denorm_mode_16_64 3
		.amdhsa_dx10_clamp 1
		.amdhsa_ieee_mode 1
		.amdhsa_fp16_overflow 0
		.amdhsa_exception_fp_ieee_invalid_op 0
		.amdhsa_exception_fp_denorm_src 0
		.amdhsa_exception_fp_ieee_div_zero 0
		.amdhsa_exception_fp_ieee_overflow 0
		.amdhsa_exception_fp_ieee_underflow 0
		.amdhsa_exception_fp_ieee_inexact 0
		.amdhsa_exception_int_div_zero 0
	.end_amdhsa_kernel
	.section	.text._ZN7rocprim17ROCPRIM_400000_NS6detail17trampoline_kernelINS0_14default_configENS1_32segmented_reduce_config_selectorIN3c108BFloat16EEEZNS1_21segmented_reduce_implIS3_PKS6_PS6_PKlS6_N6hipcub16HIPCUB_304000_NS6detail27convert_result_type_wrapperISA_SB_N2at6native12_GLOBAL__N_19CustomMinEEEEE10hipError_tPvRmT0_T1_jT2_SS_T4_T3_P12ihipStream_tbEUlT_E_NS1_11comp_targetILNS1_3genE9ELNS1_11target_archE1100ELNS1_3gpuE3ELNS1_3repE0EEENS1_30default_config_static_selectorELNS0_4arch9wavefront6targetE1EEEvSR_,"axG",@progbits,_ZN7rocprim17ROCPRIM_400000_NS6detail17trampoline_kernelINS0_14default_configENS1_32segmented_reduce_config_selectorIN3c108BFloat16EEEZNS1_21segmented_reduce_implIS3_PKS6_PS6_PKlS6_N6hipcub16HIPCUB_304000_NS6detail27convert_result_type_wrapperISA_SB_N2at6native12_GLOBAL__N_19CustomMinEEEEE10hipError_tPvRmT0_T1_jT2_SS_T4_T3_P12ihipStream_tbEUlT_E_NS1_11comp_targetILNS1_3genE9ELNS1_11target_archE1100ELNS1_3gpuE3ELNS1_3repE0EEENS1_30default_config_static_selectorELNS0_4arch9wavefront6targetE1EEEvSR_,comdat
.Lfunc_end270:
	.size	_ZN7rocprim17ROCPRIM_400000_NS6detail17trampoline_kernelINS0_14default_configENS1_32segmented_reduce_config_selectorIN3c108BFloat16EEEZNS1_21segmented_reduce_implIS3_PKS6_PS6_PKlS6_N6hipcub16HIPCUB_304000_NS6detail27convert_result_type_wrapperISA_SB_N2at6native12_GLOBAL__N_19CustomMinEEEEE10hipError_tPvRmT0_T1_jT2_SS_T4_T3_P12ihipStream_tbEUlT_E_NS1_11comp_targetILNS1_3genE9ELNS1_11target_archE1100ELNS1_3gpuE3ELNS1_3repE0EEENS1_30default_config_static_selectorELNS0_4arch9wavefront6targetE1EEEvSR_, .Lfunc_end270-_ZN7rocprim17ROCPRIM_400000_NS6detail17trampoline_kernelINS0_14default_configENS1_32segmented_reduce_config_selectorIN3c108BFloat16EEEZNS1_21segmented_reduce_implIS3_PKS6_PS6_PKlS6_N6hipcub16HIPCUB_304000_NS6detail27convert_result_type_wrapperISA_SB_N2at6native12_GLOBAL__N_19CustomMinEEEEE10hipError_tPvRmT0_T1_jT2_SS_T4_T3_P12ihipStream_tbEUlT_E_NS1_11comp_targetILNS1_3genE9ELNS1_11target_archE1100ELNS1_3gpuE3ELNS1_3repE0EEENS1_30default_config_static_selectorELNS0_4arch9wavefront6targetE1EEEvSR_
                                        ; -- End function
	.set _ZN7rocprim17ROCPRIM_400000_NS6detail17trampoline_kernelINS0_14default_configENS1_32segmented_reduce_config_selectorIN3c108BFloat16EEEZNS1_21segmented_reduce_implIS3_PKS6_PS6_PKlS6_N6hipcub16HIPCUB_304000_NS6detail27convert_result_type_wrapperISA_SB_N2at6native12_GLOBAL__N_19CustomMinEEEEE10hipError_tPvRmT0_T1_jT2_SS_T4_T3_P12ihipStream_tbEUlT_E_NS1_11comp_targetILNS1_3genE9ELNS1_11target_archE1100ELNS1_3gpuE3ELNS1_3repE0EEENS1_30default_config_static_selectorELNS0_4arch9wavefront6targetE1EEEvSR_.num_vgpr, 0
	.set _ZN7rocprim17ROCPRIM_400000_NS6detail17trampoline_kernelINS0_14default_configENS1_32segmented_reduce_config_selectorIN3c108BFloat16EEEZNS1_21segmented_reduce_implIS3_PKS6_PS6_PKlS6_N6hipcub16HIPCUB_304000_NS6detail27convert_result_type_wrapperISA_SB_N2at6native12_GLOBAL__N_19CustomMinEEEEE10hipError_tPvRmT0_T1_jT2_SS_T4_T3_P12ihipStream_tbEUlT_E_NS1_11comp_targetILNS1_3genE9ELNS1_11target_archE1100ELNS1_3gpuE3ELNS1_3repE0EEENS1_30default_config_static_selectorELNS0_4arch9wavefront6targetE1EEEvSR_.num_agpr, 0
	.set _ZN7rocprim17ROCPRIM_400000_NS6detail17trampoline_kernelINS0_14default_configENS1_32segmented_reduce_config_selectorIN3c108BFloat16EEEZNS1_21segmented_reduce_implIS3_PKS6_PS6_PKlS6_N6hipcub16HIPCUB_304000_NS6detail27convert_result_type_wrapperISA_SB_N2at6native12_GLOBAL__N_19CustomMinEEEEE10hipError_tPvRmT0_T1_jT2_SS_T4_T3_P12ihipStream_tbEUlT_E_NS1_11comp_targetILNS1_3genE9ELNS1_11target_archE1100ELNS1_3gpuE3ELNS1_3repE0EEENS1_30default_config_static_selectorELNS0_4arch9wavefront6targetE1EEEvSR_.numbered_sgpr, 0
	.set _ZN7rocprim17ROCPRIM_400000_NS6detail17trampoline_kernelINS0_14default_configENS1_32segmented_reduce_config_selectorIN3c108BFloat16EEEZNS1_21segmented_reduce_implIS3_PKS6_PS6_PKlS6_N6hipcub16HIPCUB_304000_NS6detail27convert_result_type_wrapperISA_SB_N2at6native12_GLOBAL__N_19CustomMinEEEEE10hipError_tPvRmT0_T1_jT2_SS_T4_T3_P12ihipStream_tbEUlT_E_NS1_11comp_targetILNS1_3genE9ELNS1_11target_archE1100ELNS1_3gpuE3ELNS1_3repE0EEENS1_30default_config_static_selectorELNS0_4arch9wavefront6targetE1EEEvSR_.num_named_barrier, 0
	.set _ZN7rocprim17ROCPRIM_400000_NS6detail17trampoline_kernelINS0_14default_configENS1_32segmented_reduce_config_selectorIN3c108BFloat16EEEZNS1_21segmented_reduce_implIS3_PKS6_PS6_PKlS6_N6hipcub16HIPCUB_304000_NS6detail27convert_result_type_wrapperISA_SB_N2at6native12_GLOBAL__N_19CustomMinEEEEE10hipError_tPvRmT0_T1_jT2_SS_T4_T3_P12ihipStream_tbEUlT_E_NS1_11comp_targetILNS1_3genE9ELNS1_11target_archE1100ELNS1_3gpuE3ELNS1_3repE0EEENS1_30default_config_static_selectorELNS0_4arch9wavefront6targetE1EEEvSR_.private_seg_size, 0
	.set _ZN7rocprim17ROCPRIM_400000_NS6detail17trampoline_kernelINS0_14default_configENS1_32segmented_reduce_config_selectorIN3c108BFloat16EEEZNS1_21segmented_reduce_implIS3_PKS6_PS6_PKlS6_N6hipcub16HIPCUB_304000_NS6detail27convert_result_type_wrapperISA_SB_N2at6native12_GLOBAL__N_19CustomMinEEEEE10hipError_tPvRmT0_T1_jT2_SS_T4_T3_P12ihipStream_tbEUlT_E_NS1_11comp_targetILNS1_3genE9ELNS1_11target_archE1100ELNS1_3gpuE3ELNS1_3repE0EEENS1_30default_config_static_selectorELNS0_4arch9wavefront6targetE1EEEvSR_.uses_vcc, 0
	.set _ZN7rocprim17ROCPRIM_400000_NS6detail17trampoline_kernelINS0_14default_configENS1_32segmented_reduce_config_selectorIN3c108BFloat16EEEZNS1_21segmented_reduce_implIS3_PKS6_PS6_PKlS6_N6hipcub16HIPCUB_304000_NS6detail27convert_result_type_wrapperISA_SB_N2at6native12_GLOBAL__N_19CustomMinEEEEE10hipError_tPvRmT0_T1_jT2_SS_T4_T3_P12ihipStream_tbEUlT_E_NS1_11comp_targetILNS1_3genE9ELNS1_11target_archE1100ELNS1_3gpuE3ELNS1_3repE0EEENS1_30default_config_static_selectorELNS0_4arch9wavefront6targetE1EEEvSR_.uses_flat_scratch, 0
	.set _ZN7rocprim17ROCPRIM_400000_NS6detail17trampoline_kernelINS0_14default_configENS1_32segmented_reduce_config_selectorIN3c108BFloat16EEEZNS1_21segmented_reduce_implIS3_PKS6_PS6_PKlS6_N6hipcub16HIPCUB_304000_NS6detail27convert_result_type_wrapperISA_SB_N2at6native12_GLOBAL__N_19CustomMinEEEEE10hipError_tPvRmT0_T1_jT2_SS_T4_T3_P12ihipStream_tbEUlT_E_NS1_11comp_targetILNS1_3genE9ELNS1_11target_archE1100ELNS1_3gpuE3ELNS1_3repE0EEENS1_30default_config_static_selectorELNS0_4arch9wavefront6targetE1EEEvSR_.has_dyn_sized_stack, 0
	.set _ZN7rocprim17ROCPRIM_400000_NS6detail17trampoline_kernelINS0_14default_configENS1_32segmented_reduce_config_selectorIN3c108BFloat16EEEZNS1_21segmented_reduce_implIS3_PKS6_PS6_PKlS6_N6hipcub16HIPCUB_304000_NS6detail27convert_result_type_wrapperISA_SB_N2at6native12_GLOBAL__N_19CustomMinEEEEE10hipError_tPvRmT0_T1_jT2_SS_T4_T3_P12ihipStream_tbEUlT_E_NS1_11comp_targetILNS1_3genE9ELNS1_11target_archE1100ELNS1_3gpuE3ELNS1_3repE0EEENS1_30default_config_static_selectorELNS0_4arch9wavefront6targetE1EEEvSR_.has_recursion, 0
	.set _ZN7rocprim17ROCPRIM_400000_NS6detail17trampoline_kernelINS0_14default_configENS1_32segmented_reduce_config_selectorIN3c108BFloat16EEEZNS1_21segmented_reduce_implIS3_PKS6_PS6_PKlS6_N6hipcub16HIPCUB_304000_NS6detail27convert_result_type_wrapperISA_SB_N2at6native12_GLOBAL__N_19CustomMinEEEEE10hipError_tPvRmT0_T1_jT2_SS_T4_T3_P12ihipStream_tbEUlT_E_NS1_11comp_targetILNS1_3genE9ELNS1_11target_archE1100ELNS1_3gpuE3ELNS1_3repE0EEENS1_30default_config_static_selectorELNS0_4arch9wavefront6targetE1EEEvSR_.has_indirect_call, 0
	.section	.AMDGPU.csdata,"",@progbits
; Kernel info:
; codeLenInByte = 0
; TotalNumSgprs: 4
; NumVgprs: 0
; ScratchSize: 0
; MemoryBound: 0
; FloatMode: 240
; IeeeMode: 1
; LDSByteSize: 0 bytes/workgroup (compile time only)
; SGPRBlocks: 0
; VGPRBlocks: 0
; NumSGPRsForWavesPerEU: 4
; NumVGPRsForWavesPerEU: 1
; Occupancy: 10
; WaveLimiterHint : 0
; COMPUTE_PGM_RSRC2:SCRATCH_EN: 0
; COMPUTE_PGM_RSRC2:USER_SGPR: 6
; COMPUTE_PGM_RSRC2:TRAP_HANDLER: 0
; COMPUTE_PGM_RSRC2:TGID_X_EN: 1
; COMPUTE_PGM_RSRC2:TGID_Y_EN: 0
; COMPUTE_PGM_RSRC2:TGID_Z_EN: 0
; COMPUTE_PGM_RSRC2:TIDIG_COMP_CNT: 0
	.section	.text._ZN7rocprim17ROCPRIM_400000_NS6detail17trampoline_kernelINS0_14default_configENS1_32segmented_reduce_config_selectorIN3c108BFloat16EEEZNS1_21segmented_reduce_implIS3_PKS6_PS6_PKlS6_N6hipcub16HIPCUB_304000_NS6detail27convert_result_type_wrapperISA_SB_N2at6native12_GLOBAL__N_19CustomMinEEEEE10hipError_tPvRmT0_T1_jT2_SS_T4_T3_P12ihipStream_tbEUlT_E_NS1_11comp_targetILNS1_3genE8ELNS1_11target_archE1030ELNS1_3gpuE2ELNS1_3repE0EEENS1_30default_config_static_selectorELNS0_4arch9wavefront6targetE1EEEvSR_,"axG",@progbits,_ZN7rocprim17ROCPRIM_400000_NS6detail17trampoline_kernelINS0_14default_configENS1_32segmented_reduce_config_selectorIN3c108BFloat16EEEZNS1_21segmented_reduce_implIS3_PKS6_PS6_PKlS6_N6hipcub16HIPCUB_304000_NS6detail27convert_result_type_wrapperISA_SB_N2at6native12_GLOBAL__N_19CustomMinEEEEE10hipError_tPvRmT0_T1_jT2_SS_T4_T3_P12ihipStream_tbEUlT_E_NS1_11comp_targetILNS1_3genE8ELNS1_11target_archE1030ELNS1_3gpuE2ELNS1_3repE0EEENS1_30default_config_static_selectorELNS0_4arch9wavefront6targetE1EEEvSR_,comdat
	.globl	_ZN7rocprim17ROCPRIM_400000_NS6detail17trampoline_kernelINS0_14default_configENS1_32segmented_reduce_config_selectorIN3c108BFloat16EEEZNS1_21segmented_reduce_implIS3_PKS6_PS6_PKlS6_N6hipcub16HIPCUB_304000_NS6detail27convert_result_type_wrapperISA_SB_N2at6native12_GLOBAL__N_19CustomMinEEEEE10hipError_tPvRmT0_T1_jT2_SS_T4_T3_P12ihipStream_tbEUlT_E_NS1_11comp_targetILNS1_3genE8ELNS1_11target_archE1030ELNS1_3gpuE2ELNS1_3repE0EEENS1_30default_config_static_selectorELNS0_4arch9wavefront6targetE1EEEvSR_ ; -- Begin function _ZN7rocprim17ROCPRIM_400000_NS6detail17trampoline_kernelINS0_14default_configENS1_32segmented_reduce_config_selectorIN3c108BFloat16EEEZNS1_21segmented_reduce_implIS3_PKS6_PS6_PKlS6_N6hipcub16HIPCUB_304000_NS6detail27convert_result_type_wrapperISA_SB_N2at6native12_GLOBAL__N_19CustomMinEEEEE10hipError_tPvRmT0_T1_jT2_SS_T4_T3_P12ihipStream_tbEUlT_E_NS1_11comp_targetILNS1_3genE8ELNS1_11target_archE1030ELNS1_3gpuE2ELNS1_3repE0EEENS1_30default_config_static_selectorELNS0_4arch9wavefront6targetE1EEEvSR_
	.p2align	8
	.type	_ZN7rocprim17ROCPRIM_400000_NS6detail17trampoline_kernelINS0_14default_configENS1_32segmented_reduce_config_selectorIN3c108BFloat16EEEZNS1_21segmented_reduce_implIS3_PKS6_PS6_PKlS6_N6hipcub16HIPCUB_304000_NS6detail27convert_result_type_wrapperISA_SB_N2at6native12_GLOBAL__N_19CustomMinEEEEE10hipError_tPvRmT0_T1_jT2_SS_T4_T3_P12ihipStream_tbEUlT_E_NS1_11comp_targetILNS1_3genE8ELNS1_11target_archE1030ELNS1_3gpuE2ELNS1_3repE0EEENS1_30default_config_static_selectorELNS0_4arch9wavefront6targetE1EEEvSR_,@function
_ZN7rocprim17ROCPRIM_400000_NS6detail17trampoline_kernelINS0_14default_configENS1_32segmented_reduce_config_selectorIN3c108BFloat16EEEZNS1_21segmented_reduce_implIS3_PKS6_PS6_PKlS6_N6hipcub16HIPCUB_304000_NS6detail27convert_result_type_wrapperISA_SB_N2at6native12_GLOBAL__N_19CustomMinEEEEE10hipError_tPvRmT0_T1_jT2_SS_T4_T3_P12ihipStream_tbEUlT_E_NS1_11comp_targetILNS1_3genE8ELNS1_11target_archE1030ELNS1_3gpuE2ELNS1_3repE0EEENS1_30default_config_static_selectorELNS0_4arch9wavefront6targetE1EEEvSR_: ; @_ZN7rocprim17ROCPRIM_400000_NS6detail17trampoline_kernelINS0_14default_configENS1_32segmented_reduce_config_selectorIN3c108BFloat16EEEZNS1_21segmented_reduce_implIS3_PKS6_PS6_PKlS6_N6hipcub16HIPCUB_304000_NS6detail27convert_result_type_wrapperISA_SB_N2at6native12_GLOBAL__N_19CustomMinEEEEE10hipError_tPvRmT0_T1_jT2_SS_T4_T3_P12ihipStream_tbEUlT_E_NS1_11comp_targetILNS1_3genE8ELNS1_11target_archE1030ELNS1_3gpuE2ELNS1_3repE0EEENS1_30default_config_static_selectorELNS0_4arch9wavefront6targetE1EEEvSR_
; %bb.0:
	.section	.rodata,"a",@progbits
	.p2align	6, 0x0
	.amdhsa_kernel _ZN7rocprim17ROCPRIM_400000_NS6detail17trampoline_kernelINS0_14default_configENS1_32segmented_reduce_config_selectorIN3c108BFloat16EEEZNS1_21segmented_reduce_implIS3_PKS6_PS6_PKlS6_N6hipcub16HIPCUB_304000_NS6detail27convert_result_type_wrapperISA_SB_N2at6native12_GLOBAL__N_19CustomMinEEEEE10hipError_tPvRmT0_T1_jT2_SS_T4_T3_P12ihipStream_tbEUlT_E_NS1_11comp_targetILNS1_3genE8ELNS1_11target_archE1030ELNS1_3gpuE2ELNS1_3repE0EEENS1_30default_config_static_selectorELNS0_4arch9wavefront6targetE1EEEvSR_
		.amdhsa_group_segment_fixed_size 0
		.amdhsa_private_segment_fixed_size 0
		.amdhsa_kernarg_size 48
		.amdhsa_user_sgpr_count 6
		.amdhsa_user_sgpr_private_segment_buffer 1
		.amdhsa_user_sgpr_dispatch_ptr 0
		.amdhsa_user_sgpr_queue_ptr 0
		.amdhsa_user_sgpr_kernarg_segment_ptr 1
		.amdhsa_user_sgpr_dispatch_id 0
		.amdhsa_user_sgpr_flat_scratch_init 0
		.amdhsa_user_sgpr_private_segment_size 0
		.amdhsa_uses_dynamic_stack 0
		.amdhsa_system_sgpr_private_segment_wavefront_offset 0
		.amdhsa_system_sgpr_workgroup_id_x 1
		.amdhsa_system_sgpr_workgroup_id_y 0
		.amdhsa_system_sgpr_workgroup_id_z 0
		.amdhsa_system_sgpr_workgroup_info 0
		.amdhsa_system_vgpr_workitem_id 0
		.amdhsa_next_free_vgpr 1
		.amdhsa_next_free_sgpr 0
		.amdhsa_reserve_vcc 0
		.amdhsa_reserve_flat_scratch 0
		.amdhsa_float_round_mode_32 0
		.amdhsa_float_round_mode_16_64 0
		.amdhsa_float_denorm_mode_32 3
		.amdhsa_float_denorm_mode_16_64 3
		.amdhsa_dx10_clamp 1
		.amdhsa_ieee_mode 1
		.amdhsa_fp16_overflow 0
		.amdhsa_exception_fp_ieee_invalid_op 0
		.amdhsa_exception_fp_denorm_src 0
		.amdhsa_exception_fp_ieee_div_zero 0
		.amdhsa_exception_fp_ieee_overflow 0
		.amdhsa_exception_fp_ieee_underflow 0
		.amdhsa_exception_fp_ieee_inexact 0
		.amdhsa_exception_int_div_zero 0
	.end_amdhsa_kernel
	.section	.text._ZN7rocprim17ROCPRIM_400000_NS6detail17trampoline_kernelINS0_14default_configENS1_32segmented_reduce_config_selectorIN3c108BFloat16EEEZNS1_21segmented_reduce_implIS3_PKS6_PS6_PKlS6_N6hipcub16HIPCUB_304000_NS6detail27convert_result_type_wrapperISA_SB_N2at6native12_GLOBAL__N_19CustomMinEEEEE10hipError_tPvRmT0_T1_jT2_SS_T4_T3_P12ihipStream_tbEUlT_E_NS1_11comp_targetILNS1_3genE8ELNS1_11target_archE1030ELNS1_3gpuE2ELNS1_3repE0EEENS1_30default_config_static_selectorELNS0_4arch9wavefront6targetE1EEEvSR_,"axG",@progbits,_ZN7rocprim17ROCPRIM_400000_NS6detail17trampoline_kernelINS0_14default_configENS1_32segmented_reduce_config_selectorIN3c108BFloat16EEEZNS1_21segmented_reduce_implIS3_PKS6_PS6_PKlS6_N6hipcub16HIPCUB_304000_NS6detail27convert_result_type_wrapperISA_SB_N2at6native12_GLOBAL__N_19CustomMinEEEEE10hipError_tPvRmT0_T1_jT2_SS_T4_T3_P12ihipStream_tbEUlT_E_NS1_11comp_targetILNS1_3genE8ELNS1_11target_archE1030ELNS1_3gpuE2ELNS1_3repE0EEENS1_30default_config_static_selectorELNS0_4arch9wavefront6targetE1EEEvSR_,comdat
.Lfunc_end271:
	.size	_ZN7rocprim17ROCPRIM_400000_NS6detail17trampoline_kernelINS0_14default_configENS1_32segmented_reduce_config_selectorIN3c108BFloat16EEEZNS1_21segmented_reduce_implIS3_PKS6_PS6_PKlS6_N6hipcub16HIPCUB_304000_NS6detail27convert_result_type_wrapperISA_SB_N2at6native12_GLOBAL__N_19CustomMinEEEEE10hipError_tPvRmT0_T1_jT2_SS_T4_T3_P12ihipStream_tbEUlT_E_NS1_11comp_targetILNS1_3genE8ELNS1_11target_archE1030ELNS1_3gpuE2ELNS1_3repE0EEENS1_30default_config_static_selectorELNS0_4arch9wavefront6targetE1EEEvSR_, .Lfunc_end271-_ZN7rocprim17ROCPRIM_400000_NS6detail17trampoline_kernelINS0_14default_configENS1_32segmented_reduce_config_selectorIN3c108BFloat16EEEZNS1_21segmented_reduce_implIS3_PKS6_PS6_PKlS6_N6hipcub16HIPCUB_304000_NS6detail27convert_result_type_wrapperISA_SB_N2at6native12_GLOBAL__N_19CustomMinEEEEE10hipError_tPvRmT0_T1_jT2_SS_T4_T3_P12ihipStream_tbEUlT_E_NS1_11comp_targetILNS1_3genE8ELNS1_11target_archE1030ELNS1_3gpuE2ELNS1_3repE0EEENS1_30default_config_static_selectorELNS0_4arch9wavefront6targetE1EEEvSR_
                                        ; -- End function
	.set _ZN7rocprim17ROCPRIM_400000_NS6detail17trampoline_kernelINS0_14default_configENS1_32segmented_reduce_config_selectorIN3c108BFloat16EEEZNS1_21segmented_reduce_implIS3_PKS6_PS6_PKlS6_N6hipcub16HIPCUB_304000_NS6detail27convert_result_type_wrapperISA_SB_N2at6native12_GLOBAL__N_19CustomMinEEEEE10hipError_tPvRmT0_T1_jT2_SS_T4_T3_P12ihipStream_tbEUlT_E_NS1_11comp_targetILNS1_3genE8ELNS1_11target_archE1030ELNS1_3gpuE2ELNS1_3repE0EEENS1_30default_config_static_selectorELNS0_4arch9wavefront6targetE1EEEvSR_.num_vgpr, 0
	.set _ZN7rocprim17ROCPRIM_400000_NS6detail17trampoline_kernelINS0_14default_configENS1_32segmented_reduce_config_selectorIN3c108BFloat16EEEZNS1_21segmented_reduce_implIS3_PKS6_PS6_PKlS6_N6hipcub16HIPCUB_304000_NS6detail27convert_result_type_wrapperISA_SB_N2at6native12_GLOBAL__N_19CustomMinEEEEE10hipError_tPvRmT0_T1_jT2_SS_T4_T3_P12ihipStream_tbEUlT_E_NS1_11comp_targetILNS1_3genE8ELNS1_11target_archE1030ELNS1_3gpuE2ELNS1_3repE0EEENS1_30default_config_static_selectorELNS0_4arch9wavefront6targetE1EEEvSR_.num_agpr, 0
	.set _ZN7rocprim17ROCPRIM_400000_NS6detail17trampoline_kernelINS0_14default_configENS1_32segmented_reduce_config_selectorIN3c108BFloat16EEEZNS1_21segmented_reduce_implIS3_PKS6_PS6_PKlS6_N6hipcub16HIPCUB_304000_NS6detail27convert_result_type_wrapperISA_SB_N2at6native12_GLOBAL__N_19CustomMinEEEEE10hipError_tPvRmT0_T1_jT2_SS_T4_T3_P12ihipStream_tbEUlT_E_NS1_11comp_targetILNS1_3genE8ELNS1_11target_archE1030ELNS1_3gpuE2ELNS1_3repE0EEENS1_30default_config_static_selectorELNS0_4arch9wavefront6targetE1EEEvSR_.numbered_sgpr, 0
	.set _ZN7rocprim17ROCPRIM_400000_NS6detail17trampoline_kernelINS0_14default_configENS1_32segmented_reduce_config_selectorIN3c108BFloat16EEEZNS1_21segmented_reduce_implIS3_PKS6_PS6_PKlS6_N6hipcub16HIPCUB_304000_NS6detail27convert_result_type_wrapperISA_SB_N2at6native12_GLOBAL__N_19CustomMinEEEEE10hipError_tPvRmT0_T1_jT2_SS_T4_T3_P12ihipStream_tbEUlT_E_NS1_11comp_targetILNS1_3genE8ELNS1_11target_archE1030ELNS1_3gpuE2ELNS1_3repE0EEENS1_30default_config_static_selectorELNS0_4arch9wavefront6targetE1EEEvSR_.num_named_barrier, 0
	.set _ZN7rocprim17ROCPRIM_400000_NS6detail17trampoline_kernelINS0_14default_configENS1_32segmented_reduce_config_selectorIN3c108BFloat16EEEZNS1_21segmented_reduce_implIS3_PKS6_PS6_PKlS6_N6hipcub16HIPCUB_304000_NS6detail27convert_result_type_wrapperISA_SB_N2at6native12_GLOBAL__N_19CustomMinEEEEE10hipError_tPvRmT0_T1_jT2_SS_T4_T3_P12ihipStream_tbEUlT_E_NS1_11comp_targetILNS1_3genE8ELNS1_11target_archE1030ELNS1_3gpuE2ELNS1_3repE0EEENS1_30default_config_static_selectorELNS0_4arch9wavefront6targetE1EEEvSR_.private_seg_size, 0
	.set _ZN7rocprim17ROCPRIM_400000_NS6detail17trampoline_kernelINS0_14default_configENS1_32segmented_reduce_config_selectorIN3c108BFloat16EEEZNS1_21segmented_reduce_implIS3_PKS6_PS6_PKlS6_N6hipcub16HIPCUB_304000_NS6detail27convert_result_type_wrapperISA_SB_N2at6native12_GLOBAL__N_19CustomMinEEEEE10hipError_tPvRmT0_T1_jT2_SS_T4_T3_P12ihipStream_tbEUlT_E_NS1_11comp_targetILNS1_3genE8ELNS1_11target_archE1030ELNS1_3gpuE2ELNS1_3repE0EEENS1_30default_config_static_selectorELNS0_4arch9wavefront6targetE1EEEvSR_.uses_vcc, 0
	.set _ZN7rocprim17ROCPRIM_400000_NS6detail17trampoline_kernelINS0_14default_configENS1_32segmented_reduce_config_selectorIN3c108BFloat16EEEZNS1_21segmented_reduce_implIS3_PKS6_PS6_PKlS6_N6hipcub16HIPCUB_304000_NS6detail27convert_result_type_wrapperISA_SB_N2at6native12_GLOBAL__N_19CustomMinEEEEE10hipError_tPvRmT0_T1_jT2_SS_T4_T3_P12ihipStream_tbEUlT_E_NS1_11comp_targetILNS1_3genE8ELNS1_11target_archE1030ELNS1_3gpuE2ELNS1_3repE0EEENS1_30default_config_static_selectorELNS0_4arch9wavefront6targetE1EEEvSR_.uses_flat_scratch, 0
	.set _ZN7rocprim17ROCPRIM_400000_NS6detail17trampoline_kernelINS0_14default_configENS1_32segmented_reduce_config_selectorIN3c108BFloat16EEEZNS1_21segmented_reduce_implIS3_PKS6_PS6_PKlS6_N6hipcub16HIPCUB_304000_NS6detail27convert_result_type_wrapperISA_SB_N2at6native12_GLOBAL__N_19CustomMinEEEEE10hipError_tPvRmT0_T1_jT2_SS_T4_T3_P12ihipStream_tbEUlT_E_NS1_11comp_targetILNS1_3genE8ELNS1_11target_archE1030ELNS1_3gpuE2ELNS1_3repE0EEENS1_30default_config_static_selectorELNS0_4arch9wavefront6targetE1EEEvSR_.has_dyn_sized_stack, 0
	.set _ZN7rocprim17ROCPRIM_400000_NS6detail17trampoline_kernelINS0_14default_configENS1_32segmented_reduce_config_selectorIN3c108BFloat16EEEZNS1_21segmented_reduce_implIS3_PKS6_PS6_PKlS6_N6hipcub16HIPCUB_304000_NS6detail27convert_result_type_wrapperISA_SB_N2at6native12_GLOBAL__N_19CustomMinEEEEE10hipError_tPvRmT0_T1_jT2_SS_T4_T3_P12ihipStream_tbEUlT_E_NS1_11comp_targetILNS1_3genE8ELNS1_11target_archE1030ELNS1_3gpuE2ELNS1_3repE0EEENS1_30default_config_static_selectorELNS0_4arch9wavefront6targetE1EEEvSR_.has_recursion, 0
	.set _ZN7rocprim17ROCPRIM_400000_NS6detail17trampoline_kernelINS0_14default_configENS1_32segmented_reduce_config_selectorIN3c108BFloat16EEEZNS1_21segmented_reduce_implIS3_PKS6_PS6_PKlS6_N6hipcub16HIPCUB_304000_NS6detail27convert_result_type_wrapperISA_SB_N2at6native12_GLOBAL__N_19CustomMinEEEEE10hipError_tPvRmT0_T1_jT2_SS_T4_T3_P12ihipStream_tbEUlT_E_NS1_11comp_targetILNS1_3genE8ELNS1_11target_archE1030ELNS1_3gpuE2ELNS1_3repE0EEENS1_30default_config_static_selectorELNS0_4arch9wavefront6targetE1EEEvSR_.has_indirect_call, 0
	.section	.AMDGPU.csdata,"",@progbits
; Kernel info:
; codeLenInByte = 0
; TotalNumSgprs: 4
; NumVgprs: 0
; ScratchSize: 0
; MemoryBound: 0
; FloatMode: 240
; IeeeMode: 1
; LDSByteSize: 0 bytes/workgroup (compile time only)
; SGPRBlocks: 0
; VGPRBlocks: 0
; NumSGPRsForWavesPerEU: 4
; NumVGPRsForWavesPerEU: 1
; Occupancy: 10
; WaveLimiterHint : 0
; COMPUTE_PGM_RSRC2:SCRATCH_EN: 0
; COMPUTE_PGM_RSRC2:USER_SGPR: 6
; COMPUTE_PGM_RSRC2:TRAP_HANDLER: 0
; COMPUTE_PGM_RSRC2:TGID_X_EN: 1
; COMPUTE_PGM_RSRC2:TGID_Y_EN: 0
; COMPUTE_PGM_RSRC2:TGID_Z_EN: 0
; COMPUTE_PGM_RSRC2:TIDIG_COMP_CNT: 0
	.section	.text._ZN7rocprim17ROCPRIM_400000_NS6detail17trampoline_kernelINS0_14default_configENS1_32segmented_reduce_config_selectorIN3c108BFloat16EEEZNS1_21segmented_reduce_implIS3_PKS6_PS6_PKlS6_N6hipcub16HIPCUB_304000_NS6detail27convert_result_type_wrapperISA_SB_N2at6native12_GLOBAL__N_110CustomProdEEEEE10hipError_tPvRmT0_T1_jT2_SS_T4_T3_P12ihipStream_tbEUlT_E_NS1_11comp_targetILNS1_3genE0ELNS1_11target_archE4294967295ELNS1_3gpuE0ELNS1_3repE0EEENS1_30default_config_static_selectorELNS0_4arch9wavefront6targetE1EEEvSR_,"axG",@progbits,_ZN7rocprim17ROCPRIM_400000_NS6detail17trampoline_kernelINS0_14default_configENS1_32segmented_reduce_config_selectorIN3c108BFloat16EEEZNS1_21segmented_reduce_implIS3_PKS6_PS6_PKlS6_N6hipcub16HIPCUB_304000_NS6detail27convert_result_type_wrapperISA_SB_N2at6native12_GLOBAL__N_110CustomProdEEEEE10hipError_tPvRmT0_T1_jT2_SS_T4_T3_P12ihipStream_tbEUlT_E_NS1_11comp_targetILNS1_3genE0ELNS1_11target_archE4294967295ELNS1_3gpuE0ELNS1_3repE0EEENS1_30default_config_static_selectorELNS0_4arch9wavefront6targetE1EEEvSR_,comdat
	.globl	_ZN7rocprim17ROCPRIM_400000_NS6detail17trampoline_kernelINS0_14default_configENS1_32segmented_reduce_config_selectorIN3c108BFloat16EEEZNS1_21segmented_reduce_implIS3_PKS6_PS6_PKlS6_N6hipcub16HIPCUB_304000_NS6detail27convert_result_type_wrapperISA_SB_N2at6native12_GLOBAL__N_110CustomProdEEEEE10hipError_tPvRmT0_T1_jT2_SS_T4_T3_P12ihipStream_tbEUlT_E_NS1_11comp_targetILNS1_3genE0ELNS1_11target_archE4294967295ELNS1_3gpuE0ELNS1_3repE0EEENS1_30default_config_static_selectorELNS0_4arch9wavefront6targetE1EEEvSR_ ; -- Begin function _ZN7rocprim17ROCPRIM_400000_NS6detail17trampoline_kernelINS0_14default_configENS1_32segmented_reduce_config_selectorIN3c108BFloat16EEEZNS1_21segmented_reduce_implIS3_PKS6_PS6_PKlS6_N6hipcub16HIPCUB_304000_NS6detail27convert_result_type_wrapperISA_SB_N2at6native12_GLOBAL__N_110CustomProdEEEEE10hipError_tPvRmT0_T1_jT2_SS_T4_T3_P12ihipStream_tbEUlT_E_NS1_11comp_targetILNS1_3genE0ELNS1_11target_archE4294967295ELNS1_3gpuE0ELNS1_3repE0EEENS1_30default_config_static_selectorELNS0_4arch9wavefront6targetE1EEEvSR_
	.p2align	8
	.type	_ZN7rocprim17ROCPRIM_400000_NS6detail17trampoline_kernelINS0_14default_configENS1_32segmented_reduce_config_selectorIN3c108BFloat16EEEZNS1_21segmented_reduce_implIS3_PKS6_PS6_PKlS6_N6hipcub16HIPCUB_304000_NS6detail27convert_result_type_wrapperISA_SB_N2at6native12_GLOBAL__N_110CustomProdEEEEE10hipError_tPvRmT0_T1_jT2_SS_T4_T3_P12ihipStream_tbEUlT_E_NS1_11comp_targetILNS1_3genE0ELNS1_11target_archE4294967295ELNS1_3gpuE0ELNS1_3repE0EEENS1_30default_config_static_selectorELNS0_4arch9wavefront6targetE1EEEvSR_,@function
_ZN7rocprim17ROCPRIM_400000_NS6detail17trampoline_kernelINS0_14default_configENS1_32segmented_reduce_config_selectorIN3c108BFloat16EEEZNS1_21segmented_reduce_implIS3_PKS6_PS6_PKlS6_N6hipcub16HIPCUB_304000_NS6detail27convert_result_type_wrapperISA_SB_N2at6native12_GLOBAL__N_110CustomProdEEEEE10hipError_tPvRmT0_T1_jT2_SS_T4_T3_P12ihipStream_tbEUlT_E_NS1_11comp_targetILNS1_3genE0ELNS1_11target_archE4294967295ELNS1_3gpuE0ELNS1_3repE0EEENS1_30default_config_static_selectorELNS0_4arch9wavefront6targetE1EEEvSR_: ; @_ZN7rocprim17ROCPRIM_400000_NS6detail17trampoline_kernelINS0_14default_configENS1_32segmented_reduce_config_selectorIN3c108BFloat16EEEZNS1_21segmented_reduce_implIS3_PKS6_PS6_PKlS6_N6hipcub16HIPCUB_304000_NS6detail27convert_result_type_wrapperISA_SB_N2at6native12_GLOBAL__N_110CustomProdEEEEE10hipError_tPvRmT0_T1_jT2_SS_T4_T3_P12ihipStream_tbEUlT_E_NS1_11comp_targetILNS1_3genE0ELNS1_11target_archE4294967295ELNS1_3gpuE0ELNS1_3repE0EEENS1_30default_config_static_selectorELNS0_4arch9wavefront6targetE1EEEvSR_
; %bb.0:
	.section	.rodata,"a",@progbits
	.p2align	6, 0x0
	.amdhsa_kernel _ZN7rocprim17ROCPRIM_400000_NS6detail17trampoline_kernelINS0_14default_configENS1_32segmented_reduce_config_selectorIN3c108BFloat16EEEZNS1_21segmented_reduce_implIS3_PKS6_PS6_PKlS6_N6hipcub16HIPCUB_304000_NS6detail27convert_result_type_wrapperISA_SB_N2at6native12_GLOBAL__N_110CustomProdEEEEE10hipError_tPvRmT0_T1_jT2_SS_T4_T3_P12ihipStream_tbEUlT_E_NS1_11comp_targetILNS1_3genE0ELNS1_11target_archE4294967295ELNS1_3gpuE0ELNS1_3repE0EEENS1_30default_config_static_selectorELNS0_4arch9wavefront6targetE1EEEvSR_
		.amdhsa_group_segment_fixed_size 0
		.amdhsa_private_segment_fixed_size 0
		.amdhsa_kernarg_size 48
		.amdhsa_user_sgpr_count 6
		.amdhsa_user_sgpr_private_segment_buffer 1
		.amdhsa_user_sgpr_dispatch_ptr 0
		.amdhsa_user_sgpr_queue_ptr 0
		.amdhsa_user_sgpr_kernarg_segment_ptr 1
		.amdhsa_user_sgpr_dispatch_id 0
		.amdhsa_user_sgpr_flat_scratch_init 0
		.amdhsa_user_sgpr_private_segment_size 0
		.amdhsa_uses_dynamic_stack 0
		.amdhsa_system_sgpr_private_segment_wavefront_offset 0
		.amdhsa_system_sgpr_workgroup_id_x 1
		.amdhsa_system_sgpr_workgroup_id_y 0
		.amdhsa_system_sgpr_workgroup_id_z 0
		.amdhsa_system_sgpr_workgroup_info 0
		.amdhsa_system_vgpr_workitem_id 0
		.amdhsa_next_free_vgpr 1
		.amdhsa_next_free_sgpr 0
		.amdhsa_reserve_vcc 0
		.amdhsa_reserve_flat_scratch 0
		.amdhsa_float_round_mode_32 0
		.amdhsa_float_round_mode_16_64 0
		.amdhsa_float_denorm_mode_32 3
		.amdhsa_float_denorm_mode_16_64 3
		.amdhsa_dx10_clamp 1
		.amdhsa_ieee_mode 1
		.amdhsa_fp16_overflow 0
		.amdhsa_exception_fp_ieee_invalid_op 0
		.amdhsa_exception_fp_denorm_src 0
		.amdhsa_exception_fp_ieee_div_zero 0
		.amdhsa_exception_fp_ieee_overflow 0
		.amdhsa_exception_fp_ieee_underflow 0
		.amdhsa_exception_fp_ieee_inexact 0
		.amdhsa_exception_int_div_zero 0
	.end_amdhsa_kernel
	.section	.text._ZN7rocprim17ROCPRIM_400000_NS6detail17trampoline_kernelINS0_14default_configENS1_32segmented_reduce_config_selectorIN3c108BFloat16EEEZNS1_21segmented_reduce_implIS3_PKS6_PS6_PKlS6_N6hipcub16HIPCUB_304000_NS6detail27convert_result_type_wrapperISA_SB_N2at6native12_GLOBAL__N_110CustomProdEEEEE10hipError_tPvRmT0_T1_jT2_SS_T4_T3_P12ihipStream_tbEUlT_E_NS1_11comp_targetILNS1_3genE0ELNS1_11target_archE4294967295ELNS1_3gpuE0ELNS1_3repE0EEENS1_30default_config_static_selectorELNS0_4arch9wavefront6targetE1EEEvSR_,"axG",@progbits,_ZN7rocprim17ROCPRIM_400000_NS6detail17trampoline_kernelINS0_14default_configENS1_32segmented_reduce_config_selectorIN3c108BFloat16EEEZNS1_21segmented_reduce_implIS3_PKS6_PS6_PKlS6_N6hipcub16HIPCUB_304000_NS6detail27convert_result_type_wrapperISA_SB_N2at6native12_GLOBAL__N_110CustomProdEEEEE10hipError_tPvRmT0_T1_jT2_SS_T4_T3_P12ihipStream_tbEUlT_E_NS1_11comp_targetILNS1_3genE0ELNS1_11target_archE4294967295ELNS1_3gpuE0ELNS1_3repE0EEENS1_30default_config_static_selectorELNS0_4arch9wavefront6targetE1EEEvSR_,comdat
.Lfunc_end272:
	.size	_ZN7rocprim17ROCPRIM_400000_NS6detail17trampoline_kernelINS0_14default_configENS1_32segmented_reduce_config_selectorIN3c108BFloat16EEEZNS1_21segmented_reduce_implIS3_PKS6_PS6_PKlS6_N6hipcub16HIPCUB_304000_NS6detail27convert_result_type_wrapperISA_SB_N2at6native12_GLOBAL__N_110CustomProdEEEEE10hipError_tPvRmT0_T1_jT2_SS_T4_T3_P12ihipStream_tbEUlT_E_NS1_11comp_targetILNS1_3genE0ELNS1_11target_archE4294967295ELNS1_3gpuE0ELNS1_3repE0EEENS1_30default_config_static_selectorELNS0_4arch9wavefront6targetE1EEEvSR_, .Lfunc_end272-_ZN7rocprim17ROCPRIM_400000_NS6detail17trampoline_kernelINS0_14default_configENS1_32segmented_reduce_config_selectorIN3c108BFloat16EEEZNS1_21segmented_reduce_implIS3_PKS6_PS6_PKlS6_N6hipcub16HIPCUB_304000_NS6detail27convert_result_type_wrapperISA_SB_N2at6native12_GLOBAL__N_110CustomProdEEEEE10hipError_tPvRmT0_T1_jT2_SS_T4_T3_P12ihipStream_tbEUlT_E_NS1_11comp_targetILNS1_3genE0ELNS1_11target_archE4294967295ELNS1_3gpuE0ELNS1_3repE0EEENS1_30default_config_static_selectorELNS0_4arch9wavefront6targetE1EEEvSR_
                                        ; -- End function
	.set _ZN7rocprim17ROCPRIM_400000_NS6detail17trampoline_kernelINS0_14default_configENS1_32segmented_reduce_config_selectorIN3c108BFloat16EEEZNS1_21segmented_reduce_implIS3_PKS6_PS6_PKlS6_N6hipcub16HIPCUB_304000_NS6detail27convert_result_type_wrapperISA_SB_N2at6native12_GLOBAL__N_110CustomProdEEEEE10hipError_tPvRmT0_T1_jT2_SS_T4_T3_P12ihipStream_tbEUlT_E_NS1_11comp_targetILNS1_3genE0ELNS1_11target_archE4294967295ELNS1_3gpuE0ELNS1_3repE0EEENS1_30default_config_static_selectorELNS0_4arch9wavefront6targetE1EEEvSR_.num_vgpr, 0
	.set _ZN7rocprim17ROCPRIM_400000_NS6detail17trampoline_kernelINS0_14default_configENS1_32segmented_reduce_config_selectorIN3c108BFloat16EEEZNS1_21segmented_reduce_implIS3_PKS6_PS6_PKlS6_N6hipcub16HIPCUB_304000_NS6detail27convert_result_type_wrapperISA_SB_N2at6native12_GLOBAL__N_110CustomProdEEEEE10hipError_tPvRmT0_T1_jT2_SS_T4_T3_P12ihipStream_tbEUlT_E_NS1_11comp_targetILNS1_3genE0ELNS1_11target_archE4294967295ELNS1_3gpuE0ELNS1_3repE0EEENS1_30default_config_static_selectorELNS0_4arch9wavefront6targetE1EEEvSR_.num_agpr, 0
	.set _ZN7rocprim17ROCPRIM_400000_NS6detail17trampoline_kernelINS0_14default_configENS1_32segmented_reduce_config_selectorIN3c108BFloat16EEEZNS1_21segmented_reduce_implIS3_PKS6_PS6_PKlS6_N6hipcub16HIPCUB_304000_NS6detail27convert_result_type_wrapperISA_SB_N2at6native12_GLOBAL__N_110CustomProdEEEEE10hipError_tPvRmT0_T1_jT2_SS_T4_T3_P12ihipStream_tbEUlT_E_NS1_11comp_targetILNS1_3genE0ELNS1_11target_archE4294967295ELNS1_3gpuE0ELNS1_3repE0EEENS1_30default_config_static_selectorELNS0_4arch9wavefront6targetE1EEEvSR_.numbered_sgpr, 0
	.set _ZN7rocprim17ROCPRIM_400000_NS6detail17trampoline_kernelINS0_14default_configENS1_32segmented_reduce_config_selectorIN3c108BFloat16EEEZNS1_21segmented_reduce_implIS3_PKS6_PS6_PKlS6_N6hipcub16HIPCUB_304000_NS6detail27convert_result_type_wrapperISA_SB_N2at6native12_GLOBAL__N_110CustomProdEEEEE10hipError_tPvRmT0_T1_jT2_SS_T4_T3_P12ihipStream_tbEUlT_E_NS1_11comp_targetILNS1_3genE0ELNS1_11target_archE4294967295ELNS1_3gpuE0ELNS1_3repE0EEENS1_30default_config_static_selectorELNS0_4arch9wavefront6targetE1EEEvSR_.num_named_barrier, 0
	.set _ZN7rocprim17ROCPRIM_400000_NS6detail17trampoline_kernelINS0_14default_configENS1_32segmented_reduce_config_selectorIN3c108BFloat16EEEZNS1_21segmented_reduce_implIS3_PKS6_PS6_PKlS6_N6hipcub16HIPCUB_304000_NS6detail27convert_result_type_wrapperISA_SB_N2at6native12_GLOBAL__N_110CustomProdEEEEE10hipError_tPvRmT0_T1_jT2_SS_T4_T3_P12ihipStream_tbEUlT_E_NS1_11comp_targetILNS1_3genE0ELNS1_11target_archE4294967295ELNS1_3gpuE0ELNS1_3repE0EEENS1_30default_config_static_selectorELNS0_4arch9wavefront6targetE1EEEvSR_.private_seg_size, 0
	.set _ZN7rocprim17ROCPRIM_400000_NS6detail17trampoline_kernelINS0_14default_configENS1_32segmented_reduce_config_selectorIN3c108BFloat16EEEZNS1_21segmented_reduce_implIS3_PKS6_PS6_PKlS6_N6hipcub16HIPCUB_304000_NS6detail27convert_result_type_wrapperISA_SB_N2at6native12_GLOBAL__N_110CustomProdEEEEE10hipError_tPvRmT0_T1_jT2_SS_T4_T3_P12ihipStream_tbEUlT_E_NS1_11comp_targetILNS1_3genE0ELNS1_11target_archE4294967295ELNS1_3gpuE0ELNS1_3repE0EEENS1_30default_config_static_selectorELNS0_4arch9wavefront6targetE1EEEvSR_.uses_vcc, 0
	.set _ZN7rocprim17ROCPRIM_400000_NS6detail17trampoline_kernelINS0_14default_configENS1_32segmented_reduce_config_selectorIN3c108BFloat16EEEZNS1_21segmented_reduce_implIS3_PKS6_PS6_PKlS6_N6hipcub16HIPCUB_304000_NS6detail27convert_result_type_wrapperISA_SB_N2at6native12_GLOBAL__N_110CustomProdEEEEE10hipError_tPvRmT0_T1_jT2_SS_T4_T3_P12ihipStream_tbEUlT_E_NS1_11comp_targetILNS1_3genE0ELNS1_11target_archE4294967295ELNS1_3gpuE0ELNS1_3repE0EEENS1_30default_config_static_selectorELNS0_4arch9wavefront6targetE1EEEvSR_.uses_flat_scratch, 0
	.set _ZN7rocprim17ROCPRIM_400000_NS6detail17trampoline_kernelINS0_14default_configENS1_32segmented_reduce_config_selectorIN3c108BFloat16EEEZNS1_21segmented_reduce_implIS3_PKS6_PS6_PKlS6_N6hipcub16HIPCUB_304000_NS6detail27convert_result_type_wrapperISA_SB_N2at6native12_GLOBAL__N_110CustomProdEEEEE10hipError_tPvRmT0_T1_jT2_SS_T4_T3_P12ihipStream_tbEUlT_E_NS1_11comp_targetILNS1_3genE0ELNS1_11target_archE4294967295ELNS1_3gpuE0ELNS1_3repE0EEENS1_30default_config_static_selectorELNS0_4arch9wavefront6targetE1EEEvSR_.has_dyn_sized_stack, 0
	.set _ZN7rocprim17ROCPRIM_400000_NS6detail17trampoline_kernelINS0_14default_configENS1_32segmented_reduce_config_selectorIN3c108BFloat16EEEZNS1_21segmented_reduce_implIS3_PKS6_PS6_PKlS6_N6hipcub16HIPCUB_304000_NS6detail27convert_result_type_wrapperISA_SB_N2at6native12_GLOBAL__N_110CustomProdEEEEE10hipError_tPvRmT0_T1_jT2_SS_T4_T3_P12ihipStream_tbEUlT_E_NS1_11comp_targetILNS1_3genE0ELNS1_11target_archE4294967295ELNS1_3gpuE0ELNS1_3repE0EEENS1_30default_config_static_selectorELNS0_4arch9wavefront6targetE1EEEvSR_.has_recursion, 0
	.set _ZN7rocprim17ROCPRIM_400000_NS6detail17trampoline_kernelINS0_14default_configENS1_32segmented_reduce_config_selectorIN3c108BFloat16EEEZNS1_21segmented_reduce_implIS3_PKS6_PS6_PKlS6_N6hipcub16HIPCUB_304000_NS6detail27convert_result_type_wrapperISA_SB_N2at6native12_GLOBAL__N_110CustomProdEEEEE10hipError_tPvRmT0_T1_jT2_SS_T4_T3_P12ihipStream_tbEUlT_E_NS1_11comp_targetILNS1_3genE0ELNS1_11target_archE4294967295ELNS1_3gpuE0ELNS1_3repE0EEENS1_30default_config_static_selectorELNS0_4arch9wavefront6targetE1EEEvSR_.has_indirect_call, 0
	.section	.AMDGPU.csdata,"",@progbits
; Kernel info:
; codeLenInByte = 0
; TotalNumSgprs: 4
; NumVgprs: 0
; ScratchSize: 0
; MemoryBound: 0
; FloatMode: 240
; IeeeMode: 1
; LDSByteSize: 0 bytes/workgroup (compile time only)
; SGPRBlocks: 0
; VGPRBlocks: 0
; NumSGPRsForWavesPerEU: 4
; NumVGPRsForWavesPerEU: 1
; Occupancy: 10
; WaveLimiterHint : 0
; COMPUTE_PGM_RSRC2:SCRATCH_EN: 0
; COMPUTE_PGM_RSRC2:USER_SGPR: 6
; COMPUTE_PGM_RSRC2:TRAP_HANDLER: 0
; COMPUTE_PGM_RSRC2:TGID_X_EN: 1
; COMPUTE_PGM_RSRC2:TGID_Y_EN: 0
; COMPUTE_PGM_RSRC2:TGID_Z_EN: 0
; COMPUTE_PGM_RSRC2:TIDIG_COMP_CNT: 0
	.section	.text._ZN7rocprim17ROCPRIM_400000_NS6detail17trampoline_kernelINS0_14default_configENS1_32segmented_reduce_config_selectorIN3c108BFloat16EEEZNS1_21segmented_reduce_implIS3_PKS6_PS6_PKlS6_N6hipcub16HIPCUB_304000_NS6detail27convert_result_type_wrapperISA_SB_N2at6native12_GLOBAL__N_110CustomProdEEEEE10hipError_tPvRmT0_T1_jT2_SS_T4_T3_P12ihipStream_tbEUlT_E_NS1_11comp_targetILNS1_3genE5ELNS1_11target_archE942ELNS1_3gpuE9ELNS1_3repE0EEENS1_30default_config_static_selectorELNS0_4arch9wavefront6targetE1EEEvSR_,"axG",@progbits,_ZN7rocprim17ROCPRIM_400000_NS6detail17trampoline_kernelINS0_14default_configENS1_32segmented_reduce_config_selectorIN3c108BFloat16EEEZNS1_21segmented_reduce_implIS3_PKS6_PS6_PKlS6_N6hipcub16HIPCUB_304000_NS6detail27convert_result_type_wrapperISA_SB_N2at6native12_GLOBAL__N_110CustomProdEEEEE10hipError_tPvRmT0_T1_jT2_SS_T4_T3_P12ihipStream_tbEUlT_E_NS1_11comp_targetILNS1_3genE5ELNS1_11target_archE942ELNS1_3gpuE9ELNS1_3repE0EEENS1_30default_config_static_selectorELNS0_4arch9wavefront6targetE1EEEvSR_,comdat
	.globl	_ZN7rocprim17ROCPRIM_400000_NS6detail17trampoline_kernelINS0_14default_configENS1_32segmented_reduce_config_selectorIN3c108BFloat16EEEZNS1_21segmented_reduce_implIS3_PKS6_PS6_PKlS6_N6hipcub16HIPCUB_304000_NS6detail27convert_result_type_wrapperISA_SB_N2at6native12_GLOBAL__N_110CustomProdEEEEE10hipError_tPvRmT0_T1_jT2_SS_T4_T3_P12ihipStream_tbEUlT_E_NS1_11comp_targetILNS1_3genE5ELNS1_11target_archE942ELNS1_3gpuE9ELNS1_3repE0EEENS1_30default_config_static_selectorELNS0_4arch9wavefront6targetE1EEEvSR_ ; -- Begin function _ZN7rocprim17ROCPRIM_400000_NS6detail17trampoline_kernelINS0_14default_configENS1_32segmented_reduce_config_selectorIN3c108BFloat16EEEZNS1_21segmented_reduce_implIS3_PKS6_PS6_PKlS6_N6hipcub16HIPCUB_304000_NS6detail27convert_result_type_wrapperISA_SB_N2at6native12_GLOBAL__N_110CustomProdEEEEE10hipError_tPvRmT0_T1_jT2_SS_T4_T3_P12ihipStream_tbEUlT_E_NS1_11comp_targetILNS1_3genE5ELNS1_11target_archE942ELNS1_3gpuE9ELNS1_3repE0EEENS1_30default_config_static_selectorELNS0_4arch9wavefront6targetE1EEEvSR_
	.p2align	8
	.type	_ZN7rocprim17ROCPRIM_400000_NS6detail17trampoline_kernelINS0_14default_configENS1_32segmented_reduce_config_selectorIN3c108BFloat16EEEZNS1_21segmented_reduce_implIS3_PKS6_PS6_PKlS6_N6hipcub16HIPCUB_304000_NS6detail27convert_result_type_wrapperISA_SB_N2at6native12_GLOBAL__N_110CustomProdEEEEE10hipError_tPvRmT0_T1_jT2_SS_T4_T3_P12ihipStream_tbEUlT_E_NS1_11comp_targetILNS1_3genE5ELNS1_11target_archE942ELNS1_3gpuE9ELNS1_3repE0EEENS1_30default_config_static_selectorELNS0_4arch9wavefront6targetE1EEEvSR_,@function
_ZN7rocprim17ROCPRIM_400000_NS6detail17trampoline_kernelINS0_14default_configENS1_32segmented_reduce_config_selectorIN3c108BFloat16EEEZNS1_21segmented_reduce_implIS3_PKS6_PS6_PKlS6_N6hipcub16HIPCUB_304000_NS6detail27convert_result_type_wrapperISA_SB_N2at6native12_GLOBAL__N_110CustomProdEEEEE10hipError_tPvRmT0_T1_jT2_SS_T4_T3_P12ihipStream_tbEUlT_E_NS1_11comp_targetILNS1_3genE5ELNS1_11target_archE942ELNS1_3gpuE9ELNS1_3repE0EEENS1_30default_config_static_selectorELNS0_4arch9wavefront6targetE1EEEvSR_: ; @_ZN7rocprim17ROCPRIM_400000_NS6detail17trampoline_kernelINS0_14default_configENS1_32segmented_reduce_config_selectorIN3c108BFloat16EEEZNS1_21segmented_reduce_implIS3_PKS6_PS6_PKlS6_N6hipcub16HIPCUB_304000_NS6detail27convert_result_type_wrapperISA_SB_N2at6native12_GLOBAL__N_110CustomProdEEEEE10hipError_tPvRmT0_T1_jT2_SS_T4_T3_P12ihipStream_tbEUlT_E_NS1_11comp_targetILNS1_3genE5ELNS1_11target_archE942ELNS1_3gpuE9ELNS1_3repE0EEENS1_30default_config_static_selectorELNS0_4arch9wavefront6targetE1EEEvSR_
; %bb.0:
	.section	.rodata,"a",@progbits
	.p2align	6, 0x0
	.amdhsa_kernel _ZN7rocprim17ROCPRIM_400000_NS6detail17trampoline_kernelINS0_14default_configENS1_32segmented_reduce_config_selectorIN3c108BFloat16EEEZNS1_21segmented_reduce_implIS3_PKS6_PS6_PKlS6_N6hipcub16HIPCUB_304000_NS6detail27convert_result_type_wrapperISA_SB_N2at6native12_GLOBAL__N_110CustomProdEEEEE10hipError_tPvRmT0_T1_jT2_SS_T4_T3_P12ihipStream_tbEUlT_E_NS1_11comp_targetILNS1_3genE5ELNS1_11target_archE942ELNS1_3gpuE9ELNS1_3repE0EEENS1_30default_config_static_selectorELNS0_4arch9wavefront6targetE1EEEvSR_
		.amdhsa_group_segment_fixed_size 0
		.amdhsa_private_segment_fixed_size 0
		.amdhsa_kernarg_size 48
		.amdhsa_user_sgpr_count 6
		.amdhsa_user_sgpr_private_segment_buffer 1
		.amdhsa_user_sgpr_dispatch_ptr 0
		.amdhsa_user_sgpr_queue_ptr 0
		.amdhsa_user_sgpr_kernarg_segment_ptr 1
		.amdhsa_user_sgpr_dispatch_id 0
		.amdhsa_user_sgpr_flat_scratch_init 0
		.amdhsa_user_sgpr_private_segment_size 0
		.amdhsa_uses_dynamic_stack 0
		.amdhsa_system_sgpr_private_segment_wavefront_offset 0
		.amdhsa_system_sgpr_workgroup_id_x 1
		.amdhsa_system_sgpr_workgroup_id_y 0
		.amdhsa_system_sgpr_workgroup_id_z 0
		.amdhsa_system_sgpr_workgroup_info 0
		.amdhsa_system_vgpr_workitem_id 0
		.amdhsa_next_free_vgpr 1
		.amdhsa_next_free_sgpr 0
		.amdhsa_reserve_vcc 0
		.amdhsa_reserve_flat_scratch 0
		.amdhsa_float_round_mode_32 0
		.amdhsa_float_round_mode_16_64 0
		.amdhsa_float_denorm_mode_32 3
		.amdhsa_float_denorm_mode_16_64 3
		.amdhsa_dx10_clamp 1
		.amdhsa_ieee_mode 1
		.amdhsa_fp16_overflow 0
		.amdhsa_exception_fp_ieee_invalid_op 0
		.amdhsa_exception_fp_denorm_src 0
		.amdhsa_exception_fp_ieee_div_zero 0
		.amdhsa_exception_fp_ieee_overflow 0
		.amdhsa_exception_fp_ieee_underflow 0
		.amdhsa_exception_fp_ieee_inexact 0
		.amdhsa_exception_int_div_zero 0
	.end_amdhsa_kernel
	.section	.text._ZN7rocprim17ROCPRIM_400000_NS6detail17trampoline_kernelINS0_14default_configENS1_32segmented_reduce_config_selectorIN3c108BFloat16EEEZNS1_21segmented_reduce_implIS3_PKS6_PS6_PKlS6_N6hipcub16HIPCUB_304000_NS6detail27convert_result_type_wrapperISA_SB_N2at6native12_GLOBAL__N_110CustomProdEEEEE10hipError_tPvRmT0_T1_jT2_SS_T4_T3_P12ihipStream_tbEUlT_E_NS1_11comp_targetILNS1_3genE5ELNS1_11target_archE942ELNS1_3gpuE9ELNS1_3repE0EEENS1_30default_config_static_selectorELNS0_4arch9wavefront6targetE1EEEvSR_,"axG",@progbits,_ZN7rocprim17ROCPRIM_400000_NS6detail17trampoline_kernelINS0_14default_configENS1_32segmented_reduce_config_selectorIN3c108BFloat16EEEZNS1_21segmented_reduce_implIS3_PKS6_PS6_PKlS6_N6hipcub16HIPCUB_304000_NS6detail27convert_result_type_wrapperISA_SB_N2at6native12_GLOBAL__N_110CustomProdEEEEE10hipError_tPvRmT0_T1_jT2_SS_T4_T3_P12ihipStream_tbEUlT_E_NS1_11comp_targetILNS1_3genE5ELNS1_11target_archE942ELNS1_3gpuE9ELNS1_3repE0EEENS1_30default_config_static_selectorELNS0_4arch9wavefront6targetE1EEEvSR_,comdat
.Lfunc_end273:
	.size	_ZN7rocprim17ROCPRIM_400000_NS6detail17trampoline_kernelINS0_14default_configENS1_32segmented_reduce_config_selectorIN3c108BFloat16EEEZNS1_21segmented_reduce_implIS3_PKS6_PS6_PKlS6_N6hipcub16HIPCUB_304000_NS6detail27convert_result_type_wrapperISA_SB_N2at6native12_GLOBAL__N_110CustomProdEEEEE10hipError_tPvRmT0_T1_jT2_SS_T4_T3_P12ihipStream_tbEUlT_E_NS1_11comp_targetILNS1_3genE5ELNS1_11target_archE942ELNS1_3gpuE9ELNS1_3repE0EEENS1_30default_config_static_selectorELNS0_4arch9wavefront6targetE1EEEvSR_, .Lfunc_end273-_ZN7rocprim17ROCPRIM_400000_NS6detail17trampoline_kernelINS0_14default_configENS1_32segmented_reduce_config_selectorIN3c108BFloat16EEEZNS1_21segmented_reduce_implIS3_PKS6_PS6_PKlS6_N6hipcub16HIPCUB_304000_NS6detail27convert_result_type_wrapperISA_SB_N2at6native12_GLOBAL__N_110CustomProdEEEEE10hipError_tPvRmT0_T1_jT2_SS_T4_T3_P12ihipStream_tbEUlT_E_NS1_11comp_targetILNS1_3genE5ELNS1_11target_archE942ELNS1_3gpuE9ELNS1_3repE0EEENS1_30default_config_static_selectorELNS0_4arch9wavefront6targetE1EEEvSR_
                                        ; -- End function
	.set _ZN7rocprim17ROCPRIM_400000_NS6detail17trampoline_kernelINS0_14default_configENS1_32segmented_reduce_config_selectorIN3c108BFloat16EEEZNS1_21segmented_reduce_implIS3_PKS6_PS6_PKlS6_N6hipcub16HIPCUB_304000_NS6detail27convert_result_type_wrapperISA_SB_N2at6native12_GLOBAL__N_110CustomProdEEEEE10hipError_tPvRmT0_T1_jT2_SS_T4_T3_P12ihipStream_tbEUlT_E_NS1_11comp_targetILNS1_3genE5ELNS1_11target_archE942ELNS1_3gpuE9ELNS1_3repE0EEENS1_30default_config_static_selectorELNS0_4arch9wavefront6targetE1EEEvSR_.num_vgpr, 0
	.set _ZN7rocprim17ROCPRIM_400000_NS6detail17trampoline_kernelINS0_14default_configENS1_32segmented_reduce_config_selectorIN3c108BFloat16EEEZNS1_21segmented_reduce_implIS3_PKS6_PS6_PKlS6_N6hipcub16HIPCUB_304000_NS6detail27convert_result_type_wrapperISA_SB_N2at6native12_GLOBAL__N_110CustomProdEEEEE10hipError_tPvRmT0_T1_jT2_SS_T4_T3_P12ihipStream_tbEUlT_E_NS1_11comp_targetILNS1_3genE5ELNS1_11target_archE942ELNS1_3gpuE9ELNS1_3repE0EEENS1_30default_config_static_selectorELNS0_4arch9wavefront6targetE1EEEvSR_.num_agpr, 0
	.set _ZN7rocprim17ROCPRIM_400000_NS6detail17trampoline_kernelINS0_14default_configENS1_32segmented_reduce_config_selectorIN3c108BFloat16EEEZNS1_21segmented_reduce_implIS3_PKS6_PS6_PKlS6_N6hipcub16HIPCUB_304000_NS6detail27convert_result_type_wrapperISA_SB_N2at6native12_GLOBAL__N_110CustomProdEEEEE10hipError_tPvRmT0_T1_jT2_SS_T4_T3_P12ihipStream_tbEUlT_E_NS1_11comp_targetILNS1_3genE5ELNS1_11target_archE942ELNS1_3gpuE9ELNS1_3repE0EEENS1_30default_config_static_selectorELNS0_4arch9wavefront6targetE1EEEvSR_.numbered_sgpr, 0
	.set _ZN7rocprim17ROCPRIM_400000_NS6detail17trampoline_kernelINS0_14default_configENS1_32segmented_reduce_config_selectorIN3c108BFloat16EEEZNS1_21segmented_reduce_implIS3_PKS6_PS6_PKlS6_N6hipcub16HIPCUB_304000_NS6detail27convert_result_type_wrapperISA_SB_N2at6native12_GLOBAL__N_110CustomProdEEEEE10hipError_tPvRmT0_T1_jT2_SS_T4_T3_P12ihipStream_tbEUlT_E_NS1_11comp_targetILNS1_3genE5ELNS1_11target_archE942ELNS1_3gpuE9ELNS1_3repE0EEENS1_30default_config_static_selectorELNS0_4arch9wavefront6targetE1EEEvSR_.num_named_barrier, 0
	.set _ZN7rocprim17ROCPRIM_400000_NS6detail17trampoline_kernelINS0_14default_configENS1_32segmented_reduce_config_selectorIN3c108BFloat16EEEZNS1_21segmented_reduce_implIS3_PKS6_PS6_PKlS6_N6hipcub16HIPCUB_304000_NS6detail27convert_result_type_wrapperISA_SB_N2at6native12_GLOBAL__N_110CustomProdEEEEE10hipError_tPvRmT0_T1_jT2_SS_T4_T3_P12ihipStream_tbEUlT_E_NS1_11comp_targetILNS1_3genE5ELNS1_11target_archE942ELNS1_3gpuE9ELNS1_3repE0EEENS1_30default_config_static_selectorELNS0_4arch9wavefront6targetE1EEEvSR_.private_seg_size, 0
	.set _ZN7rocprim17ROCPRIM_400000_NS6detail17trampoline_kernelINS0_14default_configENS1_32segmented_reduce_config_selectorIN3c108BFloat16EEEZNS1_21segmented_reduce_implIS3_PKS6_PS6_PKlS6_N6hipcub16HIPCUB_304000_NS6detail27convert_result_type_wrapperISA_SB_N2at6native12_GLOBAL__N_110CustomProdEEEEE10hipError_tPvRmT0_T1_jT2_SS_T4_T3_P12ihipStream_tbEUlT_E_NS1_11comp_targetILNS1_3genE5ELNS1_11target_archE942ELNS1_3gpuE9ELNS1_3repE0EEENS1_30default_config_static_selectorELNS0_4arch9wavefront6targetE1EEEvSR_.uses_vcc, 0
	.set _ZN7rocprim17ROCPRIM_400000_NS6detail17trampoline_kernelINS0_14default_configENS1_32segmented_reduce_config_selectorIN3c108BFloat16EEEZNS1_21segmented_reduce_implIS3_PKS6_PS6_PKlS6_N6hipcub16HIPCUB_304000_NS6detail27convert_result_type_wrapperISA_SB_N2at6native12_GLOBAL__N_110CustomProdEEEEE10hipError_tPvRmT0_T1_jT2_SS_T4_T3_P12ihipStream_tbEUlT_E_NS1_11comp_targetILNS1_3genE5ELNS1_11target_archE942ELNS1_3gpuE9ELNS1_3repE0EEENS1_30default_config_static_selectorELNS0_4arch9wavefront6targetE1EEEvSR_.uses_flat_scratch, 0
	.set _ZN7rocprim17ROCPRIM_400000_NS6detail17trampoline_kernelINS0_14default_configENS1_32segmented_reduce_config_selectorIN3c108BFloat16EEEZNS1_21segmented_reduce_implIS3_PKS6_PS6_PKlS6_N6hipcub16HIPCUB_304000_NS6detail27convert_result_type_wrapperISA_SB_N2at6native12_GLOBAL__N_110CustomProdEEEEE10hipError_tPvRmT0_T1_jT2_SS_T4_T3_P12ihipStream_tbEUlT_E_NS1_11comp_targetILNS1_3genE5ELNS1_11target_archE942ELNS1_3gpuE9ELNS1_3repE0EEENS1_30default_config_static_selectorELNS0_4arch9wavefront6targetE1EEEvSR_.has_dyn_sized_stack, 0
	.set _ZN7rocprim17ROCPRIM_400000_NS6detail17trampoline_kernelINS0_14default_configENS1_32segmented_reduce_config_selectorIN3c108BFloat16EEEZNS1_21segmented_reduce_implIS3_PKS6_PS6_PKlS6_N6hipcub16HIPCUB_304000_NS6detail27convert_result_type_wrapperISA_SB_N2at6native12_GLOBAL__N_110CustomProdEEEEE10hipError_tPvRmT0_T1_jT2_SS_T4_T3_P12ihipStream_tbEUlT_E_NS1_11comp_targetILNS1_3genE5ELNS1_11target_archE942ELNS1_3gpuE9ELNS1_3repE0EEENS1_30default_config_static_selectorELNS0_4arch9wavefront6targetE1EEEvSR_.has_recursion, 0
	.set _ZN7rocprim17ROCPRIM_400000_NS6detail17trampoline_kernelINS0_14default_configENS1_32segmented_reduce_config_selectorIN3c108BFloat16EEEZNS1_21segmented_reduce_implIS3_PKS6_PS6_PKlS6_N6hipcub16HIPCUB_304000_NS6detail27convert_result_type_wrapperISA_SB_N2at6native12_GLOBAL__N_110CustomProdEEEEE10hipError_tPvRmT0_T1_jT2_SS_T4_T3_P12ihipStream_tbEUlT_E_NS1_11comp_targetILNS1_3genE5ELNS1_11target_archE942ELNS1_3gpuE9ELNS1_3repE0EEENS1_30default_config_static_selectorELNS0_4arch9wavefront6targetE1EEEvSR_.has_indirect_call, 0
	.section	.AMDGPU.csdata,"",@progbits
; Kernel info:
; codeLenInByte = 0
; TotalNumSgprs: 4
; NumVgprs: 0
; ScratchSize: 0
; MemoryBound: 0
; FloatMode: 240
; IeeeMode: 1
; LDSByteSize: 0 bytes/workgroup (compile time only)
; SGPRBlocks: 0
; VGPRBlocks: 0
; NumSGPRsForWavesPerEU: 4
; NumVGPRsForWavesPerEU: 1
; Occupancy: 10
; WaveLimiterHint : 0
; COMPUTE_PGM_RSRC2:SCRATCH_EN: 0
; COMPUTE_PGM_RSRC2:USER_SGPR: 6
; COMPUTE_PGM_RSRC2:TRAP_HANDLER: 0
; COMPUTE_PGM_RSRC2:TGID_X_EN: 1
; COMPUTE_PGM_RSRC2:TGID_Y_EN: 0
; COMPUTE_PGM_RSRC2:TGID_Z_EN: 0
; COMPUTE_PGM_RSRC2:TIDIG_COMP_CNT: 0
	.section	.text._ZN7rocprim17ROCPRIM_400000_NS6detail17trampoline_kernelINS0_14default_configENS1_32segmented_reduce_config_selectorIN3c108BFloat16EEEZNS1_21segmented_reduce_implIS3_PKS6_PS6_PKlS6_N6hipcub16HIPCUB_304000_NS6detail27convert_result_type_wrapperISA_SB_N2at6native12_GLOBAL__N_110CustomProdEEEEE10hipError_tPvRmT0_T1_jT2_SS_T4_T3_P12ihipStream_tbEUlT_E_NS1_11comp_targetILNS1_3genE10ELNS1_11target_archE1201ELNS1_3gpuE5ELNS1_3repE0EEENS1_30default_config_static_selectorELNS0_4arch9wavefront6targetE1EEEvSR_,"axG",@progbits,_ZN7rocprim17ROCPRIM_400000_NS6detail17trampoline_kernelINS0_14default_configENS1_32segmented_reduce_config_selectorIN3c108BFloat16EEEZNS1_21segmented_reduce_implIS3_PKS6_PS6_PKlS6_N6hipcub16HIPCUB_304000_NS6detail27convert_result_type_wrapperISA_SB_N2at6native12_GLOBAL__N_110CustomProdEEEEE10hipError_tPvRmT0_T1_jT2_SS_T4_T3_P12ihipStream_tbEUlT_E_NS1_11comp_targetILNS1_3genE10ELNS1_11target_archE1201ELNS1_3gpuE5ELNS1_3repE0EEENS1_30default_config_static_selectorELNS0_4arch9wavefront6targetE1EEEvSR_,comdat
	.globl	_ZN7rocprim17ROCPRIM_400000_NS6detail17trampoline_kernelINS0_14default_configENS1_32segmented_reduce_config_selectorIN3c108BFloat16EEEZNS1_21segmented_reduce_implIS3_PKS6_PS6_PKlS6_N6hipcub16HIPCUB_304000_NS6detail27convert_result_type_wrapperISA_SB_N2at6native12_GLOBAL__N_110CustomProdEEEEE10hipError_tPvRmT0_T1_jT2_SS_T4_T3_P12ihipStream_tbEUlT_E_NS1_11comp_targetILNS1_3genE10ELNS1_11target_archE1201ELNS1_3gpuE5ELNS1_3repE0EEENS1_30default_config_static_selectorELNS0_4arch9wavefront6targetE1EEEvSR_ ; -- Begin function _ZN7rocprim17ROCPRIM_400000_NS6detail17trampoline_kernelINS0_14default_configENS1_32segmented_reduce_config_selectorIN3c108BFloat16EEEZNS1_21segmented_reduce_implIS3_PKS6_PS6_PKlS6_N6hipcub16HIPCUB_304000_NS6detail27convert_result_type_wrapperISA_SB_N2at6native12_GLOBAL__N_110CustomProdEEEEE10hipError_tPvRmT0_T1_jT2_SS_T4_T3_P12ihipStream_tbEUlT_E_NS1_11comp_targetILNS1_3genE10ELNS1_11target_archE1201ELNS1_3gpuE5ELNS1_3repE0EEENS1_30default_config_static_selectorELNS0_4arch9wavefront6targetE1EEEvSR_
	.p2align	8
	.type	_ZN7rocprim17ROCPRIM_400000_NS6detail17trampoline_kernelINS0_14default_configENS1_32segmented_reduce_config_selectorIN3c108BFloat16EEEZNS1_21segmented_reduce_implIS3_PKS6_PS6_PKlS6_N6hipcub16HIPCUB_304000_NS6detail27convert_result_type_wrapperISA_SB_N2at6native12_GLOBAL__N_110CustomProdEEEEE10hipError_tPvRmT0_T1_jT2_SS_T4_T3_P12ihipStream_tbEUlT_E_NS1_11comp_targetILNS1_3genE10ELNS1_11target_archE1201ELNS1_3gpuE5ELNS1_3repE0EEENS1_30default_config_static_selectorELNS0_4arch9wavefront6targetE1EEEvSR_,@function
_ZN7rocprim17ROCPRIM_400000_NS6detail17trampoline_kernelINS0_14default_configENS1_32segmented_reduce_config_selectorIN3c108BFloat16EEEZNS1_21segmented_reduce_implIS3_PKS6_PS6_PKlS6_N6hipcub16HIPCUB_304000_NS6detail27convert_result_type_wrapperISA_SB_N2at6native12_GLOBAL__N_110CustomProdEEEEE10hipError_tPvRmT0_T1_jT2_SS_T4_T3_P12ihipStream_tbEUlT_E_NS1_11comp_targetILNS1_3genE10ELNS1_11target_archE1201ELNS1_3gpuE5ELNS1_3repE0EEENS1_30default_config_static_selectorELNS0_4arch9wavefront6targetE1EEEvSR_: ; @_ZN7rocprim17ROCPRIM_400000_NS6detail17trampoline_kernelINS0_14default_configENS1_32segmented_reduce_config_selectorIN3c108BFloat16EEEZNS1_21segmented_reduce_implIS3_PKS6_PS6_PKlS6_N6hipcub16HIPCUB_304000_NS6detail27convert_result_type_wrapperISA_SB_N2at6native12_GLOBAL__N_110CustomProdEEEEE10hipError_tPvRmT0_T1_jT2_SS_T4_T3_P12ihipStream_tbEUlT_E_NS1_11comp_targetILNS1_3genE10ELNS1_11target_archE1201ELNS1_3gpuE5ELNS1_3repE0EEENS1_30default_config_static_selectorELNS0_4arch9wavefront6targetE1EEEvSR_
; %bb.0:
	.section	.rodata,"a",@progbits
	.p2align	6, 0x0
	.amdhsa_kernel _ZN7rocprim17ROCPRIM_400000_NS6detail17trampoline_kernelINS0_14default_configENS1_32segmented_reduce_config_selectorIN3c108BFloat16EEEZNS1_21segmented_reduce_implIS3_PKS6_PS6_PKlS6_N6hipcub16HIPCUB_304000_NS6detail27convert_result_type_wrapperISA_SB_N2at6native12_GLOBAL__N_110CustomProdEEEEE10hipError_tPvRmT0_T1_jT2_SS_T4_T3_P12ihipStream_tbEUlT_E_NS1_11comp_targetILNS1_3genE10ELNS1_11target_archE1201ELNS1_3gpuE5ELNS1_3repE0EEENS1_30default_config_static_selectorELNS0_4arch9wavefront6targetE1EEEvSR_
		.amdhsa_group_segment_fixed_size 0
		.amdhsa_private_segment_fixed_size 0
		.amdhsa_kernarg_size 48
		.amdhsa_user_sgpr_count 6
		.amdhsa_user_sgpr_private_segment_buffer 1
		.amdhsa_user_sgpr_dispatch_ptr 0
		.amdhsa_user_sgpr_queue_ptr 0
		.amdhsa_user_sgpr_kernarg_segment_ptr 1
		.amdhsa_user_sgpr_dispatch_id 0
		.amdhsa_user_sgpr_flat_scratch_init 0
		.amdhsa_user_sgpr_private_segment_size 0
		.amdhsa_uses_dynamic_stack 0
		.amdhsa_system_sgpr_private_segment_wavefront_offset 0
		.amdhsa_system_sgpr_workgroup_id_x 1
		.amdhsa_system_sgpr_workgroup_id_y 0
		.amdhsa_system_sgpr_workgroup_id_z 0
		.amdhsa_system_sgpr_workgroup_info 0
		.amdhsa_system_vgpr_workitem_id 0
		.amdhsa_next_free_vgpr 1
		.amdhsa_next_free_sgpr 0
		.amdhsa_reserve_vcc 0
		.amdhsa_reserve_flat_scratch 0
		.amdhsa_float_round_mode_32 0
		.amdhsa_float_round_mode_16_64 0
		.amdhsa_float_denorm_mode_32 3
		.amdhsa_float_denorm_mode_16_64 3
		.amdhsa_dx10_clamp 1
		.amdhsa_ieee_mode 1
		.amdhsa_fp16_overflow 0
		.amdhsa_exception_fp_ieee_invalid_op 0
		.amdhsa_exception_fp_denorm_src 0
		.amdhsa_exception_fp_ieee_div_zero 0
		.amdhsa_exception_fp_ieee_overflow 0
		.amdhsa_exception_fp_ieee_underflow 0
		.amdhsa_exception_fp_ieee_inexact 0
		.amdhsa_exception_int_div_zero 0
	.end_amdhsa_kernel
	.section	.text._ZN7rocprim17ROCPRIM_400000_NS6detail17trampoline_kernelINS0_14default_configENS1_32segmented_reduce_config_selectorIN3c108BFloat16EEEZNS1_21segmented_reduce_implIS3_PKS6_PS6_PKlS6_N6hipcub16HIPCUB_304000_NS6detail27convert_result_type_wrapperISA_SB_N2at6native12_GLOBAL__N_110CustomProdEEEEE10hipError_tPvRmT0_T1_jT2_SS_T4_T3_P12ihipStream_tbEUlT_E_NS1_11comp_targetILNS1_3genE10ELNS1_11target_archE1201ELNS1_3gpuE5ELNS1_3repE0EEENS1_30default_config_static_selectorELNS0_4arch9wavefront6targetE1EEEvSR_,"axG",@progbits,_ZN7rocprim17ROCPRIM_400000_NS6detail17trampoline_kernelINS0_14default_configENS1_32segmented_reduce_config_selectorIN3c108BFloat16EEEZNS1_21segmented_reduce_implIS3_PKS6_PS6_PKlS6_N6hipcub16HIPCUB_304000_NS6detail27convert_result_type_wrapperISA_SB_N2at6native12_GLOBAL__N_110CustomProdEEEEE10hipError_tPvRmT0_T1_jT2_SS_T4_T3_P12ihipStream_tbEUlT_E_NS1_11comp_targetILNS1_3genE10ELNS1_11target_archE1201ELNS1_3gpuE5ELNS1_3repE0EEENS1_30default_config_static_selectorELNS0_4arch9wavefront6targetE1EEEvSR_,comdat
.Lfunc_end274:
	.size	_ZN7rocprim17ROCPRIM_400000_NS6detail17trampoline_kernelINS0_14default_configENS1_32segmented_reduce_config_selectorIN3c108BFloat16EEEZNS1_21segmented_reduce_implIS3_PKS6_PS6_PKlS6_N6hipcub16HIPCUB_304000_NS6detail27convert_result_type_wrapperISA_SB_N2at6native12_GLOBAL__N_110CustomProdEEEEE10hipError_tPvRmT0_T1_jT2_SS_T4_T3_P12ihipStream_tbEUlT_E_NS1_11comp_targetILNS1_3genE10ELNS1_11target_archE1201ELNS1_3gpuE5ELNS1_3repE0EEENS1_30default_config_static_selectorELNS0_4arch9wavefront6targetE1EEEvSR_, .Lfunc_end274-_ZN7rocprim17ROCPRIM_400000_NS6detail17trampoline_kernelINS0_14default_configENS1_32segmented_reduce_config_selectorIN3c108BFloat16EEEZNS1_21segmented_reduce_implIS3_PKS6_PS6_PKlS6_N6hipcub16HIPCUB_304000_NS6detail27convert_result_type_wrapperISA_SB_N2at6native12_GLOBAL__N_110CustomProdEEEEE10hipError_tPvRmT0_T1_jT2_SS_T4_T3_P12ihipStream_tbEUlT_E_NS1_11comp_targetILNS1_3genE10ELNS1_11target_archE1201ELNS1_3gpuE5ELNS1_3repE0EEENS1_30default_config_static_selectorELNS0_4arch9wavefront6targetE1EEEvSR_
                                        ; -- End function
	.set _ZN7rocprim17ROCPRIM_400000_NS6detail17trampoline_kernelINS0_14default_configENS1_32segmented_reduce_config_selectorIN3c108BFloat16EEEZNS1_21segmented_reduce_implIS3_PKS6_PS6_PKlS6_N6hipcub16HIPCUB_304000_NS6detail27convert_result_type_wrapperISA_SB_N2at6native12_GLOBAL__N_110CustomProdEEEEE10hipError_tPvRmT0_T1_jT2_SS_T4_T3_P12ihipStream_tbEUlT_E_NS1_11comp_targetILNS1_3genE10ELNS1_11target_archE1201ELNS1_3gpuE5ELNS1_3repE0EEENS1_30default_config_static_selectorELNS0_4arch9wavefront6targetE1EEEvSR_.num_vgpr, 0
	.set _ZN7rocprim17ROCPRIM_400000_NS6detail17trampoline_kernelINS0_14default_configENS1_32segmented_reduce_config_selectorIN3c108BFloat16EEEZNS1_21segmented_reduce_implIS3_PKS6_PS6_PKlS6_N6hipcub16HIPCUB_304000_NS6detail27convert_result_type_wrapperISA_SB_N2at6native12_GLOBAL__N_110CustomProdEEEEE10hipError_tPvRmT0_T1_jT2_SS_T4_T3_P12ihipStream_tbEUlT_E_NS1_11comp_targetILNS1_3genE10ELNS1_11target_archE1201ELNS1_3gpuE5ELNS1_3repE0EEENS1_30default_config_static_selectorELNS0_4arch9wavefront6targetE1EEEvSR_.num_agpr, 0
	.set _ZN7rocprim17ROCPRIM_400000_NS6detail17trampoline_kernelINS0_14default_configENS1_32segmented_reduce_config_selectorIN3c108BFloat16EEEZNS1_21segmented_reduce_implIS3_PKS6_PS6_PKlS6_N6hipcub16HIPCUB_304000_NS6detail27convert_result_type_wrapperISA_SB_N2at6native12_GLOBAL__N_110CustomProdEEEEE10hipError_tPvRmT0_T1_jT2_SS_T4_T3_P12ihipStream_tbEUlT_E_NS1_11comp_targetILNS1_3genE10ELNS1_11target_archE1201ELNS1_3gpuE5ELNS1_3repE0EEENS1_30default_config_static_selectorELNS0_4arch9wavefront6targetE1EEEvSR_.numbered_sgpr, 0
	.set _ZN7rocprim17ROCPRIM_400000_NS6detail17trampoline_kernelINS0_14default_configENS1_32segmented_reduce_config_selectorIN3c108BFloat16EEEZNS1_21segmented_reduce_implIS3_PKS6_PS6_PKlS6_N6hipcub16HIPCUB_304000_NS6detail27convert_result_type_wrapperISA_SB_N2at6native12_GLOBAL__N_110CustomProdEEEEE10hipError_tPvRmT0_T1_jT2_SS_T4_T3_P12ihipStream_tbEUlT_E_NS1_11comp_targetILNS1_3genE10ELNS1_11target_archE1201ELNS1_3gpuE5ELNS1_3repE0EEENS1_30default_config_static_selectorELNS0_4arch9wavefront6targetE1EEEvSR_.num_named_barrier, 0
	.set _ZN7rocprim17ROCPRIM_400000_NS6detail17trampoline_kernelINS0_14default_configENS1_32segmented_reduce_config_selectorIN3c108BFloat16EEEZNS1_21segmented_reduce_implIS3_PKS6_PS6_PKlS6_N6hipcub16HIPCUB_304000_NS6detail27convert_result_type_wrapperISA_SB_N2at6native12_GLOBAL__N_110CustomProdEEEEE10hipError_tPvRmT0_T1_jT2_SS_T4_T3_P12ihipStream_tbEUlT_E_NS1_11comp_targetILNS1_3genE10ELNS1_11target_archE1201ELNS1_3gpuE5ELNS1_3repE0EEENS1_30default_config_static_selectorELNS0_4arch9wavefront6targetE1EEEvSR_.private_seg_size, 0
	.set _ZN7rocprim17ROCPRIM_400000_NS6detail17trampoline_kernelINS0_14default_configENS1_32segmented_reduce_config_selectorIN3c108BFloat16EEEZNS1_21segmented_reduce_implIS3_PKS6_PS6_PKlS6_N6hipcub16HIPCUB_304000_NS6detail27convert_result_type_wrapperISA_SB_N2at6native12_GLOBAL__N_110CustomProdEEEEE10hipError_tPvRmT0_T1_jT2_SS_T4_T3_P12ihipStream_tbEUlT_E_NS1_11comp_targetILNS1_3genE10ELNS1_11target_archE1201ELNS1_3gpuE5ELNS1_3repE0EEENS1_30default_config_static_selectorELNS0_4arch9wavefront6targetE1EEEvSR_.uses_vcc, 0
	.set _ZN7rocprim17ROCPRIM_400000_NS6detail17trampoline_kernelINS0_14default_configENS1_32segmented_reduce_config_selectorIN3c108BFloat16EEEZNS1_21segmented_reduce_implIS3_PKS6_PS6_PKlS6_N6hipcub16HIPCUB_304000_NS6detail27convert_result_type_wrapperISA_SB_N2at6native12_GLOBAL__N_110CustomProdEEEEE10hipError_tPvRmT0_T1_jT2_SS_T4_T3_P12ihipStream_tbEUlT_E_NS1_11comp_targetILNS1_3genE10ELNS1_11target_archE1201ELNS1_3gpuE5ELNS1_3repE0EEENS1_30default_config_static_selectorELNS0_4arch9wavefront6targetE1EEEvSR_.uses_flat_scratch, 0
	.set _ZN7rocprim17ROCPRIM_400000_NS6detail17trampoline_kernelINS0_14default_configENS1_32segmented_reduce_config_selectorIN3c108BFloat16EEEZNS1_21segmented_reduce_implIS3_PKS6_PS6_PKlS6_N6hipcub16HIPCUB_304000_NS6detail27convert_result_type_wrapperISA_SB_N2at6native12_GLOBAL__N_110CustomProdEEEEE10hipError_tPvRmT0_T1_jT2_SS_T4_T3_P12ihipStream_tbEUlT_E_NS1_11comp_targetILNS1_3genE10ELNS1_11target_archE1201ELNS1_3gpuE5ELNS1_3repE0EEENS1_30default_config_static_selectorELNS0_4arch9wavefront6targetE1EEEvSR_.has_dyn_sized_stack, 0
	.set _ZN7rocprim17ROCPRIM_400000_NS6detail17trampoline_kernelINS0_14default_configENS1_32segmented_reduce_config_selectorIN3c108BFloat16EEEZNS1_21segmented_reduce_implIS3_PKS6_PS6_PKlS6_N6hipcub16HIPCUB_304000_NS6detail27convert_result_type_wrapperISA_SB_N2at6native12_GLOBAL__N_110CustomProdEEEEE10hipError_tPvRmT0_T1_jT2_SS_T4_T3_P12ihipStream_tbEUlT_E_NS1_11comp_targetILNS1_3genE10ELNS1_11target_archE1201ELNS1_3gpuE5ELNS1_3repE0EEENS1_30default_config_static_selectorELNS0_4arch9wavefront6targetE1EEEvSR_.has_recursion, 0
	.set _ZN7rocprim17ROCPRIM_400000_NS6detail17trampoline_kernelINS0_14default_configENS1_32segmented_reduce_config_selectorIN3c108BFloat16EEEZNS1_21segmented_reduce_implIS3_PKS6_PS6_PKlS6_N6hipcub16HIPCUB_304000_NS6detail27convert_result_type_wrapperISA_SB_N2at6native12_GLOBAL__N_110CustomProdEEEEE10hipError_tPvRmT0_T1_jT2_SS_T4_T3_P12ihipStream_tbEUlT_E_NS1_11comp_targetILNS1_3genE10ELNS1_11target_archE1201ELNS1_3gpuE5ELNS1_3repE0EEENS1_30default_config_static_selectorELNS0_4arch9wavefront6targetE1EEEvSR_.has_indirect_call, 0
	.section	.AMDGPU.csdata,"",@progbits
; Kernel info:
; codeLenInByte = 0
; TotalNumSgprs: 4
; NumVgprs: 0
; ScratchSize: 0
; MemoryBound: 0
; FloatMode: 240
; IeeeMode: 1
; LDSByteSize: 0 bytes/workgroup (compile time only)
; SGPRBlocks: 0
; VGPRBlocks: 0
; NumSGPRsForWavesPerEU: 4
; NumVGPRsForWavesPerEU: 1
; Occupancy: 10
; WaveLimiterHint : 0
; COMPUTE_PGM_RSRC2:SCRATCH_EN: 0
; COMPUTE_PGM_RSRC2:USER_SGPR: 6
; COMPUTE_PGM_RSRC2:TRAP_HANDLER: 0
; COMPUTE_PGM_RSRC2:TGID_X_EN: 1
; COMPUTE_PGM_RSRC2:TGID_Y_EN: 0
; COMPUTE_PGM_RSRC2:TGID_Z_EN: 0
; COMPUTE_PGM_RSRC2:TIDIG_COMP_CNT: 0
	.section	.text._ZN7rocprim17ROCPRIM_400000_NS6detail17trampoline_kernelINS0_14default_configENS1_32segmented_reduce_config_selectorIN3c108BFloat16EEEZNS1_21segmented_reduce_implIS3_PKS6_PS6_PKlS6_N6hipcub16HIPCUB_304000_NS6detail27convert_result_type_wrapperISA_SB_N2at6native12_GLOBAL__N_110CustomProdEEEEE10hipError_tPvRmT0_T1_jT2_SS_T4_T3_P12ihipStream_tbEUlT_E_NS1_11comp_targetILNS1_3genE4ELNS1_11target_archE910ELNS1_3gpuE8ELNS1_3repE0EEENS1_30default_config_static_selectorELNS0_4arch9wavefront6targetE1EEEvSR_,"axG",@progbits,_ZN7rocprim17ROCPRIM_400000_NS6detail17trampoline_kernelINS0_14default_configENS1_32segmented_reduce_config_selectorIN3c108BFloat16EEEZNS1_21segmented_reduce_implIS3_PKS6_PS6_PKlS6_N6hipcub16HIPCUB_304000_NS6detail27convert_result_type_wrapperISA_SB_N2at6native12_GLOBAL__N_110CustomProdEEEEE10hipError_tPvRmT0_T1_jT2_SS_T4_T3_P12ihipStream_tbEUlT_E_NS1_11comp_targetILNS1_3genE4ELNS1_11target_archE910ELNS1_3gpuE8ELNS1_3repE0EEENS1_30default_config_static_selectorELNS0_4arch9wavefront6targetE1EEEvSR_,comdat
	.globl	_ZN7rocprim17ROCPRIM_400000_NS6detail17trampoline_kernelINS0_14default_configENS1_32segmented_reduce_config_selectorIN3c108BFloat16EEEZNS1_21segmented_reduce_implIS3_PKS6_PS6_PKlS6_N6hipcub16HIPCUB_304000_NS6detail27convert_result_type_wrapperISA_SB_N2at6native12_GLOBAL__N_110CustomProdEEEEE10hipError_tPvRmT0_T1_jT2_SS_T4_T3_P12ihipStream_tbEUlT_E_NS1_11comp_targetILNS1_3genE4ELNS1_11target_archE910ELNS1_3gpuE8ELNS1_3repE0EEENS1_30default_config_static_selectorELNS0_4arch9wavefront6targetE1EEEvSR_ ; -- Begin function _ZN7rocprim17ROCPRIM_400000_NS6detail17trampoline_kernelINS0_14default_configENS1_32segmented_reduce_config_selectorIN3c108BFloat16EEEZNS1_21segmented_reduce_implIS3_PKS6_PS6_PKlS6_N6hipcub16HIPCUB_304000_NS6detail27convert_result_type_wrapperISA_SB_N2at6native12_GLOBAL__N_110CustomProdEEEEE10hipError_tPvRmT0_T1_jT2_SS_T4_T3_P12ihipStream_tbEUlT_E_NS1_11comp_targetILNS1_3genE4ELNS1_11target_archE910ELNS1_3gpuE8ELNS1_3repE0EEENS1_30default_config_static_selectorELNS0_4arch9wavefront6targetE1EEEvSR_
	.p2align	8
	.type	_ZN7rocprim17ROCPRIM_400000_NS6detail17trampoline_kernelINS0_14default_configENS1_32segmented_reduce_config_selectorIN3c108BFloat16EEEZNS1_21segmented_reduce_implIS3_PKS6_PS6_PKlS6_N6hipcub16HIPCUB_304000_NS6detail27convert_result_type_wrapperISA_SB_N2at6native12_GLOBAL__N_110CustomProdEEEEE10hipError_tPvRmT0_T1_jT2_SS_T4_T3_P12ihipStream_tbEUlT_E_NS1_11comp_targetILNS1_3genE4ELNS1_11target_archE910ELNS1_3gpuE8ELNS1_3repE0EEENS1_30default_config_static_selectorELNS0_4arch9wavefront6targetE1EEEvSR_,@function
_ZN7rocprim17ROCPRIM_400000_NS6detail17trampoline_kernelINS0_14default_configENS1_32segmented_reduce_config_selectorIN3c108BFloat16EEEZNS1_21segmented_reduce_implIS3_PKS6_PS6_PKlS6_N6hipcub16HIPCUB_304000_NS6detail27convert_result_type_wrapperISA_SB_N2at6native12_GLOBAL__N_110CustomProdEEEEE10hipError_tPvRmT0_T1_jT2_SS_T4_T3_P12ihipStream_tbEUlT_E_NS1_11comp_targetILNS1_3genE4ELNS1_11target_archE910ELNS1_3gpuE8ELNS1_3repE0EEENS1_30default_config_static_selectorELNS0_4arch9wavefront6targetE1EEEvSR_: ; @_ZN7rocprim17ROCPRIM_400000_NS6detail17trampoline_kernelINS0_14default_configENS1_32segmented_reduce_config_selectorIN3c108BFloat16EEEZNS1_21segmented_reduce_implIS3_PKS6_PS6_PKlS6_N6hipcub16HIPCUB_304000_NS6detail27convert_result_type_wrapperISA_SB_N2at6native12_GLOBAL__N_110CustomProdEEEEE10hipError_tPvRmT0_T1_jT2_SS_T4_T3_P12ihipStream_tbEUlT_E_NS1_11comp_targetILNS1_3genE4ELNS1_11target_archE910ELNS1_3gpuE8ELNS1_3repE0EEENS1_30default_config_static_selectorELNS0_4arch9wavefront6targetE1EEEvSR_
; %bb.0:
	.section	.rodata,"a",@progbits
	.p2align	6, 0x0
	.amdhsa_kernel _ZN7rocprim17ROCPRIM_400000_NS6detail17trampoline_kernelINS0_14default_configENS1_32segmented_reduce_config_selectorIN3c108BFloat16EEEZNS1_21segmented_reduce_implIS3_PKS6_PS6_PKlS6_N6hipcub16HIPCUB_304000_NS6detail27convert_result_type_wrapperISA_SB_N2at6native12_GLOBAL__N_110CustomProdEEEEE10hipError_tPvRmT0_T1_jT2_SS_T4_T3_P12ihipStream_tbEUlT_E_NS1_11comp_targetILNS1_3genE4ELNS1_11target_archE910ELNS1_3gpuE8ELNS1_3repE0EEENS1_30default_config_static_selectorELNS0_4arch9wavefront6targetE1EEEvSR_
		.amdhsa_group_segment_fixed_size 0
		.amdhsa_private_segment_fixed_size 0
		.amdhsa_kernarg_size 48
		.amdhsa_user_sgpr_count 6
		.amdhsa_user_sgpr_private_segment_buffer 1
		.amdhsa_user_sgpr_dispatch_ptr 0
		.amdhsa_user_sgpr_queue_ptr 0
		.amdhsa_user_sgpr_kernarg_segment_ptr 1
		.amdhsa_user_sgpr_dispatch_id 0
		.amdhsa_user_sgpr_flat_scratch_init 0
		.amdhsa_user_sgpr_private_segment_size 0
		.amdhsa_uses_dynamic_stack 0
		.amdhsa_system_sgpr_private_segment_wavefront_offset 0
		.amdhsa_system_sgpr_workgroup_id_x 1
		.amdhsa_system_sgpr_workgroup_id_y 0
		.amdhsa_system_sgpr_workgroup_id_z 0
		.amdhsa_system_sgpr_workgroup_info 0
		.amdhsa_system_vgpr_workitem_id 0
		.amdhsa_next_free_vgpr 1
		.amdhsa_next_free_sgpr 0
		.amdhsa_reserve_vcc 0
		.amdhsa_reserve_flat_scratch 0
		.amdhsa_float_round_mode_32 0
		.amdhsa_float_round_mode_16_64 0
		.amdhsa_float_denorm_mode_32 3
		.amdhsa_float_denorm_mode_16_64 3
		.amdhsa_dx10_clamp 1
		.amdhsa_ieee_mode 1
		.amdhsa_fp16_overflow 0
		.amdhsa_exception_fp_ieee_invalid_op 0
		.amdhsa_exception_fp_denorm_src 0
		.amdhsa_exception_fp_ieee_div_zero 0
		.amdhsa_exception_fp_ieee_overflow 0
		.amdhsa_exception_fp_ieee_underflow 0
		.amdhsa_exception_fp_ieee_inexact 0
		.amdhsa_exception_int_div_zero 0
	.end_amdhsa_kernel
	.section	.text._ZN7rocprim17ROCPRIM_400000_NS6detail17trampoline_kernelINS0_14default_configENS1_32segmented_reduce_config_selectorIN3c108BFloat16EEEZNS1_21segmented_reduce_implIS3_PKS6_PS6_PKlS6_N6hipcub16HIPCUB_304000_NS6detail27convert_result_type_wrapperISA_SB_N2at6native12_GLOBAL__N_110CustomProdEEEEE10hipError_tPvRmT0_T1_jT2_SS_T4_T3_P12ihipStream_tbEUlT_E_NS1_11comp_targetILNS1_3genE4ELNS1_11target_archE910ELNS1_3gpuE8ELNS1_3repE0EEENS1_30default_config_static_selectorELNS0_4arch9wavefront6targetE1EEEvSR_,"axG",@progbits,_ZN7rocprim17ROCPRIM_400000_NS6detail17trampoline_kernelINS0_14default_configENS1_32segmented_reduce_config_selectorIN3c108BFloat16EEEZNS1_21segmented_reduce_implIS3_PKS6_PS6_PKlS6_N6hipcub16HIPCUB_304000_NS6detail27convert_result_type_wrapperISA_SB_N2at6native12_GLOBAL__N_110CustomProdEEEEE10hipError_tPvRmT0_T1_jT2_SS_T4_T3_P12ihipStream_tbEUlT_E_NS1_11comp_targetILNS1_3genE4ELNS1_11target_archE910ELNS1_3gpuE8ELNS1_3repE0EEENS1_30default_config_static_selectorELNS0_4arch9wavefront6targetE1EEEvSR_,comdat
.Lfunc_end275:
	.size	_ZN7rocprim17ROCPRIM_400000_NS6detail17trampoline_kernelINS0_14default_configENS1_32segmented_reduce_config_selectorIN3c108BFloat16EEEZNS1_21segmented_reduce_implIS3_PKS6_PS6_PKlS6_N6hipcub16HIPCUB_304000_NS6detail27convert_result_type_wrapperISA_SB_N2at6native12_GLOBAL__N_110CustomProdEEEEE10hipError_tPvRmT0_T1_jT2_SS_T4_T3_P12ihipStream_tbEUlT_E_NS1_11comp_targetILNS1_3genE4ELNS1_11target_archE910ELNS1_3gpuE8ELNS1_3repE0EEENS1_30default_config_static_selectorELNS0_4arch9wavefront6targetE1EEEvSR_, .Lfunc_end275-_ZN7rocprim17ROCPRIM_400000_NS6detail17trampoline_kernelINS0_14default_configENS1_32segmented_reduce_config_selectorIN3c108BFloat16EEEZNS1_21segmented_reduce_implIS3_PKS6_PS6_PKlS6_N6hipcub16HIPCUB_304000_NS6detail27convert_result_type_wrapperISA_SB_N2at6native12_GLOBAL__N_110CustomProdEEEEE10hipError_tPvRmT0_T1_jT2_SS_T4_T3_P12ihipStream_tbEUlT_E_NS1_11comp_targetILNS1_3genE4ELNS1_11target_archE910ELNS1_3gpuE8ELNS1_3repE0EEENS1_30default_config_static_selectorELNS0_4arch9wavefront6targetE1EEEvSR_
                                        ; -- End function
	.set _ZN7rocprim17ROCPRIM_400000_NS6detail17trampoline_kernelINS0_14default_configENS1_32segmented_reduce_config_selectorIN3c108BFloat16EEEZNS1_21segmented_reduce_implIS3_PKS6_PS6_PKlS6_N6hipcub16HIPCUB_304000_NS6detail27convert_result_type_wrapperISA_SB_N2at6native12_GLOBAL__N_110CustomProdEEEEE10hipError_tPvRmT0_T1_jT2_SS_T4_T3_P12ihipStream_tbEUlT_E_NS1_11comp_targetILNS1_3genE4ELNS1_11target_archE910ELNS1_3gpuE8ELNS1_3repE0EEENS1_30default_config_static_selectorELNS0_4arch9wavefront6targetE1EEEvSR_.num_vgpr, 0
	.set _ZN7rocprim17ROCPRIM_400000_NS6detail17trampoline_kernelINS0_14default_configENS1_32segmented_reduce_config_selectorIN3c108BFloat16EEEZNS1_21segmented_reduce_implIS3_PKS6_PS6_PKlS6_N6hipcub16HIPCUB_304000_NS6detail27convert_result_type_wrapperISA_SB_N2at6native12_GLOBAL__N_110CustomProdEEEEE10hipError_tPvRmT0_T1_jT2_SS_T4_T3_P12ihipStream_tbEUlT_E_NS1_11comp_targetILNS1_3genE4ELNS1_11target_archE910ELNS1_3gpuE8ELNS1_3repE0EEENS1_30default_config_static_selectorELNS0_4arch9wavefront6targetE1EEEvSR_.num_agpr, 0
	.set _ZN7rocprim17ROCPRIM_400000_NS6detail17trampoline_kernelINS0_14default_configENS1_32segmented_reduce_config_selectorIN3c108BFloat16EEEZNS1_21segmented_reduce_implIS3_PKS6_PS6_PKlS6_N6hipcub16HIPCUB_304000_NS6detail27convert_result_type_wrapperISA_SB_N2at6native12_GLOBAL__N_110CustomProdEEEEE10hipError_tPvRmT0_T1_jT2_SS_T4_T3_P12ihipStream_tbEUlT_E_NS1_11comp_targetILNS1_3genE4ELNS1_11target_archE910ELNS1_3gpuE8ELNS1_3repE0EEENS1_30default_config_static_selectorELNS0_4arch9wavefront6targetE1EEEvSR_.numbered_sgpr, 0
	.set _ZN7rocprim17ROCPRIM_400000_NS6detail17trampoline_kernelINS0_14default_configENS1_32segmented_reduce_config_selectorIN3c108BFloat16EEEZNS1_21segmented_reduce_implIS3_PKS6_PS6_PKlS6_N6hipcub16HIPCUB_304000_NS6detail27convert_result_type_wrapperISA_SB_N2at6native12_GLOBAL__N_110CustomProdEEEEE10hipError_tPvRmT0_T1_jT2_SS_T4_T3_P12ihipStream_tbEUlT_E_NS1_11comp_targetILNS1_3genE4ELNS1_11target_archE910ELNS1_3gpuE8ELNS1_3repE0EEENS1_30default_config_static_selectorELNS0_4arch9wavefront6targetE1EEEvSR_.num_named_barrier, 0
	.set _ZN7rocprim17ROCPRIM_400000_NS6detail17trampoline_kernelINS0_14default_configENS1_32segmented_reduce_config_selectorIN3c108BFloat16EEEZNS1_21segmented_reduce_implIS3_PKS6_PS6_PKlS6_N6hipcub16HIPCUB_304000_NS6detail27convert_result_type_wrapperISA_SB_N2at6native12_GLOBAL__N_110CustomProdEEEEE10hipError_tPvRmT0_T1_jT2_SS_T4_T3_P12ihipStream_tbEUlT_E_NS1_11comp_targetILNS1_3genE4ELNS1_11target_archE910ELNS1_3gpuE8ELNS1_3repE0EEENS1_30default_config_static_selectorELNS0_4arch9wavefront6targetE1EEEvSR_.private_seg_size, 0
	.set _ZN7rocprim17ROCPRIM_400000_NS6detail17trampoline_kernelINS0_14default_configENS1_32segmented_reduce_config_selectorIN3c108BFloat16EEEZNS1_21segmented_reduce_implIS3_PKS6_PS6_PKlS6_N6hipcub16HIPCUB_304000_NS6detail27convert_result_type_wrapperISA_SB_N2at6native12_GLOBAL__N_110CustomProdEEEEE10hipError_tPvRmT0_T1_jT2_SS_T4_T3_P12ihipStream_tbEUlT_E_NS1_11comp_targetILNS1_3genE4ELNS1_11target_archE910ELNS1_3gpuE8ELNS1_3repE0EEENS1_30default_config_static_selectorELNS0_4arch9wavefront6targetE1EEEvSR_.uses_vcc, 0
	.set _ZN7rocprim17ROCPRIM_400000_NS6detail17trampoline_kernelINS0_14default_configENS1_32segmented_reduce_config_selectorIN3c108BFloat16EEEZNS1_21segmented_reduce_implIS3_PKS6_PS6_PKlS6_N6hipcub16HIPCUB_304000_NS6detail27convert_result_type_wrapperISA_SB_N2at6native12_GLOBAL__N_110CustomProdEEEEE10hipError_tPvRmT0_T1_jT2_SS_T4_T3_P12ihipStream_tbEUlT_E_NS1_11comp_targetILNS1_3genE4ELNS1_11target_archE910ELNS1_3gpuE8ELNS1_3repE0EEENS1_30default_config_static_selectorELNS0_4arch9wavefront6targetE1EEEvSR_.uses_flat_scratch, 0
	.set _ZN7rocprim17ROCPRIM_400000_NS6detail17trampoline_kernelINS0_14default_configENS1_32segmented_reduce_config_selectorIN3c108BFloat16EEEZNS1_21segmented_reduce_implIS3_PKS6_PS6_PKlS6_N6hipcub16HIPCUB_304000_NS6detail27convert_result_type_wrapperISA_SB_N2at6native12_GLOBAL__N_110CustomProdEEEEE10hipError_tPvRmT0_T1_jT2_SS_T4_T3_P12ihipStream_tbEUlT_E_NS1_11comp_targetILNS1_3genE4ELNS1_11target_archE910ELNS1_3gpuE8ELNS1_3repE0EEENS1_30default_config_static_selectorELNS0_4arch9wavefront6targetE1EEEvSR_.has_dyn_sized_stack, 0
	.set _ZN7rocprim17ROCPRIM_400000_NS6detail17trampoline_kernelINS0_14default_configENS1_32segmented_reduce_config_selectorIN3c108BFloat16EEEZNS1_21segmented_reduce_implIS3_PKS6_PS6_PKlS6_N6hipcub16HIPCUB_304000_NS6detail27convert_result_type_wrapperISA_SB_N2at6native12_GLOBAL__N_110CustomProdEEEEE10hipError_tPvRmT0_T1_jT2_SS_T4_T3_P12ihipStream_tbEUlT_E_NS1_11comp_targetILNS1_3genE4ELNS1_11target_archE910ELNS1_3gpuE8ELNS1_3repE0EEENS1_30default_config_static_selectorELNS0_4arch9wavefront6targetE1EEEvSR_.has_recursion, 0
	.set _ZN7rocprim17ROCPRIM_400000_NS6detail17trampoline_kernelINS0_14default_configENS1_32segmented_reduce_config_selectorIN3c108BFloat16EEEZNS1_21segmented_reduce_implIS3_PKS6_PS6_PKlS6_N6hipcub16HIPCUB_304000_NS6detail27convert_result_type_wrapperISA_SB_N2at6native12_GLOBAL__N_110CustomProdEEEEE10hipError_tPvRmT0_T1_jT2_SS_T4_T3_P12ihipStream_tbEUlT_E_NS1_11comp_targetILNS1_3genE4ELNS1_11target_archE910ELNS1_3gpuE8ELNS1_3repE0EEENS1_30default_config_static_selectorELNS0_4arch9wavefront6targetE1EEEvSR_.has_indirect_call, 0
	.section	.AMDGPU.csdata,"",@progbits
; Kernel info:
; codeLenInByte = 0
; TotalNumSgprs: 4
; NumVgprs: 0
; ScratchSize: 0
; MemoryBound: 0
; FloatMode: 240
; IeeeMode: 1
; LDSByteSize: 0 bytes/workgroup (compile time only)
; SGPRBlocks: 0
; VGPRBlocks: 0
; NumSGPRsForWavesPerEU: 4
; NumVGPRsForWavesPerEU: 1
; Occupancy: 10
; WaveLimiterHint : 0
; COMPUTE_PGM_RSRC2:SCRATCH_EN: 0
; COMPUTE_PGM_RSRC2:USER_SGPR: 6
; COMPUTE_PGM_RSRC2:TRAP_HANDLER: 0
; COMPUTE_PGM_RSRC2:TGID_X_EN: 1
; COMPUTE_PGM_RSRC2:TGID_Y_EN: 0
; COMPUTE_PGM_RSRC2:TGID_Z_EN: 0
; COMPUTE_PGM_RSRC2:TIDIG_COMP_CNT: 0
	.section	.text._ZN7rocprim17ROCPRIM_400000_NS6detail17trampoline_kernelINS0_14default_configENS1_32segmented_reduce_config_selectorIN3c108BFloat16EEEZNS1_21segmented_reduce_implIS3_PKS6_PS6_PKlS6_N6hipcub16HIPCUB_304000_NS6detail27convert_result_type_wrapperISA_SB_N2at6native12_GLOBAL__N_110CustomProdEEEEE10hipError_tPvRmT0_T1_jT2_SS_T4_T3_P12ihipStream_tbEUlT_E_NS1_11comp_targetILNS1_3genE3ELNS1_11target_archE908ELNS1_3gpuE7ELNS1_3repE0EEENS1_30default_config_static_selectorELNS0_4arch9wavefront6targetE1EEEvSR_,"axG",@progbits,_ZN7rocprim17ROCPRIM_400000_NS6detail17trampoline_kernelINS0_14default_configENS1_32segmented_reduce_config_selectorIN3c108BFloat16EEEZNS1_21segmented_reduce_implIS3_PKS6_PS6_PKlS6_N6hipcub16HIPCUB_304000_NS6detail27convert_result_type_wrapperISA_SB_N2at6native12_GLOBAL__N_110CustomProdEEEEE10hipError_tPvRmT0_T1_jT2_SS_T4_T3_P12ihipStream_tbEUlT_E_NS1_11comp_targetILNS1_3genE3ELNS1_11target_archE908ELNS1_3gpuE7ELNS1_3repE0EEENS1_30default_config_static_selectorELNS0_4arch9wavefront6targetE1EEEvSR_,comdat
	.globl	_ZN7rocprim17ROCPRIM_400000_NS6detail17trampoline_kernelINS0_14default_configENS1_32segmented_reduce_config_selectorIN3c108BFloat16EEEZNS1_21segmented_reduce_implIS3_PKS6_PS6_PKlS6_N6hipcub16HIPCUB_304000_NS6detail27convert_result_type_wrapperISA_SB_N2at6native12_GLOBAL__N_110CustomProdEEEEE10hipError_tPvRmT0_T1_jT2_SS_T4_T3_P12ihipStream_tbEUlT_E_NS1_11comp_targetILNS1_3genE3ELNS1_11target_archE908ELNS1_3gpuE7ELNS1_3repE0EEENS1_30default_config_static_selectorELNS0_4arch9wavefront6targetE1EEEvSR_ ; -- Begin function _ZN7rocprim17ROCPRIM_400000_NS6detail17trampoline_kernelINS0_14default_configENS1_32segmented_reduce_config_selectorIN3c108BFloat16EEEZNS1_21segmented_reduce_implIS3_PKS6_PS6_PKlS6_N6hipcub16HIPCUB_304000_NS6detail27convert_result_type_wrapperISA_SB_N2at6native12_GLOBAL__N_110CustomProdEEEEE10hipError_tPvRmT0_T1_jT2_SS_T4_T3_P12ihipStream_tbEUlT_E_NS1_11comp_targetILNS1_3genE3ELNS1_11target_archE908ELNS1_3gpuE7ELNS1_3repE0EEENS1_30default_config_static_selectorELNS0_4arch9wavefront6targetE1EEEvSR_
	.p2align	8
	.type	_ZN7rocprim17ROCPRIM_400000_NS6detail17trampoline_kernelINS0_14default_configENS1_32segmented_reduce_config_selectorIN3c108BFloat16EEEZNS1_21segmented_reduce_implIS3_PKS6_PS6_PKlS6_N6hipcub16HIPCUB_304000_NS6detail27convert_result_type_wrapperISA_SB_N2at6native12_GLOBAL__N_110CustomProdEEEEE10hipError_tPvRmT0_T1_jT2_SS_T4_T3_P12ihipStream_tbEUlT_E_NS1_11comp_targetILNS1_3genE3ELNS1_11target_archE908ELNS1_3gpuE7ELNS1_3repE0EEENS1_30default_config_static_selectorELNS0_4arch9wavefront6targetE1EEEvSR_,@function
_ZN7rocprim17ROCPRIM_400000_NS6detail17trampoline_kernelINS0_14default_configENS1_32segmented_reduce_config_selectorIN3c108BFloat16EEEZNS1_21segmented_reduce_implIS3_PKS6_PS6_PKlS6_N6hipcub16HIPCUB_304000_NS6detail27convert_result_type_wrapperISA_SB_N2at6native12_GLOBAL__N_110CustomProdEEEEE10hipError_tPvRmT0_T1_jT2_SS_T4_T3_P12ihipStream_tbEUlT_E_NS1_11comp_targetILNS1_3genE3ELNS1_11target_archE908ELNS1_3gpuE7ELNS1_3repE0EEENS1_30default_config_static_selectorELNS0_4arch9wavefront6targetE1EEEvSR_: ; @_ZN7rocprim17ROCPRIM_400000_NS6detail17trampoline_kernelINS0_14default_configENS1_32segmented_reduce_config_selectorIN3c108BFloat16EEEZNS1_21segmented_reduce_implIS3_PKS6_PS6_PKlS6_N6hipcub16HIPCUB_304000_NS6detail27convert_result_type_wrapperISA_SB_N2at6native12_GLOBAL__N_110CustomProdEEEEE10hipError_tPvRmT0_T1_jT2_SS_T4_T3_P12ihipStream_tbEUlT_E_NS1_11comp_targetILNS1_3genE3ELNS1_11target_archE908ELNS1_3gpuE7ELNS1_3repE0EEENS1_30default_config_static_selectorELNS0_4arch9wavefront6targetE1EEEvSR_
; %bb.0:
	.section	.rodata,"a",@progbits
	.p2align	6, 0x0
	.amdhsa_kernel _ZN7rocprim17ROCPRIM_400000_NS6detail17trampoline_kernelINS0_14default_configENS1_32segmented_reduce_config_selectorIN3c108BFloat16EEEZNS1_21segmented_reduce_implIS3_PKS6_PS6_PKlS6_N6hipcub16HIPCUB_304000_NS6detail27convert_result_type_wrapperISA_SB_N2at6native12_GLOBAL__N_110CustomProdEEEEE10hipError_tPvRmT0_T1_jT2_SS_T4_T3_P12ihipStream_tbEUlT_E_NS1_11comp_targetILNS1_3genE3ELNS1_11target_archE908ELNS1_3gpuE7ELNS1_3repE0EEENS1_30default_config_static_selectorELNS0_4arch9wavefront6targetE1EEEvSR_
		.amdhsa_group_segment_fixed_size 0
		.amdhsa_private_segment_fixed_size 0
		.amdhsa_kernarg_size 48
		.amdhsa_user_sgpr_count 6
		.amdhsa_user_sgpr_private_segment_buffer 1
		.amdhsa_user_sgpr_dispatch_ptr 0
		.amdhsa_user_sgpr_queue_ptr 0
		.amdhsa_user_sgpr_kernarg_segment_ptr 1
		.amdhsa_user_sgpr_dispatch_id 0
		.amdhsa_user_sgpr_flat_scratch_init 0
		.amdhsa_user_sgpr_private_segment_size 0
		.amdhsa_uses_dynamic_stack 0
		.amdhsa_system_sgpr_private_segment_wavefront_offset 0
		.amdhsa_system_sgpr_workgroup_id_x 1
		.amdhsa_system_sgpr_workgroup_id_y 0
		.amdhsa_system_sgpr_workgroup_id_z 0
		.amdhsa_system_sgpr_workgroup_info 0
		.amdhsa_system_vgpr_workitem_id 0
		.amdhsa_next_free_vgpr 1
		.amdhsa_next_free_sgpr 0
		.amdhsa_reserve_vcc 0
		.amdhsa_reserve_flat_scratch 0
		.amdhsa_float_round_mode_32 0
		.amdhsa_float_round_mode_16_64 0
		.amdhsa_float_denorm_mode_32 3
		.amdhsa_float_denorm_mode_16_64 3
		.amdhsa_dx10_clamp 1
		.amdhsa_ieee_mode 1
		.amdhsa_fp16_overflow 0
		.amdhsa_exception_fp_ieee_invalid_op 0
		.amdhsa_exception_fp_denorm_src 0
		.amdhsa_exception_fp_ieee_div_zero 0
		.amdhsa_exception_fp_ieee_overflow 0
		.amdhsa_exception_fp_ieee_underflow 0
		.amdhsa_exception_fp_ieee_inexact 0
		.amdhsa_exception_int_div_zero 0
	.end_amdhsa_kernel
	.section	.text._ZN7rocprim17ROCPRIM_400000_NS6detail17trampoline_kernelINS0_14default_configENS1_32segmented_reduce_config_selectorIN3c108BFloat16EEEZNS1_21segmented_reduce_implIS3_PKS6_PS6_PKlS6_N6hipcub16HIPCUB_304000_NS6detail27convert_result_type_wrapperISA_SB_N2at6native12_GLOBAL__N_110CustomProdEEEEE10hipError_tPvRmT0_T1_jT2_SS_T4_T3_P12ihipStream_tbEUlT_E_NS1_11comp_targetILNS1_3genE3ELNS1_11target_archE908ELNS1_3gpuE7ELNS1_3repE0EEENS1_30default_config_static_selectorELNS0_4arch9wavefront6targetE1EEEvSR_,"axG",@progbits,_ZN7rocprim17ROCPRIM_400000_NS6detail17trampoline_kernelINS0_14default_configENS1_32segmented_reduce_config_selectorIN3c108BFloat16EEEZNS1_21segmented_reduce_implIS3_PKS6_PS6_PKlS6_N6hipcub16HIPCUB_304000_NS6detail27convert_result_type_wrapperISA_SB_N2at6native12_GLOBAL__N_110CustomProdEEEEE10hipError_tPvRmT0_T1_jT2_SS_T4_T3_P12ihipStream_tbEUlT_E_NS1_11comp_targetILNS1_3genE3ELNS1_11target_archE908ELNS1_3gpuE7ELNS1_3repE0EEENS1_30default_config_static_selectorELNS0_4arch9wavefront6targetE1EEEvSR_,comdat
.Lfunc_end276:
	.size	_ZN7rocprim17ROCPRIM_400000_NS6detail17trampoline_kernelINS0_14default_configENS1_32segmented_reduce_config_selectorIN3c108BFloat16EEEZNS1_21segmented_reduce_implIS3_PKS6_PS6_PKlS6_N6hipcub16HIPCUB_304000_NS6detail27convert_result_type_wrapperISA_SB_N2at6native12_GLOBAL__N_110CustomProdEEEEE10hipError_tPvRmT0_T1_jT2_SS_T4_T3_P12ihipStream_tbEUlT_E_NS1_11comp_targetILNS1_3genE3ELNS1_11target_archE908ELNS1_3gpuE7ELNS1_3repE0EEENS1_30default_config_static_selectorELNS0_4arch9wavefront6targetE1EEEvSR_, .Lfunc_end276-_ZN7rocprim17ROCPRIM_400000_NS6detail17trampoline_kernelINS0_14default_configENS1_32segmented_reduce_config_selectorIN3c108BFloat16EEEZNS1_21segmented_reduce_implIS3_PKS6_PS6_PKlS6_N6hipcub16HIPCUB_304000_NS6detail27convert_result_type_wrapperISA_SB_N2at6native12_GLOBAL__N_110CustomProdEEEEE10hipError_tPvRmT0_T1_jT2_SS_T4_T3_P12ihipStream_tbEUlT_E_NS1_11comp_targetILNS1_3genE3ELNS1_11target_archE908ELNS1_3gpuE7ELNS1_3repE0EEENS1_30default_config_static_selectorELNS0_4arch9wavefront6targetE1EEEvSR_
                                        ; -- End function
	.set _ZN7rocprim17ROCPRIM_400000_NS6detail17trampoline_kernelINS0_14default_configENS1_32segmented_reduce_config_selectorIN3c108BFloat16EEEZNS1_21segmented_reduce_implIS3_PKS6_PS6_PKlS6_N6hipcub16HIPCUB_304000_NS6detail27convert_result_type_wrapperISA_SB_N2at6native12_GLOBAL__N_110CustomProdEEEEE10hipError_tPvRmT0_T1_jT2_SS_T4_T3_P12ihipStream_tbEUlT_E_NS1_11comp_targetILNS1_3genE3ELNS1_11target_archE908ELNS1_3gpuE7ELNS1_3repE0EEENS1_30default_config_static_selectorELNS0_4arch9wavefront6targetE1EEEvSR_.num_vgpr, 0
	.set _ZN7rocprim17ROCPRIM_400000_NS6detail17trampoline_kernelINS0_14default_configENS1_32segmented_reduce_config_selectorIN3c108BFloat16EEEZNS1_21segmented_reduce_implIS3_PKS6_PS6_PKlS6_N6hipcub16HIPCUB_304000_NS6detail27convert_result_type_wrapperISA_SB_N2at6native12_GLOBAL__N_110CustomProdEEEEE10hipError_tPvRmT0_T1_jT2_SS_T4_T3_P12ihipStream_tbEUlT_E_NS1_11comp_targetILNS1_3genE3ELNS1_11target_archE908ELNS1_3gpuE7ELNS1_3repE0EEENS1_30default_config_static_selectorELNS0_4arch9wavefront6targetE1EEEvSR_.num_agpr, 0
	.set _ZN7rocprim17ROCPRIM_400000_NS6detail17trampoline_kernelINS0_14default_configENS1_32segmented_reduce_config_selectorIN3c108BFloat16EEEZNS1_21segmented_reduce_implIS3_PKS6_PS6_PKlS6_N6hipcub16HIPCUB_304000_NS6detail27convert_result_type_wrapperISA_SB_N2at6native12_GLOBAL__N_110CustomProdEEEEE10hipError_tPvRmT0_T1_jT2_SS_T4_T3_P12ihipStream_tbEUlT_E_NS1_11comp_targetILNS1_3genE3ELNS1_11target_archE908ELNS1_3gpuE7ELNS1_3repE0EEENS1_30default_config_static_selectorELNS0_4arch9wavefront6targetE1EEEvSR_.numbered_sgpr, 0
	.set _ZN7rocprim17ROCPRIM_400000_NS6detail17trampoline_kernelINS0_14default_configENS1_32segmented_reduce_config_selectorIN3c108BFloat16EEEZNS1_21segmented_reduce_implIS3_PKS6_PS6_PKlS6_N6hipcub16HIPCUB_304000_NS6detail27convert_result_type_wrapperISA_SB_N2at6native12_GLOBAL__N_110CustomProdEEEEE10hipError_tPvRmT0_T1_jT2_SS_T4_T3_P12ihipStream_tbEUlT_E_NS1_11comp_targetILNS1_3genE3ELNS1_11target_archE908ELNS1_3gpuE7ELNS1_3repE0EEENS1_30default_config_static_selectorELNS0_4arch9wavefront6targetE1EEEvSR_.num_named_barrier, 0
	.set _ZN7rocprim17ROCPRIM_400000_NS6detail17trampoline_kernelINS0_14default_configENS1_32segmented_reduce_config_selectorIN3c108BFloat16EEEZNS1_21segmented_reduce_implIS3_PKS6_PS6_PKlS6_N6hipcub16HIPCUB_304000_NS6detail27convert_result_type_wrapperISA_SB_N2at6native12_GLOBAL__N_110CustomProdEEEEE10hipError_tPvRmT0_T1_jT2_SS_T4_T3_P12ihipStream_tbEUlT_E_NS1_11comp_targetILNS1_3genE3ELNS1_11target_archE908ELNS1_3gpuE7ELNS1_3repE0EEENS1_30default_config_static_selectorELNS0_4arch9wavefront6targetE1EEEvSR_.private_seg_size, 0
	.set _ZN7rocprim17ROCPRIM_400000_NS6detail17trampoline_kernelINS0_14default_configENS1_32segmented_reduce_config_selectorIN3c108BFloat16EEEZNS1_21segmented_reduce_implIS3_PKS6_PS6_PKlS6_N6hipcub16HIPCUB_304000_NS6detail27convert_result_type_wrapperISA_SB_N2at6native12_GLOBAL__N_110CustomProdEEEEE10hipError_tPvRmT0_T1_jT2_SS_T4_T3_P12ihipStream_tbEUlT_E_NS1_11comp_targetILNS1_3genE3ELNS1_11target_archE908ELNS1_3gpuE7ELNS1_3repE0EEENS1_30default_config_static_selectorELNS0_4arch9wavefront6targetE1EEEvSR_.uses_vcc, 0
	.set _ZN7rocprim17ROCPRIM_400000_NS6detail17trampoline_kernelINS0_14default_configENS1_32segmented_reduce_config_selectorIN3c108BFloat16EEEZNS1_21segmented_reduce_implIS3_PKS6_PS6_PKlS6_N6hipcub16HIPCUB_304000_NS6detail27convert_result_type_wrapperISA_SB_N2at6native12_GLOBAL__N_110CustomProdEEEEE10hipError_tPvRmT0_T1_jT2_SS_T4_T3_P12ihipStream_tbEUlT_E_NS1_11comp_targetILNS1_3genE3ELNS1_11target_archE908ELNS1_3gpuE7ELNS1_3repE0EEENS1_30default_config_static_selectorELNS0_4arch9wavefront6targetE1EEEvSR_.uses_flat_scratch, 0
	.set _ZN7rocprim17ROCPRIM_400000_NS6detail17trampoline_kernelINS0_14default_configENS1_32segmented_reduce_config_selectorIN3c108BFloat16EEEZNS1_21segmented_reduce_implIS3_PKS6_PS6_PKlS6_N6hipcub16HIPCUB_304000_NS6detail27convert_result_type_wrapperISA_SB_N2at6native12_GLOBAL__N_110CustomProdEEEEE10hipError_tPvRmT0_T1_jT2_SS_T4_T3_P12ihipStream_tbEUlT_E_NS1_11comp_targetILNS1_3genE3ELNS1_11target_archE908ELNS1_3gpuE7ELNS1_3repE0EEENS1_30default_config_static_selectorELNS0_4arch9wavefront6targetE1EEEvSR_.has_dyn_sized_stack, 0
	.set _ZN7rocprim17ROCPRIM_400000_NS6detail17trampoline_kernelINS0_14default_configENS1_32segmented_reduce_config_selectorIN3c108BFloat16EEEZNS1_21segmented_reduce_implIS3_PKS6_PS6_PKlS6_N6hipcub16HIPCUB_304000_NS6detail27convert_result_type_wrapperISA_SB_N2at6native12_GLOBAL__N_110CustomProdEEEEE10hipError_tPvRmT0_T1_jT2_SS_T4_T3_P12ihipStream_tbEUlT_E_NS1_11comp_targetILNS1_3genE3ELNS1_11target_archE908ELNS1_3gpuE7ELNS1_3repE0EEENS1_30default_config_static_selectorELNS0_4arch9wavefront6targetE1EEEvSR_.has_recursion, 0
	.set _ZN7rocprim17ROCPRIM_400000_NS6detail17trampoline_kernelINS0_14default_configENS1_32segmented_reduce_config_selectorIN3c108BFloat16EEEZNS1_21segmented_reduce_implIS3_PKS6_PS6_PKlS6_N6hipcub16HIPCUB_304000_NS6detail27convert_result_type_wrapperISA_SB_N2at6native12_GLOBAL__N_110CustomProdEEEEE10hipError_tPvRmT0_T1_jT2_SS_T4_T3_P12ihipStream_tbEUlT_E_NS1_11comp_targetILNS1_3genE3ELNS1_11target_archE908ELNS1_3gpuE7ELNS1_3repE0EEENS1_30default_config_static_selectorELNS0_4arch9wavefront6targetE1EEEvSR_.has_indirect_call, 0
	.section	.AMDGPU.csdata,"",@progbits
; Kernel info:
; codeLenInByte = 0
; TotalNumSgprs: 4
; NumVgprs: 0
; ScratchSize: 0
; MemoryBound: 0
; FloatMode: 240
; IeeeMode: 1
; LDSByteSize: 0 bytes/workgroup (compile time only)
; SGPRBlocks: 0
; VGPRBlocks: 0
; NumSGPRsForWavesPerEU: 4
; NumVGPRsForWavesPerEU: 1
; Occupancy: 10
; WaveLimiterHint : 0
; COMPUTE_PGM_RSRC2:SCRATCH_EN: 0
; COMPUTE_PGM_RSRC2:USER_SGPR: 6
; COMPUTE_PGM_RSRC2:TRAP_HANDLER: 0
; COMPUTE_PGM_RSRC2:TGID_X_EN: 1
; COMPUTE_PGM_RSRC2:TGID_Y_EN: 0
; COMPUTE_PGM_RSRC2:TGID_Z_EN: 0
; COMPUTE_PGM_RSRC2:TIDIG_COMP_CNT: 0
	.section	.text._ZN7rocprim17ROCPRIM_400000_NS6detail17trampoline_kernelINS0_14default_configENS1_32segmented_reduce_config_selectorIN3c108BFloat16EEEZNS1_21segmented_reduce_implIS3_PKS6_PS6_PKlS6_N6hipcub16HIPCUB_304000_NS6detail27convert_result_type_wrapperISA_SB_N2at6native12_GLOBAL__N_110CustomProdEEEEE10hipError_tPvRmT0_T1_jT2_SS_T4_T3_P12ihipStream_tbEUlT_E_NS1_11comp_targetILNS1_3genE2ELNS1_11target_archE906ELNS1_3gpuE6ELNS1_3repE0EEENS1_30default_config_static_selectorELNS0_4arch9wavefront6targetE1EEEvSR_,"axG",@progbits,_ZN7rocprim17ROCPRIM_400000_NS6detail17trampoline_kernelINS0_14default_configENS1_32segmented_reduce_config_selectorIN3c108BFloat16EEEZNS1_21segmented_reduce_implIS3_PKS6_PS6_PKlS6_N6hipcub16HIPCUB_304000_NS6detail27convert_result_type_wrapperISA_SB_N2at6native12_GLOBAL__N_110CustomProdEEEEE10hipError_tPvRmT0_T1_jT2_SS_T4_T3_P12ihipStream_tbEUlT_E_NS1_11comp_targetILNS1_3genE2ELNS1_11target_archE906ELNS1_3gpuE6ELNS1_3repE0EEENS1_30default_config_static_selectorELNS0_4arch9wavefront6targetE1EEEvSR_,comdat
	.globl	_ZN7rocprim17ROCPRIM_400000_NS6detail17trampoline_kernelINS0_14default_configENS1_32segmented_reduce_config_selectorIN3c108BFloat16EEEZNS1_21segmented_reduce_implIS3_PKS6_PS6_PKlS6_N6hipcub16HIPCUB_304000_NS6detail27convert_result_type_wrapperISA_SB_N2at6native12_GLOBAL__N_110CustomProdEEEEE10hipError_tPvRmT0_T1_jT2_SS_T4_T3_P12ihipStream_tbEUlT_E_NS1_11comp_targetILNS1_3genE2ELNS1_11target_archE906ELNS1_3gpuE6ELNS1_3repE0EEENS1_30default_config_static_selectorELNS0_4arch9wavefront6targetE1EEEvSR_ ; -- Begin function _ZN7rocprim17ROCPRIM_400000_NS6detail17trampoline_kernelINS0_14default_configENS1_32segmented_reduce_config_selectorIN3c108BFloat16EEEZNS1_21segmented_reduce_implIS3_PKS6_PS6_PKlS6_N6hipcub16HIPCUB_304000_NS6detail27convert_result_type_wrapperISA_SB_N2at6native12_GLOBAL__N_110CustomProdEEEEE10hipError_tPvRmT0_T1_jT2_SS_T4_T3_P12ihipStream_tbEUlT_E_NS1_11comp_targetILNS1_3genE2ELNS1_11target_archE906ELNS1_3gpuE6ELNS1_3repE0EEENS1_30default_config_static_selectorELNS0_4arch9wavefront6targetE1EEEvSR_
	.p2align	8
	.type	_ZN7rocprim17ROCPRIM_400000_NS6detail17trampoline_kernelINS0_14default_configENS1_32segmented_reduce_config_selectorIN3c108BFloat16EEEZNS1_21segmented_reduce_implIS3_PKS6_PS6_PKlS6_N6hipcub16HIPCUB_304000_NS6detail27convert_result_type_wrapperISA_SB_N2at6native12_GLOBAL__N_110CustomProdEEEEE10hipError_tPvRmT0_T1_jT2_SS_T4_T3_P12ihipStream_tbEUlT_E_NS1_11comp_targetILNS1_3genE2ELNS1_11target_archE906ELNS1_3gpuE6ELNS1_3repE0EEENS1_30default_config_static_selectorELNS0_4arch9wavefront6targetE1EEEvSR_,@function
_ZN7rocprim17ROCPRIM_400000_NS6detail17trampoline_kernelINS0_14default_configENS1_32segmented_reduce_config_selectorIN3c108BFloat16EEEZNS1_21segmented_reduce_implIS3_PKS6_PS6_PKlS6_N6hipcub16HIPCUB_304000_NS6detail27convert_result_type_wrapperISA_SB_N2at6native12_GLOBAL__N_110CustomProdEEEEE10hipError_tPvRmT0_T1_jT2_SS_T4_T3_P12ihipStream_tbEUlT_E_NS1_11comp_targetILNS1_3genE2ELNS1_11target_archE906ELNS1_3gpuE6ELNS1_3repE0EEENS1_30default_config_static_selectorELNS0_4arch9wavefront6targetE1EEEvSR_: ; @_ZN7rocprim17ROCPRIM_400000_NS6detail17trampoline_kernelINS0_14default_configENS1_32segmented_reduce_config_selectorIN3c108BFloat16EEEZNS1_21segmented_reduce_implIS3_PKS6_PS6_PKlS6_N6hipcub16HIPCUB_304000_NS6detail27convert_result_type_wrapperISA_SB_N2at6native12_GLOBAL__N_110CustomProdEEEEE10hipError_tPvRmT0_T1_jT2_SS_T4_T3_P12ihipStream_tbEUlT_E_NS1_11comp_targetILNS1_3genE2ELNS1_11target_archE906ELNS1_3gpuE6ELNS1_3repE0EEENS1_30default_config_static_selectorELNS0_4arch9wavefront6targetE1EEEvSR_
; %bb.0:
	s_load_dword s2, s[4:5], 0x28
	s_load_dwordx8 s[36:43], s[4:5], 0x0
	s_load_dwordx2 s[0:1], s[4:5], 0x20
	s_mov_b32 s7, 0
	s_waitcnt lgkmcnt(0)
	s_lshr_b32 s33, s2, 16
	s_lshl_b64 s[2:3], s[40:41], 3
	s_add_u32 s4, s42, s2
	s_addc_u32 s5, s43, s3
	s_add_u32 s8, s0, s2
	s_addc_u32 s9, s1, s3
	s_lshl_b64 s[0:1], s[6:7], 3
	s_add_u32 s2, s4, s0
	s_addc_u32 s3, s5, s1
	s_load_dwordx2 s[44:45], s[2:3], 0x0
	s_add_u32 s0, s8, s0
	s_addc_u32 s1, s9, s1
	s_load_dwordx2 s[42:43], s[0:1], 0x0
	v_cmp_eq_u32_e64 s[0:1], 0, v0
	s_waitcnt lgkmcnt(0)
	v_mov_b32_e32 v1, s44
	v_mov_b32_e32 v2, s45
	v_cmp_gt_i64_e32 vcc, s[42:43], v[1:2]
	s_cbranch_vccnz .LBB277_3
; %bb.1:
	s_and_b64 s[34:35], s[0:1], exec
	s_cbranch_execz .LBB277_4
; %bb.2:
	v_mov_b32_e32 v1, s33
	s_and_saveexec_b64 s[0:1], s[34:35]
	s_cbranch_execnz .LBB277_115
	s_branch .LBB277_116
.LBB277_3:
	s_mov_b64 s[34:35], 0
.LBB277_4:
	s_add_u32 s2, s44, 0x1000
	v_mov_b32_e32 v1, s42
	s_addc_u32 s3, s45, 0
	v_mov_b32_e32 v2, s43
	v_cmp_le_i64_e32 vcc, s[2:3], v[1:2]
	s_cbranch_vccz .LBB277_61
; %bb.5:
	s_lshl_b64 s[4:5], s[44:45], 1
	s_add_u32 s0, s36, s4
	s_addc_u32 s1, s37, s5
	v_lshlrev_b32_e32 v17, 1, v0
	global_load_ushort v7, v17, s[0:1] offset:512
	global_load_ushort v6, v17, s[0:1] offset:1024
	;; [unrolled: 1-line block ×7, first 2 shown]
	global_load_ushort v9, v17, s[0:1]
	v_mov_b32_e32 v1, s1
	v_add_co_u32_e32 v2, vcc, s0, v17
	s_movk_i32 s8, 0x1000
	v_addc_co_u32_e32 v8, vcc, 0, v1, vcc
	v_add_co_u32_e32 v1, vcc, s8, v2
	v_addc_co_u32_e32 v2, vcc, 0, v8, vcc
	global_load_ushort v11, v[1:2], off
	global_load_ushort v10, v[1:2], off offset:512
	global_load_ushort v8, v[1:2], off offset:1024
	;; [unrolled: 1-line block ×5, first 2 shown]
	v_mov_b32_e32 v18, s42
	s_add_u32 s0, s44, 0x2000
	v_mov_b32_e32 v19, s43
	s_addc_u32 s1, s45, 0
	v_cmp_ge_i64_e32 vcc, s[0:1], v[18:19]
	global_load_ushort v19, v[1:2], off offset:3072
	global_load_ushort v18, v[1:2], off offset:3584
	s_movk_i32 s8, 0x7fff
	v_mov_b32_e32 v20, 0x7fc00000
	s_and_b64 s[0:1], exec, vcc
	v_mov_b32_e32 v22, 0x7fc0
	s_waitcnt vmcnt(15)
	v_lshlrev_b32_e32 v1, 16, v7
	s_waitcnt vmcnt(14)
	v_lshlrev_b32_e32 v21, 16, v6
	;; [unrolled: 2-line block ×4, first 2 shown]
	v_mul_f32_e32 v1, v2, v1
	v_bfe_u32 v2, v1, 16, 1
	v_add3_u32 v2, v1, v2, s8
	v_and_b32_e32 v2, 0xffff0000, v2
	v_cmp_o_f32_e32 vcc, v1, v1
	v_cndmask_b32_e32 v2, v20, v2, vcc
	v_mul_f32_e32 v2, v2, v21
	v_bfe_u32 v21, v2, 16, 1
	v_add3_u32 v21, v2, v21, s8
	v_and_b32_e32 v21, 0xffff0000, v21
	v_cmp_o_f32_e32 vcc, v2, v2
	v_cndmask_b32_e32 v21, v20, v21, vcc
	v_mul_f32_e32 v21, v21, v23
	v_bfe_u32 v23, v21, 16, 1
	v_add3_u32 v23, v21, v23, s8
	v_and_b32_e32 v23, 0xffff0000, v23
	v_cmp_o_f32_e32 vcc, v21, v21
	v_lshlrev_b32_e32 v1, 16, v4
	v_cndmask_b32_e32 v23, v20, v23, vcc
	v_mul_f32_e32 v1, v23, v1
	v_bfe_u32 v23, v1, 16, 1
	v_add3_u32 v23, v1, v23, s8
	v_and_b32_e32 v23, 0xffff0000, v23
	v_cmp_o_f32_e32 vcc, v1, v1
	v_lshlrev_b32_e32 v2, 16, v3
	;; [unrolled: 7-line block ×4, first 2 shown]
	v_cndmask_b32_e32 v23, v20, v23, vcc
	v_mul_f32_e32 v1, v23, v1
	v_bfe_u32 v23, v1, 16, 1
	v_add3_u32 v23, v1, v23, s8
	v_and_b32_e32 v23, 0xffff0000, v23
	v_cmp_o_f32_e32 vcc, v1, v1
	s_waitcnt vmcnt(7)
	v_lshlrev_b32_e32 v2, 16, v11
	v_cndmask_b32_e32 v23, v20, v23, vcc
	v_mul_f32_e32 v2, v23, v2
	v_bfe_u32 v23, v2, 16, 1
	v_add3_u32 v23, v2, v23, s8
	v_and_b32_e32 v23, 0xffff0000, v23
	v_cmp_o_f32_e32 vcc, v2, v2
	s_waitcnt vmcnt(6)
	v_lshlrev_b32_e32 v21, 16, v10
	;; [unrolled: 8-line block ×8, first 2 shown]
	v_cndmask_b32_e32 v1, v20, v2, vcc
	v_mul_f32_e32 v1, v1, v21
	v_bfe_u32 v2, v1, 16, 1
	v_cmp_o_f32_e32 vcc, v1, v1
	v_add3_u32 v1, v1, v2, s8
	v_cndmask_b32_sdwa v21, v22, v1, vcc dst_sel:DWORD dst_unused:UNUSED_PAD src0_sel:DWORD src1_sel:WORD_1
	s_mov_b64 vcc, s[0:1]
	s_cbranch_vccnz .LBB277_8
; %bb.6:
	s_add_u32 s0, s36, s4
	s_addc_u32 s1, s37, s5
	v_mov_b32_e32 v1, s1
	v_add_co_u32_e32 v2, vcc, s0, v17
	v_addc_co_u32_e32 v3, vcc, 0, v1, vcc
	v_add_co_u32_e32 v1, vcc, 0x2000, v2
	v_addc_co_u32_e32 v2, vcc, 0, v3, vcc
.LBB277_7:                              ; =>This Inner Loop Header: Depth=1
	global_load_ushort v9, v[1:2], off
	global_load_ushort v7, v[1:2], off offset:512
	global_load_ushort v6, v[1:2], off offset:1024
	;; [unrolled: 1-line block ×7, first 2 shown]
	v_add_co_u32_e32 v23, vcc, 0x1000, v1
	v_addc_co_u32_e32 v24, vcc, 0, v2, vcc
	global_load_ushort v11, v[23:24], off
	global_load_ushort v10, v[23:24], off offset:512
	global_load_ushort v8, v[23:24], off offset:1024
	;; [unrolled: 1-line block ×4, first 2 shown]
	s_mov_b64 s[0:1], s[2:3]
	s_add_u32 s2, s0, 0x1000
	s_addc_u32 s3, s1, 0
	v_mov_b32_e32 v18, s42
	s_add_u32 s0, s0, 0x2000
	v_mov_b32_e32 v19, s43
	s_addc_u32 s1, s1, 0
	v_cmp_lt_i64_e32 vcc, s[0:1], v[18:19]
	global_load_ushort v14, v[23:24], off offset:2560
	global_load_ushort v19, v[23:24], off offset:3072
	global_load_ushort v18, v[23:24], off offset:3584
	v_lshlrev_b32_e32 v21, 16, v21
	s_and_b64 s[0:1], exec, vcc
	s_waitcnt vmcnt(15)
	v_lshlrev_b32_e32 v23, 16, v9
	v_mul_f32_e32 v21, v21, v23
	v_bfe_u32 v23, v21, 16, 1
	v_add3_u32 v23, v21, v23, s8
	v_and_b32_e32 v23, 0xffff0000, v23
	v_cmp_o_f32_e32 vcc, v21, v21
	s_waitcnt vmcnt(14)
	v_lshlrev_b32_e32 v24, 16, v7
	v_cndmask_b32_e32 v23, v20, v23, vcc
	v_mul_f32_e32 v23, v23, v24
	v_bfe_u32 v24, v23, 16, 1
	v_add3_u32 v24, v23, v24, s8
	v_and_b32_e32 v24, 0xffff0000, v24
	v_cmp_o_f32_e32 vcc, v23, v23
	s_waitcnt vmcnt(13)
	v_lshlrev_b32_e32 v25, 16, v6
	v_cndmask_b32_e32 v24, v20, v24, vcc
	v_mul_f32_e32 v24, v24, v25
	v_bfe_u32 v25, v24, 16, 1
	v_add3_u32 v25, v24, v25, s8
	v_and_b32_e32 v25, 0xffff0000, v25
	v_cmp_o_f32_e32 vcc, v24, v24
	s_waitcnt vmcnt(12)
	v_lshlrev_b32_e32 v21, 16, v5
	v_cndmask_b32_e32 v25, v20, v25, vcc
	v_mul_f32_e32 v21, v25, v21
	v_bfe_u32 v25, v21, 16, 1
	v_add3_u32 v25, v21, v25, s8
	v_and_b32_e32 v25, 0xffff0000, v25
	v_cmp_o_f32_e32 vcc, v21, v21
	s_waitcnt vmcnt(11)
	v_lshlrev_b32_e32 v23, 16, v4
	v_cndmask_b32_e32 v25, v20, v25, vcc
	v_mul_f32_e32 v23, v25, v23
	v_bfe_u32 v25, v23, 16, 1
	v_add3_u32 v25, v23, v25, s8
	v_and_b32_e32 v25, 0xffff0000, v25
	v_cmp_o_f32_e32 vcc, v23, v23
	s_waitcnt vmcnt(10)
	v_lshlrev_b32_e32 v24, 16, v3
	v_cndmask_b32_e32 v25, v20, v25, vcc
	v_mul_f32_e32 v24, v25, v24
	v_bfe_u32 v25, v24, 16, 1
	v_add3_u32 v25, v24, v25, s8
	v_and_b32_e32 v25, 0xffff0000, v25
	v_cmp_o_f32_e32 vcc, v24, v24
	s_waitcnt vmcnt(9)
	v_lshlrev_b32_e32 v21, 16, v13
	v_cndmask_b32_e32 v25, v20, v25, vcc
	v_mul_f32_e32 v21, v25, v21
	v_bfe_u32 v25, v21, 16, 1
	v_add3_u32 v25, v21, v25, s8
	v_and_b32_e32 v25, 0xffff0000, v25
	v_cmp_o_f32_e32 vcc, v21, v21
	s_waitcnt vmcnt(8)
	v_lshlrev_b32_e32 v23, 16, v12
	v_cndmask_b32_e32 v25, v20, v25, vcc
	v_mul_f32_e32 v23, v25, v23
	v_bfe_u32 v25, v23, 16, 1
	v_add3_u32 v25, v23, v25, s8
	v_and_b32_e32 v25, 0xffff0000, v25
	v_cmp_o_f32_e32 vcc, v23, v23
	s_waitcnt vmcnt(7)
	v_lshlrev_b32_e32 v24, 16, v11
	v_cndmask_b32_e32 v25, v20, v25, vcc
	v_mul_f32_e32 v24, v25, v24
	v_bfe_u32 v25, v24, 16, 1
	v_add3_u32 v25, v24, v25, s8
	v_and_b32_e32 v25, 0xffff0000, v25
	v_cmp_o_f32_e32 vcc, v24, v24
	s_waitcnt vmcnt(6)
	v_lshlrev_b32_e32 v21, 16, v10
	v_cndmask_b32_e32 v25, v20, v25, vcc
	v_mul_f32_e32 v21, v25, v21
	v_bfe_u32 v25, v21, 16, 1
	v_add3_u32 v25, v21, v25, s8
	v_and_b32_e32 v25, 0xffff0000, v25
	v_cmp_o_f32_e32 vcc, v21, v21
	s_waitcnt vmcnt(5)
	v_lshlrev_b32_e32 v23, 16, v8
	v_cndmask_b32_e32 v25, v20, v25, vcc
	v_mul_f32_e32 v23, v25, v23
	v_bfe_u32 v25, v23, 16, 1
	v_add3_u32 v25, v23, v25, s8
	v_and_b32_e32 v25, 0xffff0000, v25
	v_cmp_o_f32_e32 vcc, v23, v23
	s_waitcnt vmcnt(4)
	v_lshlrev_b32_e32 v24, 16, v16
	v_cndmask_b32_e32 v25, v20, v25, vcc
	v_mul_f32_e32 v24, v25, v24
	v_bfe_u32 v25, v24, 16, 1
	v_add3_u32 v25, v24, v25, s8
	v_and_b32_e32 v25, 0xffff0000, v25
	v_cmp_o_f32_e32 vcc, v24, v24
	s_waitcnt vmcnt(3)
	v_lshlrev_b32_e32 v21, 16, v15
	v_cndmask_b32_e32 v25, v20, v25, vcc
	v_mul_f32_e32 v21, v25, v21
	v_bfe_u32 v25, v21, 16, 1
	v_add3_u32 v25, v21, v25, s8
	v_and_b32_e32 v25, 0xffff0000, v25
	v_cmp_o_f32_e32 vcc, v21, v21
	s_waitcnt vmcnt(2)
	v_lshlrev_b32_e32 v23, 16, v14
	v_cndmask_b32_e32 v25, v20, v25, vcc
	v_mul_f32_e32 v23, v25, v23
	v_bfe_u32 v25, v23, 16, 1
	v_add3_u32 v25, v23, v25, s8
	v_and_b32_e32 v25, 0xffff0000, v25
	v_cmp_o_f32_e32 vcc, v23, v23
	s_waitcnt vmcnt(1)
	v_lshlrev_b32_e32 v24, 16, v19
	v_cndmask_b32_e32 v23, v20, v25, vcc
	v_mul_f32_e32 v23, v23, v24
	v_bfe_u32 v24, v23, 16, 1
	v_add3_u32 v24, v23, v24, s8
	v_and_b32_e32 v24, 0xffff0000, v24
	v_cmp_o_f32_e32 vcc, v23, v23
	s_waitcnt vmcnt(0)
	v_lshlrev_b32_e32 v21, 16, v18
	v_cndmask_b32_e32 v23, v20, v24, vcc
	v_mul_f32_e32 v21, v23, v21
	v_bfe_u32 v23, v21, 16, 1
	v_cmp_o_f32_e32 vcc, v21, v21
	v_add3_u32 v21, v21, v23, s8
	v_cndmask_b32_sdwa v21, v22, v21, vcc dst_sel:DWORD dst_unused:UNUSED_PAD src0_sel:DWORD src1_sel:WORD_1
	v_add_co_u32_e32 v1, vcc, 0x2000, v1
	v_addc_co_u32_e32 v2, vcc, 0, v2, vcc
	s_mov_b64 vcc, s[0:1]
	s_cbranch_vccnz .LBB277_7
.LBB277_8:
	s_sub_i32 s48, s42, s2
	s_lshl_b64 s[0:1], s[2:3], 1
	s_add_u32 s46, s36, s0
	s_addc_u32 s47, s37, s1
	v_cmp_gt_u32_e32 vcc, s48, v0
	s_and_saveexec_b64 s[0:1], vcc
	s_cbranch_execz .LBB277_10
; %bb.9:
	global_load_ushort v9, v17, s[46:47]
.LBB277_10:
	s_or_b64 exec, exec, s[0:1]
	v_or_b32_e32 v1, 0x100, v0
	v_cmp_gt_u32_e64 s[30:31], s48, v1
	s_and_saveexec_b64 s[0:1], s[30:31]
	s_cbranch_execz .LBB277_12
; %bb.11:
	global_load_ushort v7, v17, s[46:47] offset:512
.LBB277_12:
	s_or_b64 exec, exec, s[0:1]
	v_or_b32_e32 v1, 0x200, v0
	v_cmp_gt_u32_e64 s[28:29], s48, v1
	s_and_saveexec_b64 s[0:1], s[28:29]
	s_cbranch_execz .LBB277_14
; %bb.13:
	global_load_ushort v6, v17, s[46:47] offset:1024
.LBB277_14:
	;; [unrolled: 8-line block ×7, first 2 shown]
	s_or_b64 exec, exec, s[0:1]
	v_or_b32_e32 v1, 0x800, v0
	v_cmp_gt_u32_e64 s[16:17], s48, v1
	s_and_saveexec_b64 s[0:1], s[16:17]
	s_cbranch_execz .LBB277_26
; %bb.25:
	v_lshlrev_b32_e32 v1, 1, v1
	global_load_ushort v11, v1, s[46:47]
.LBB277_26:
	s_or_b64 exec, exec, s[0:1]
	v_or_b32_e32 v1, 0x900, v0
	v_cmp_gt_u32_e64 s[14:15], s48, v1
	s_and_saveexec_b64 s[0:1], s[14:15]
	s_cbranch_execz .LBB277_28
; %bb.27:
	v_lshlrev_b32_e32 v1, 1, v1
	global_load_ushort v10, v1, s[46:47]
.LBB277_28:
	;; [unrolled: 9-line block ×7, first 2 shown]
	s_or_b64 exec, exec, s[0:1]
	v_or_b32_e32 v1, 0xf00, v0
	v_cmp_gt_u32_e64 s[0:1], s48, v1
	s_and_saveexec_b64 s[48:49], s[0:1]
	s_cbranch_execnz .LBB277_90
; %bb.39:
	s_or_b64 exec, exec, s[48:49]
	s_and_saveexec_b64 s[46:47], vcc
	s_cbranch_execnz .LBB277_91
.LBB277_40:
	s_or_b64 exec, exec, s[46:47]
	s_and_saveexec_b64 s[46:47], s[30:31]
	s_cbranch_execnz .LBB277_92
.LBB277_41:
	s_or_b64 exec, exec, s[46:47]
	s_and_saveexec_b64 s[30:31], s[28:29]
	s_cbranch_execnz .LBB277_93
.LBB277_42:
	s_or_b64 exec, exec, s[30:31]
	s_and_saveexec_b64 s[28:29], s[26:27]
	s_cbranch_execnz .LBB277_94
.LBB277_43:
	s_or_b64 exec, exec, s[28:29]
	s_and_saveexec_b64 s[26:27], s[24:25]
	s_cbranch_execnz .LBB277_95
.LBB277_44:
	s_or_b64 exec, exec, s[26:27]
	s_and_saveexec_b64 s[24:25], s[22:23]
	s_cbranch_execnz .LBB277_96
.LBB277_45:
	s_or_b64 exec, exec, s[24:25]
	s_and_saveexec_b64 s[22:23], s[20:21]
	s_cbranch_execnz .LBB277_97
.LBB277_46:
	s_or_b64 exec, exec, s[22:23]
	s_and_saveexec_b64 s[20:21], s[18:19]
	s_cbranch_execnz .LBB277_98
.LBB277_47:
	s_or_b64 exec, exec, s[20:21]
	s_and_saveexec_b64 s[18:19], s[16:17]
	s_cbranch_execnz .LBB277_99
.LBB277_48:
	s_or_b64 exec, exec, s[18:19]
	s_and_saveexec_b64 s[16:17], s[14:15]
	s_cbranch_execnz .LBB277_100
.LBB277_49:
	s_or_b64 exec, exec, s[16:17]
	s_and_saveexec_b64 s[14:15], s[12:13]
	s_cbranch_execnz .LBB277_101
.LBB277_50:
	s_or_b64 exec, exec, s[14:15]
	s_and_saveexec_b64 s[12:13], s[10:11]
	s_cbranch_execnz .LBB277_102
.LBB277_51:
	s_or_b64 exec, exec, s[12:13]
	s_and_saveexec_b64 s[10:11], s[8:9]
	s_cbranch_execnz .LBB277_103
.LBB277_52:
	s_or_b64 exec, exec, s[10:11]
	s_and_saveexec_b64 s[8:9], s[4:5]
	s_cbranch_execnz .LBB277_104
.LBB277_53:
	s_or_b64 exec, exec, s[8:9]
	s_and_saveexec_b64 s[4:5], s[2:3]
	s_cbranch_execnz .LBB277_105
.LBB277_54:
	s_or_b64 exec, exec, s[4:5]
	s_and_saveexec_b64 s[2:3], s[0:1]
	s_cbranch_execz .LBB277_56
.LBB277_55:
	v_lshlrev_b32_e32 v1, 16, v21
	s_waitcnt vmcnt(0)
	v_lshlrev_b32_e32 v2, 16, v18
	v_mul_f32_e32 v1, v2, v1
	v_bfe_u32 v2, v1, 16, 1
	s_movk_i32 s0, 0x7fff
	v_add3_u32 v2, v1, v2, s0
	v_cmp_o_f32_e32 vcc, v1, v1
	v_mov_b32_e32 v1, 0x7fc0
	v_cndmask_b32_sdwa v21, v1, v2, vcc dst_sel:DWORD dst_unused:UNUSED_PAD src0_sel:DWORD src1_sel:WORD_1
.LBB277_56:
	s_or_b64 exec, exec, s[2:3]
	v_and_b32_e32 v2, 0xffff, v21
	s_waitcnt vmcnt(0)
	v_lshlrev_b32_e32 v3, 16, v21
	s_movk_i32 s0, 0x7fff
	v_mov_b32_dpp v2, v2 quad_perm:[1,0,3,2] row_mask:0xf bank_mask:0xf bound_ctrl:1
	v_lshlrev_b32_e32 v2, 16, v2
	v_mul_f32_e32 v2, v3, v2
	v_bfe_u32 v3, v2, 16, 1
	v_add3_u32 v3, v2, v3, s0
	v_lshrrev_b32_e32 v3, 16, v3
	v_mov_b32_e32 v4, 0x7fc0
	v_cmp_o_f32_e32 vcc, v2, v2
	v_cndmask_b32_e32 v2, v4, v3, vcc
	v_mbcnt_lo_u32_b32 v1, -1, 0
	v_mbcnt_hi_u32_b32 v1, -1, v1
	v_mov_b32_dpp v3, v2 quad_perm:[2,3,0,1] row_mask:0xf bank_mask:0xf bound_ctrl:1
	v_lshlrev_b32_e32 v3, 16, v3
	v_lshlrev_b32_e32 v2, 16, v2
	v_mul_f32_e32 v2, v3, v2
	v_bfe_u32 v3, v2, 16, 1
	v_add3_u32 v3, v2, v3, s0
	v_lshrrev_b32_e32 v3, 16, v3
	v_cmp_o_f32_e32 vcc, v2, v2
	v_cndmask_b32_e32 v2, v4, v3, vcc
	s_nop 1
	v_mov_b32_dpp v3, v2 row_ror:4 row_mask:0xf bank_mask:0xf bound_ctrl:1
	v_lshlrev_b32_e32 v3, 16, v3
	v_lshlrev_b32_e32 v2, 16, v2
	v_mul_f32_e32 v2, v3, v2
	v_bfe_u32 v3, v2, 16, 1
	v_add3_u32 v3, v2, v3, s0
	v_lshrrev_b32_e32 v3, 16, v3
	v_cmp_o_f32_e32 vcc, v2, v2
	v_cndmask_b32_e32 v2, v4, v3, vcc
	s_nop 1
	v_mov_b32_dpp v3, v2 row_ror:8 row_mask:0xf bank_mask:0xf bound_ctrl:1
	v_lshlrev_b32_e32 v3, 16, v3
	v_lshlrev_b32_e32 v2, 16, v2
	v_mul_f32_e32 v2, v3, v2
	v_bfe_u32 v3, v2, 16, 1
	v_add3_u32 v3, v2, v3, s0
	v_lshrrev_b32_e32 v3, 16, v3
	v_cmp_o_f32_e32 vcc, v2, v2
	v_cndmask_b32_e32 v2, v4, v3, vcc
	s_nop 1
	v_mov_b32_dpp v3, v2 row_bcast:15 row_mask:0xf bank_mask:0xf bound_ctrl:1
	v_lshlrev_b32_e32 v3, 16, v3
	v_lshlrev_b32_e32 v2, 16, v2
	v_mul_f32_e32 v2, v3, v2
	v_bfe_u32 v3, v2, 16, 1
	v_add3_u32 v3, v2, v3, s0
	v_lshrrev_b32_e32 v3, 16, v3
	v_cmp_o_f32_e32 vcc, v2, v2
	v_cndmask_b32_e32 v2, v4, v3, vcc
	s_nop 1
	v_mov_b32_dpp v3, v2 row_bcast:31 row_mask:0xf bank_mask:0xf bound_ctrl:1
	v_lshlrev_b32_e32 v3, 16, v3
	v_lshlrev_b32_e32 v2, 16, v2
	v_mul_f32_e32 v2, v3, v2
	v_bfe_u32 v3, v2, 16, 1
	v_add3_u32 v5, v2, v3, s0
	v_lshlrev_b32_e32 v3, 2, v1
	v_cmp_o_f32_e32 vcc, v2, v2
	v_or_b32_e32 v6, 0xfc, v3
	v_cndmask_b32_sdwa v2, v4, v5, vcc dst_sel:DWORD dst_unused:UNUSED_PAD src0_sel:DWORD src1_sel:WORD_1
	ds_bpermute_b32 v2, v6, v2
	v_cmp_eq_u32_e32 vcc, 0, v1
	s_and_saveexec_b64 s[0:1], vcc
	s_xor_b64 s[0:1], exec, s[0:1]
	s_cbranch_execz .LBB277_58
; %bb.57:
	v_lshrrev_b32_e32 v4, 5, v0
	v_and_b32_e32 v4, 6, v4
	s_waitcnt lgkmcnt(0)
	ds_write_b16 v4, v2
.LBB277_58:
	s_or_b64 exec, exec, s[0:1]
	v_cmp_gt_u32_e32 vcc, 64, v0
	s_waitcnt lgkmcnt(0)
	s_barrier
	s_and_saveexec_b64 s[0:1], vcc
	s_cbranch_execz .LBB277_60
; %bb.59:
	v_and_b32_e32 v2, 3, v1
	v_lshlrev_b32_e32 v4, 1, v2
	ds_read_u16 v4, v4
	v_cmp_ne_u32_e32 vcc, 3, v2
	v_addc_co_u32_e32 v1, vcc, 0, v1, vcc
	v_lshlrev_b32_e32 v1, 2, v1
	s_waitcnt lgkmcnt(0)
	ds_bpermute_b32 v1, v1, v4
	v_lshlrev_b32_e32 v4, 16, v4
	s_movk_i32 s2, 0x7fff
	v_or_b32_e32 v2, 8, v3
	v_mov_b32_e32 v3, 0x7fc0
	s_waitcnt lgkmcnt(0)
	v_lshlrev_b32_e32 v1, 16, v1
	v_mul_f32_e32 v1, v4, v1
	v_bfe_u32 v4, v1, 16, 1
	v_add3_u32 v4, v1, v4, s2
	v_lshrrev_b32_e32 v4, 16, v4
	v_cmp_o_f32_e32 vcc, v1, v1
	v_cndmask_b32_e32 v1, v3, v4, vcc
	ds_bpermute_b32 v2, v2, v1
	v_lshlrev_b32_e32 v1, 16, v1
	s_waitcnt lgkmcnt(0)
	v_lshlrev_b32_e32 v2, 16, v2
	v_mul_f32_e32 v1, v2, v1
	v_bfe_u32 v2, v1, 16, 1
	v_cmp_o_f32_e32 vcc, v1, v1
	v_add3_u32 v1, v1, v2, s2
	v_cndmask_b32_sdwa v2, v3, v1, vcc dst_sel:DWORD dst_unused:UNUSED_PAD src0_sel:DWORD src1_sel:WORD_1
.LBB277_60:
	s_or_b64 exec, exec, s[0:1]
	s_branch .LBB277_112
.LBB277_61:
                                        ; implicit-def: $vgpr2
	s_cbranch_execz .LBB277_112
; %bb.62:
	s_sub_i32 s10, s42, s44
	v_cmp_gt_u32_e32 vcc, s10, v0
                                        ; implicit-def: $vgpr5
	s_and_saveexec_b64 s[2:3], vcc
	s_cbranch_execz .LBB277_68
; %bb.63:
	v_mov_b32_e32 v1, s45
	v_add_co_u32_e32 v6, vcc, s44, v0
	v_addc_co_u32_e32 v7, vcc, 0, v1, vcc
	v_lshlrev_b64 v[2:3], 1, v[6:7]
	v_mov_b32_e32 v1, s37
	v_add_co_u32_e64 v4, s[0:1], s36, v2
	v_addc_co_u32_e64 v5, vcc, v1, v3, s[0:1]
	global_load_ushort v5, v[4:5], off
	v_add_co_u32_e32 v1, vcc, 0x100, v6
	v_addc_co_u32_e32 v2, vcc, 0, v7, vcc
	v_cmp_gt_i64_e32 vcc, s[42:43], v[1:2]
	s_and_saveexec_b64 s[4:5], vcc
	s_cbranch_execz .LBB277_67
; %bb.64:
	v_mov_b32_e32 v6, s37
	v_addc_co_u32_e64 v6, vcc, v6, v3, s[0:1]
	v_add_co_u32_e32 v3, vcc, 0x200, v4
	v_addc_co_u32_e32 v4, vcc, 0, v6, vcc
	s_mov_b64 s[8:9], 0
	s_movk_i32 s11, 0x7fff
	v_mov_b32_e32 v6, 0x7fc0
.LBB277_65:                             ; =>This Inner Loop Header: Depth=1
	global_load_ushort v7, v[3:4], off
	s_waitcnt vmcnt(1)
	v_lshlrev_b32_e32 v5, 16, v5
	s_waitcnt vmcnt(0)
	v_lshlrev_b32_e32 v7, 16, v7
	v_mul_f32_e32 v5, v5, v7
	v_bfe_u32 v7, v5, 16, 1
	v_cmp_o_f32_e32 vcc, v5, v5
	v_add3_u32 v5, v5, v7, s11
	v_cndmask_b32_sdwa v5, v6, v5, vcc dst_sel:DWORD dst_unused:UNUSED_PAD src0_sel:DWORD src1_sel:WORD_1
	v_add_co_u32_e32 v1, vcc, 0x100, v1
	v_addc_co_u32_e32 v2, vcc, 0, v2, vcc
	v_cmp_le_i64_e64 s[0:1], s[42:43], v[1:2]
	v_add_co_u32_e32 v3, vcc, 0x200, v3
	s_or_b64 s[8:9], s[0:1], s[8:9]
	v_addc_co_u32_e32 v4, vcc, 0, v4, vcc
	s_andn2_b64 exec, exec, s[8:9]
	s_cbranch_execnz .LBB277_65
; %bb.66:
	s_or_b64 exec, exec, s[8:9]
.LBB277_67:
	s_or_b64 exec, exec, s[4:5]
.LBB277_68:
	s_or_b64 exec, exec, s[2:3]
	s_cmpk_lt_u32 s10, 0x100
	v_mbcnt_lo_u32_b32 v1, -1, 0
	s_cbranch_scc0 .LBB277_106
; %bb.69:
	v_mbcnt_hi_u32_b32 v3, -1, v1
	v_and_b32_e32 v4, 63, v3
	v_cmp_ne_u32_e32 vcc, 63, v4
	v_addc_co_u32_e32 v6, vcc, 0, v3, vcc
	v_lshlrev_b32_e32 v6, 2, v6
	s_waitcnt vmcnt(0)
	v_and_b32_e32 v7, 0xffff, v5
	ds_bpermute_b32 v8, v6, v7
	v_and_b32_e32 v2, 0xc0, v0
	v_sub_u32_e64 v6, s10, v2 clamp
	v_add_u32_e32 v2, 1, v4
	v_cmp_lt_u32_e32 vcc, v2, v6
	v_mov_b32_e32 v2, v5
	s_and_saveexec_b64 s[0:1], vcc
	s_cbranch_execz .LBB277_71
; %bb.70:
	v_lshlrev_b32_e32 v2, 16, v7
	s_waitcnt lgkmcnt(0)
	v_lshlrev_b32_e32 v7, 16, v8
	v_mul_f32_e32 v2, v2, v7
	v_bfe_u32 v7, v2, 16, 1
	s_movk_i32 s2, 0x7fff
	v_add3_u32 v7, v2, v7, s2
	v_cmp_o_f32_e32 vcc, v2, v2
	v_mov_b32_e32 v2, 0x7fc0
	v_cndmask_b32_sdwa v2, v2, v7, vcc dst_sel:DWORD dst_unused:UNUSED_PAD src0_sel:DWORD src1_sel:WORD_1
	v_and_b32_e32 v7, 0xffff, v2
.LBB277_71:
	s_or_b64 exec, exec, s[0:1]
	v_cmp_gt_u32_e32 vcc, 62, v4
	s_waitcnt lgkmcnt(0)
	v_cndmask_b32_e64 v8, 0, 2, vcc
	v_add_lshl_u32 v8, v8, v3, 2
	ds_bpermute_b32 v8, v8, v7
	v_add_u32_e32 v9, 2, v4
	v_cmp_lt_u32_e32 vcc, v9, v6
	s_and_saveexec_b64 s[0:1], vcc
	s_cbranch_execz .LBB277_73
; %bb.72:
	v_lshlrev_b32_e32 v2, 16, v7
	s_waitcnt lgkmcnt(0)
	v_lshlrev_b32_e32 v7, 16, v8
	v_mul_f32_e32 v2, v2, v7
	v_bfe_u32 v7, v2, 16, 1
	s_movk_i32 s2, 0x7fff
	v_add3_u32 v7, v2, v7, s2
	v_cmp_o_f32_e32 vcc, v2, v2
	v_mov_b32_e32 v2, 0x7fc0
	v_cndmask_b32_sdwa v2, v2, v7, vcc dst_sel:DWORD dst_unused:UNUSED_PAD src0_sel:DWORD src1_sel:WORD_1
	v_and_b32_e32 v7, 0xffff, v2
.LBB277_73:
	s_or_b64 exec, exec, s[0:1]
	v_cmp_gt_u32_e32 vcc, 60, v4
	s_waitcnt lgkmcnt(0)
	v_cndmask_b32_e64 v8, 0, 4, vcc
	v_add_lshl_u32 v8, v8, v3, 2
	ds_bpermute_b32 v8, v8, v7
	v_add_u32_e32 v9, 4, v4
	v_cmp_lt_u32_e32 vcc, v9, v6
	;; [unrolled: 23-line block ×4, first 2 shown]
	s_and_saveexec_b64 s[0:1], vcc
	s_cbranch_execz .LBB277_79
; %bb.78:
	v_lshlrev_b32_e32 v2, 16, v7
	s_waitcnt lgkmcnt(0)
	v_lshlrev_b32_e32 v7, 16, v8
	v_mul_f32_e32 v2, v2, v7
	v_bfe_u32 v7, v2, 16, 1
	s_movk_i32 s2, 0x7fff
	v_add3_u32 v7, v2, v7, s2
	v_cmp_o_f32_e32 vcc, v2, v2
	v_mov_b32_e32 v2, 0x7fc0
	v_cndmask_b32_sdwa v2, v2, v7, vcc dst_sel:DWORD dst_unused:UNUSED_PAD src0_sel:DWORD src1_sel:WORD_1
	v_and_b32_e32 v7, 0xffff, v2
.LBB277_79:
	s_or_b64 exec, exec, s[0:1]
	s_waitcnt lgkmcnt(0)
	v_lshlrev_b32_e32 v8, 2, v3
	v_or_b32_e32 v9, 0x80, v8
	ds_bpermute_b32 v9, v9, v7
	v_add_u32_e32 v4, 32, v4
	v_cmp_lt_u32_e32 vcc, v4, v6
	s_and_saveexec_b64 s[0:1], vcc
	s_cbranch_execz .LBB277_81
; %bb.80:
	v_lshlrev_b32_e32 v2, 16, v7
	s_waitcnt lgkmcnt(0)
	v_lshlrev_b32_e32 v4, 16, v9
	v_mul_f32_e32 v2, v2, v4
	v_bfe_u32 v4, v2, 16, 1
	s_movk_i32 s2, 0x7fff
	v_add3_u32 v4, v2, v4, s2
	v_cmp_o_f32_e32 vcc, v2, v2
	v_mov_b32_e32 v2, 0x7fc0
	v_cndmask_b32_sdwa v2, v2, v4, vcc dst_sel:DWORD dst_unused:UNUSED_PAD src0_sel:DWORD src1_sel:WORD_1
.LBB277_81:
	s_or_b64 exec, exec, s[0:1]
	v_cmp_eq_u32_e32 vcc, 0, v3
	s_and_saveexec_b64 s[0:1], vcc
; %bb.82:
	v_lshrrev_b32_e32 v4, 5, v0
	v_and_b32_e32 v4, 6, v4
	ds_write_b16 v4, v2
; %bb.83:
	s_or_b64 exec, exec, s[0:1]
	v_cmp_gt_u32_e32 vcc, 4, v0
	s_waitcnt lgkmcnt(0)
	s_barrier
	s_and_saveexec_b64 s[0:1], vcc
	s_cbranch_execz .LBB277_89
; %bb.84:
	v_lshlrev_b32_e32 v2, 1, v3
	ds_read_u16 v2, v2
	v_and_b32_e32 v4, 3, v3
	v_cmp_ne_u32_e32 vcc, 3, v4
	v_addc_co_u32_e32 v3, vcc, 0, v3, vcc
	v_lshlrev_b32_e32 v6, 2, v3
	s_waitcnt lgkmcnt(0)
	v_and_b32_e32 v3, 0xffff, v2
	ds_bpermute_b32 v6, v6, v3
	s_add_i32 s10, s10, 63
	s_lshr_b32 s4, s10, 6
	v_add_u32_e32 v7, 1, v4
	v_cmp_gt_u32_e32 vcc, s4, v7
	s_and_saveexec_b64 s[2:3], vcc
	s_cbranch_execz .LBB277_86
; %bb.85:
	v_lshlrev_b32_e32 v2, 16, v3
	s_waitcnt lgkmcnt(0)
	v_lshlrev_b32_e32 v3, 16, v6
	v_mul_f32_e32 v2, v2, v3
	v_bfe_u32 v3, v2, 16, 1
	s_movk_i32 s5, 0x7fff
	v_add3_u32 v3, v2, v3, s5
	v_cmp_o_f32_e32 vcc, v2, v2
	v_mov_b32_e32 v2, 0x7fc0
	v_cndmask_b32_sdwa v2, v2, v3, vcc dst_sel:DWORD dst_unused:UNUSED_PAD src0_sel:DWORD src1_sel:WORD_1
	v_and_b32_e32 v3, 0xffff, v2
.LBB277_86:
	s_or_b64 exec, exec, s[2:3]
	s_waitcnt lgkmcnt(0)
	v_or_b32_e32 v6, 8, v8
	ds_bpermute_b32 v6, v6, v3
	v_add_u32_e32 v4, 2, v4
	v_cmp_gt_u32_e32 vcc, s4, v4
	s_and_saveexec_b64 s[2:3], vcc
	s_cbranch_execz .LBB277_88
; %bb.87:
	v_lshlrev_b32_e32 v2, 16, v3
	s_waitcnt lgkmcnt(0)
	v_lshlrev_b32_e32 v3, 16, v6
	v_mul_f32_e32 v2, v2, v3
	v_bfe_u32 v3, v2, 16, 1
	s_movk_i32 s4, 0x7fff
	v_add3_u32 v3, v2, v3, s4
	v_cmp_o_f32_e32 vcc, v2, v2
	v_mov_b32_e32 v2, 0x7fc0
	v_cndmask_b32_sdwa v2, v2, v3, vcc dst_sel:DWORD dst_unused:UNUSED_PAD src0_sel:DWORD src1_sel:WORD_1
.LBB277_88:
	s_or_b64 exec, exec, s[2:3]
.LBB277_89:
	s_or_b64 exec, exec, s[0:1]
	s_branch .LBB277_112
.LBB277_90:
	v_lshlrev_b32_e32 v1, 1, v1
	global_load_ushort v18, v1, s[46:47]
	s_or_b64 exec, exec, s[48:49]
	s_and_saveexec_b64 s[46:47], vcc
	s_cbranch_execz .LBB277_40
.LBB277_91:
	v_lshlrev_b32_e32 v1, 16, v21
	s_waitcnt vmcnt(0)
	v_lshlrev_b32_e32 v2, 16, v9
	v_mul_f32_e32 v1, v1, v2
	v_bfe_u32 v2, v1, 16, 1
	s_movk_i32 s48, 0x7fff
	v_add3_u32 v2, v1, v2, s48
	v_cmp_o_f32_e32 vcc, v1, v1
	v_mov_b32_e32 v1, 0x7fc0
	v_cndmask_b32_sdwa v21, v1, v2, vcc dst_sel:DWORD dst_unused:UNUSED_PAD src0_sel:DWORD src1_sel:WORD_1
	s_or_b64 exec, exec, s[46:47]
	s_and_saveexec_b64 s[46:47], s[30:31]
	s_cbranch_execz .LBB277_41
.LBB277_92:
	v_lshlrev_b32_e32 v1, 16, v21
	s_waitcnt vmcnt(0)
	v_lshlrev_b32_e32 v2, 16, v7
	v_mul_f32_e32 v1, v2, v1
	v_bfe_u32 v2, v1, 16, 1
	s_movk_i32 s30, 0x7fff
	v_add3_u32 v2, v1, v2, s30
	v_cmp_o_f32_e32 vcc, v1, v1
	v_mov_b32_e32 v1, 0x7fc0
	v_cndmask_b32_sdwa v21, v1, v2, vcc dst_sel:DWORD dst_unused:UNUSED_PAD src0_sel:DWORD src1_sel:WORD_1
	s_or_b64 exec, exec, s[46:47]
	s_and_saveexec_b64 s[30:31], s[28:29]
	s_cbranch_execz .LBB277_42
.LBB277_93:
	v_lshlrev_b32_e32 v1, 16, v21
	s_waitcnt vmcnt(0)
	v_lshlrev_b32_e32 v2, 16, v6
	v_mul_f32_e32 v1, v2, v1
	v_bfe_u32 v2, v1, 16, 1
	s_movk_i32 s28, 0x7fff
	v_add3_u32 v2, v1, v2, s28
	v_cmp_o_f32_e32 vcc, v1, v1
	v_mov_b32_e32 v1, 0x7fc0
	v_cndmask_b32_sdwa v21, v1, v2, vcc dst_sel:DWORD dst_unused:UNUSED_PAD src0_sel:DWORD src1_sel:WORD_1
	s_or_b64 exec, exec, s[30:31]
	s_and_saveexec_b64 s[28:29], s[26:27]
	s_cbranch_execz .LBB277_43
.LBB277_94:
	v_lshlrev_b32_e32 v1, 16, v21
	s_waitcnt vmcnt(0)
	v_lshlrev_b32_e32 v2, 16, v5
	v_mul_f32_e32 v1, v2, v1
	v_bfe_u32 v2, v1, 16, 1
	s_movk_i32 s26, 0x7fff
	v_add3_u32 v2, v1, v2, s26
	v_cmp_o_f32_e32 vcc, v1, v1
	v_mov_b32_e32 v1, 0x7fc0
	v_cndmask_b32_sdwa v21, v1, v2, vcc dst_sel:DWORD dst_unused:UNUSED_PAD src0_sel:DWORD src1_sel:WORD_1
	s_or_b64 exec, exec, s[28:29]
	s_and_saveexec_b64 s[26:27], s[24:25]
	s_cbranch_execz .LBB277_44
.LBB277_95:
	v_lshlrev_b32_e32 v1, 16, v21
	s_waitcnt vmcnt(0)
	v_lshlrev_b32_e32 v2, 16, v4
	v_mul_f32_e32 v1, v2, v1
	v_bfe_u32 v2, v1, 16, 1
	s_movk_i32 s24, 0x7fff
	v_add3_u32 v2, v1, v2, s24
	v_cmp_o_f32_e32 vcc, v1, v1
	v_mov_b32_e32 v1, 0x7fc0
	v_cndmask_b32_sdwa v21, v1, v2, vcc dst_sel:DWORD dst_unused:UNUSED_PAD src0_sel:DWORD src1_sel:WORD_1
	s_or_b64 exec, exec, s[26:27]
	s_and_saveexec_b64 s[24:25], s[22:23]
	s_cbranch_execz .LBB277_45
.LBB277_96:
	v_lshlrev_b32_e32 v1, 16, v21
	s_waitcnt vmcnt(0)
	v_lshlrev_b32_e32 v2, 16, v3
	v_mul_f32_e32 v1, v2, v1
	v_bfe_u32 v2, v1, 16, 1
	s_movk_i32 s22, 0x7fff
	v_add3_u32 v2, v1, v2, s22
	v_cmp_o_f32_e32 vcc, v1, v1
	v_mov_b32_e32 v1, 0x7fc0
	v_cndmask_b32_sdwa v21, v1, v2, vcc dst_sel:DWORD dst_unused:UNUSED_PAD src0_sel:DWORD src1_sel:WORD_1
	s_or_b64 exec, exec, s[24:25]
	s_and_saveexec_b64 s[22:23], s[20:21]
	s_cbranch_execz .LBB277_46
.LBB277_97:
	v_lshlrev_b32_e32 v1, 16, v21
	s_waitcnt vmcnt(0)
	v_lshlrev_b32_e32 v2, 16, v13
	v_mul_f32_e32 v1, v2, v1
	v_bfe_u32 v2, v1, 16, 1
	s_movk_i32 s20, 0x7fff
	v_add3_u32 v2, v1, v2, s20
	v_cmp_o_f32_e32 vcc, v1, v1
	v_mov_b32_e32 v1, 0x7fc0
	v_cndmask_b32_sdwa v21, v1, v2, vcc dst_sel:DWORD dst_unused:UNUSED_PAD src0_sel:DWORD src1_sel:WORD_1
	s_or_b64 exec, exec, s[22:23]
	s_and_saveexec_b64 s[20:21], s[18:19]
	s_cbranch_execz .LBB277_47
.LBB277_98:
	v_lshlrev_b32_e32 v1, 16, v21
	s_waitcnt vmcnt(0)
	v_lshlrev_b32_e32 v2, 16, v12
	v_mul_f32_e32 v1, v2, v1
	v_bfe_u32 v2, v1, 16, 1
	s_movk_i32 s18, 0x7fff
	v_add3_u32 v2, v1, v2, s18
	v_cmp_o_f32_e32 vcc, v1, v1
	v_mov_b32_e32 v1, 0x7fc0
	v_cndmask_b32_sdwa v21, v1, v2, vcc dst_sel:DWORD dst_unused:UNUSED_PAD src0_sel:DWORD src1_sel:WORD_1
	s_or_b64 exec, exec, s[20:21]
	s_and_saveexec_b64 s[18:19], s[16:17]
	s_cbranch_execz .LBB277_48
.LBB277_99:
	v_lshlrev_b32_e32 v1, 16, v21
	s_waitcnt vmcnt(0)
	v_lshlrev_b32_e32 v2, 16, v11
	v_mul_f32_e32 v1, v2, v1
	v_bfe_u32 v2, v1, 16, 1
	s_movk_i32 s16, 0x7fff
	v_add3_u32 v2, v1, v2, s16
	v_cmp_o_f32_e32 vcc, v1, v1
	v_mov_b32_e32 v1, 0x7fc0
	v_cndmask_b32_sdwa v21, v1, v2, vcc dst_sel:DWORD dst_unused:UNUSED_PAD src0_sel:DWORD src1_sel:WORD_1
	s_or_b64 exec, exec, s[18:19]
	s_and_saveexec_b64 s[16:17], s[14:15]
	s_cbranch_execz .LBB277_49
.LBB277_100:
	v_lshlrev_b32_e32 v1, 16, v21
	s_waitcnt vmcnt(0)
	v_lshlrev_b32_e32 v2, 16, v10
	v_mul_f32_e32 v1, v2, v1
	v_bfe_u32 v2, v1, 16, 1
	s_movk_i32 s14, 0x7fff
	v_add3_u32 v2, v1, v2, s14
	v_cmp_o_f32_e32 vcc, v1, v1
	v_mov_b32_e32 v1, 0x7fc0
	v_cndmask_b32_sdwa v21, v1, v2, vcc dst_sel:DWORD dst_unused:UNUSED_PAD src0_sel:DWORD src1_sel:WORD_1
	s_or_b64 exec, exec, s[16:17]
	s_and_saveexec_b64 s[14:15], s[12:13]
	s_cbranch_execz .LBB277_50
.LBB277_101:
	v_lshlrev_b32_e32 v1, 16, v21
	s_waitcnt vmcnt(0)
	v_lshlrev_b32_e32 v2, 16, v8
	v_mul_f32_e32 v1, v2, v1
	v_bfe_u32 v2, v1, 16, 1
	s_movk_i32 s12, 0x7fff
	v_add3_u32 v2, v1, v2, s12
	v_cmp_o_f32_e32 vcc, v1, v1
	v_mov_b32_e32 v1, 0x7fc0
	v_cndmask_b32_sdwa v21, v1, v2, vcc dst_sel:DWORD dst_unused:UNUSED_PAD src0_sel:DWORD src1_sel:WORD_1
	s_or_b64 exec, exec, s[14:15]
	s_and_saveexec_b64 s[12:13], s[10:11]
	s_cbranch_execz .LBB277_51
.LBB277_102:
	v_lshlrev_b32_e32 v1, 16, v21
	s_waitcnt vmcnt(0)
	v_lshlrev_b32_e32 v2, 16, v16
	v_mul_f32_e32 v1, v2, v1
	v_bfe_u32 v2, v1, 16, 1
	s_movk_i32 s10, 0x7fff
	v_add3_u32 v2, v1, v2, s10
	v_cmp_o_f32_e32 vcc, v1, v1
	v_mov_b32_e32 v1, 0x7fc0
	v_cndmask_b32_sdwa v21, v1, v2, vcc dst_sel:DWORD dst_unused:UNUSED_PAD src0_sel:DWORD src1_sel:WORD_1
	s_or_b64 exec, exec, s[12:13]
	s_and_saveexec_b64 s[10:11], s[8:9]
	s_cbranch_execz .LBB277_52
.LBB277_103:
	v_lshlrev_b32_e32 v1, 16, v21
	s_waitcnt vmcnt(0)
	v_lshlrev_b32_e32 v2, 16, v15
	v_mul_f32_e32 v1, v2, v1
	v_bfe_u32 v2, v1, 16, 1
	s_movk_i32 s8, 0x7fff
	v_add3_u32 v2, v1, v2, s8
	v_cmp_o_f32_e32 vcc, v1, v1
	v_mov_b32_e32 v1, 0x7fc0
	v_cndmask_b32_sdwa v21, v1, v2, vcc dst_sel:DWORD dst_unused:UNUSED_PAD src0_sel:DWORD src1_sel:WORD_1
	s_or_b64 exec, exec, s[10:11]
	s_and_saveexec_b64 s[8:9], s[4:5]
	s_cbranch_execz .LBB277_53
.LBB277_104:
	v_lshlrev_b32_e32 v1, 16, v21
	s_waitcnt vmcnt(0)
	v_lshlrev_b32_e32 v2, 16, v14
	v_mul_f32_e32 v1, v2, v1
	v_bfe_u32 v2, v1, 16, 1
	s_movk_i32 s4, 0x7fff
	v_add3_u32 v2, v1, v2, s4
	v_cmp_o_f32_e32 vcc, v1, v1
	v_mov_b32_e32 v1, 0x7fc0
	v_cndmask_b32_sdwa v21, v1, v2, vcc dst_sel:DWORD dst_unused:UNUSED_PAD src0_sel:DWORD src1_sel:WORD_1
	s_or_b64 exec, exec, s[8:9]
	s_and_saveexec_b64 s[4:5], s[2:3]
	s_cbranch_execz .LBB277_54
.LBB277_105:
	v_lshlrev_b32_e32 v1, 16, v21
	s_waitcnt vmcnt(0)
	v_lshlrev_b32_e32 v2, 16, v19
	v_mul_f32_e32 v1, v2, v1
	v_bfe_u32 v2, v1, 16, 1
	s_movk_i32 s2, 0x7fff
	v_add3_u32 v2, v1, v2, s2
	v_cmp_o_f32_e32 vcc, v1, v1
	v_mov_b32_e32 v1, 0x7fc0
	v_cndmask_b32_sdwa v21, v1, v2, vcc dst_sel:DWORD dst_unused:UNUSED_PAD src0_sel:DWORD src1_sel:WORD_1
	s_or_b64 exec, exec, s[4:5]
	s_and_saveexec_b64 s[2:3], s[0:1]
	s_cbranch_execnz .LBB277_55
	s_branch .LBB277_56
.LBB277_106:
                                        ; implicit-def: $vgpr2
	s_cbranch_execz .LBB277_112
; %bb.107:
	s_waitcnt vmcnt(0)
	v_and_b32_e32 v2, 0xffff, v5
	v_lshlrev_b32_e32 v3, 16, v5
	s_movk_i32 s0, 0x7fff
	v_mov_b32_dpp v2, v2 quad_perm:[1,0,3,2] row_mask:0xf bank_mask:0xf bound_ctrl:1
	v_lshlrev_b32_e32 v2, 16, v2
	v_mul_f32_e32 v2, v3, v2
	v_bfe_u32 v3, v2, 16, 1
	v_add3_u32 v3, v2, v3, s0
	v_lshrrev_b32_e32 v3, 16, v3
	v_mov_b32_e32 v4, 0x7fc0
	v_cmp_o_f32_e32 vcc, v2, v2
	v_cndmask_b32_e32 v2, v4, v3, vcc
	v_mbcnt_hi_u32_b32 v1, -1, v1
	s_nop 0
	v_mov_b32_dpp v3, v2 quad_perm:[2,3,0,1] row_mask:0xf bank_mask:0xf bound_ctrl:1
	v_lshlrev_b32_e32 v3, 16, v3
	v_lshlrev_b32_e32 v2, 16, v2
	v_mul_f32_e32 v2, v3, v2
	v_bfe_u32 v3, v2, 16, 1
	v_add3_u32 v3, v2, v3, s0
	v_lshrrev_b32_e32 v3, 16, v3
	v_cmp_o_f32_e32 vcc, v2, v2
	v_cndmask_b32_e32 v2, v4, v3, vcc
	s_nop 1
	v_mov_b32_dpp v3, v2 row_ror:4 row_mask:0xf bank_mask:0xf bound_ctrl:1
	v_lshlrev_b32_e32 v3, 16, v3
	v_lshlrev_b32_e32 v2, 16, v2
	v_mul_f32_e32 v2, v3, v2
	v_bfe_u32 v3, v2, 16, 1
	v_add3_u32 v3, v2, v3, s0
	v_lshrrev_b32_e32 v3, 16, v3
	v_cmp_o_f32_e32 vcc, v2, v2
	v_cndmask_b32_e32 v2, v4, v3, vcc
	s_nop 1
	v_mov_b32_dpp v3, v2 row_ror:8 row_mask:0xf bank_mask:0xf bound_ctrl:1
	v_lshlrev_b32_e32 v3, 16, v3
	v_lshlrev_b32_e32 v2, 16, v2
	v_mul_f32_e32 v2, v3, v2
	v_bfe_u32 v3, v2, 16, 1
	v_add3_u32 v3, v2, v3, s0
	v_lshrrev_b32_e32 v3, 16, v3
	v_cmp_o_f32_e32 vcc, v2, v2
	v_cndmask_b32_e32 v2, v4, v3, vcc
	s_nop 1
	v_mov_b32_dpp v3, v2 row_bcast:15 row_mask:0xf bank_mask:0xf bound_ctrl:1
	v_lshlrev_b32_e32 v3, 16, v3
	v_lshlrev_b32_e32 v2, 16, v2
	v_mul_f32_e32 v2, v3, v2
	v_bfe_u32 v3, v2, 16, 1
	v_add3_u32 v3, v2, v3, s0
	v_lshrrev_b32_e32 v3, 16, v3
	v_cmp_o_f32_e32 vcc, v2, v2
	v_cndmask_b32_e32 v2, v4, v3, vcc
	s_nop 1
	v_mov_b32_dpp v3, v2 row_bcast:31 row_mask:0xf bank_mask:0xf bound_ctrl:1
	v_lshlrev_b32_e32 v3, 16, v3
	v_lshlrev_b32_e32 v2, 16, v2
	v_mul_f32_e32 v2, v3, v2
	v_bfe_u32 v3, v2, 16, 1
	v_add3_u32 v5, v2, v3, s0
	v_lshlrev_b32_e32 v3, 2, v1
	v_cmp_o_f32_e32 vcc, v2, v2
	s_waitcnt lgkmcnt(0)
	v_or_b32_e32 v6, 0xfc, v3
	v_cndmask_b32_sdwa v2, v4, v5, vcc dst_sel:DWORD dst_unused:UNUSED_PAD src0_sel:DWORD src1_sel:WORD_1
	ds_bpermute_b32 v2, v6, v2
	v_cmp_eq_u32_e32 vcc, 0, v1
	s_and_saveexec_b64 s[0:1], vcc
	s_cbranch_execz .LBB277_109
; %bb.108:
	v_lshrrev_b32_e32 v4, 5, v0
	v_and_b32_e32 v4, 6, v4
	s_waitcnt lgkmcnt(0)
	ds_write_b16 v4, v2
.LBB277_109:
	s_or_b64 exec, exec, s[0:1]
	v_cmp_gt_u32_e32 vcc, 64, v0
	s_waitcnt lgkmcnt(0)
	s_barrier
	s_and_saveexec_b64 s[0:1], vcc
	s_cbranch_execz .LBB277_111
; %bb.110:
	v_and_b32_e32 v2, 3, v1
	v_lshlrev_b32_e32 v4, 1, v2
	ds_read_u16 v4, v4
	v_cmp_ne_u32_e32 vcc, 3, v2
	v_addc_co_u32_e32 v1, vcc, 0, v1, vcc
	v_lshlrev_b32_e32 v1, 2, v1
	s_waitcnt lgkmcnt(0)
	ds_bpermute_b32 v1, v1, v4
	v_lshlrev_b32_e32 v4, 16, v4
	s_movk_i32 s2, 0x7fff
	v_or_b32_e32 v2, 8, v3
	v_mov_b32_e32 v3, 0x7fc0
	s_waitcnt lgkmcnt(0)
	v_lshlrev_b32_e32 v1, 16, v1
	v_mul_f32_e32 v1, v4, v1
	v_bfe_u32 v4, v1, 16, 1
	v_add3_u32 v4, v1, v4, s2
	v_lshrrev_b32_e32 v4, 16, v4
	v_cmp_o_f32_e32 vcc, v1, v1
	v_cndmask_b32_e32 v1, v3, v4, vcc
	ds_bpermute_b32 v2, v2, v1
	v_lshlrev_b32_e32 v1, 16, v1
	s_waitcnt lgkmcnt(0)
	v_lshlrev_b32_e32 v2, 16, v2
	v_mul_f32_e32 v1, v2, v1
	v_bfe_u32 v2, v1, 16, 1
	v_cmp_o_f32_e32 vcc, v1, v1
	v_add3_u32 v1, v1, v2, s2
	v_cndmask_b32_sdwa v2, v3, v1, vcc dst_sel:DWORD dst_unused:UNUSED_PAD src0_sel:DWORD src1_sel:WORD_1
.LBB277_111:
	s_or_b64 exec, exec, s[0:1]
.LBB277_112:
	v_cmp_eq_u32_e32 vcc, 0, v0
                                        ; implicit-def: $vgpr1
	s_and_saveexec_b64 s[0:1], vcc
	s_cbranch_execz .LBB277_114
; %bb.113:
	s_lshl_b32 s2, s33, 16
	v_lshlrev_b32_e32 v0, 16, v2
	v_mul_f32_e32 v0, s2, v0
	v_bfe_u32 v1, v0, 16, 1
	s_movk_i32 s2, 0x7fff
	v_add3_u32 v1, v0, v1, s2
	v_cmp_o_f32_e32 vcc, v0, v0
	v_mov_b32_e32 v0, 0x7fc0
	v_cndmask_b32_sdwa v1, v0, v1, vcc dst_sel:DWORD dst_unused:UNUSED_PAD src0_sel:DWORD src1_sel:WORD_1
	s_or_b64 s[34:35], s[34:35], exec
.LBB277_114:
	s_or_b64 exec, exec, s[0:1]
	s_and_saveexec_b64 s[0:1], s[34:35]
	s_cbranch_execz .LBB277_116
.LBB277_115:
	s_lshl_b64 s[0:1], s[40:41], 1
	s_add_u32 s2, s38, s0
	s_addc_u32 s3, s39, s1
	s_lshl_b64 s[0:1], s[6:7], 1
	s_add_u32 s0, s2, s0
	s_addc_u32 s1, s3, s1
	v_mov_b32_e32 v0, 0
	global_store_short v0, v1, s[0:1]
.LBB277_116:
	s_endpgm
	.section	.rodata,"a",@progbits
	.p2align	6, 0x0
	.amdhsa_kernel _ZN7rocprim17ROCPRIM_400000_NS6detail17trampoline_kernelINS0_14default_configENS1_32segmented_reduce_config_selectorIN3c108BFloat16EEEZNS1_21segmented_reduce_implIS3_PKS6_PS6_PKlS6_N6hipcub16HIPCUB_304000_NS6detail27convert_result_type_wrapperISA_SB_N2at6native12_GLOBAL__N_110CustomProdEEEEE10hipError_tPvRmT0_T1_jT2_SS_T4_T3_P12ihipStream_tbEUlT_E_NS1_11comp_targetILNS1_3genE2ELNS1_11target_archE906ELNS1_3gpuE6ELNS1_3repE0EEENS1_30default_config_static_selectorELNS0_4arch9wavefront6targetE1EEEvSR_
		.amdhsa_group_segment_fixed_size 8
		.amdhsa_private_segment_fixed_size 0
		.amdhsa_kernarg_size 48
		.amdhsa_user_sgpr_count 6
		.amdhsa_user_sgpr_private_segment_buffer 1
		.amdhsa_user_sgpr_dispatch_ptr 0
		.amdhsa_user_sgpr_queue_ptr 0
		.amdhsa_user_sgpr_kernarg_segment_ptr 1
		.amdhsa_user_sgpr_dispatch_id 0
		.amdhsa_user_sgpr_flat_scratch_init 0
		.amdhsa_user_sgpr_private_segment_size 0
		.amdhsa_uses_dynamic_stack 0
		.amdhsa_system_sgpr_private_segment_wavefront_offset 0
		.amdhsa_system_sgpr_workgroup_id_x 1
		.amdhsa_system_sgpr_workgroup_id_y 0
		.amdhsa_system_sgpr_workgroup_id_z 0
		.amdhsa_system_sgpr_workgroup_info 0
		.amdhsa_system_vgpr_workitem_id 0
		.amdhsa_next_free_vgpr 26
		.amdhsa_next_free_sgpr 50
		.amdhsa_reserve_vcc 1
		.amdhsa_reserve_flat_scratch 0
		.amdhsa_float_round_mode_32 0
		.amdhsa_float_round_mode_16_64 0
		.amdhsa_float_denorm_mode_32 3
		.amdhsa_float_denorm_mode_16_64 3
		.amdhsa_dx10_clamp 1
		.amdhsa_ieee_mode 1
		.amdhsa_fp16_overflow 0
		.amdhsa_exception_fp_ieee_invalid_op 0
		.amdhsa_exception_fp_denorm_src 0
		.amdhsa_exception_fp_ieee_div_zero 0
		.amdhsa_exception_fp_ieee_overflow 0
		.amdhsa_exception_fp_ieee_underflow 0
		.amdhsa_exception_fp_ieee_inexact 0
		.amdhsa_exception_int_div_zero 0
	.end_amdhsa_kernel
	.section	.text._ZN7rocprim17ROCPRIM_400000_NS6detail17trampoline_kernelINS0_14default_configENS1_32segmented_reduce_config_selectorIN3c108BFloat16EEEZNS1_21segmented_reduce_implIS3_PKS6_PS6_PKlS6_N6hipcub16HIPCUB_304000_NS6detail27convert_result_type_wrapperISA_SB_N2at6native12_GLOBAL__N_110CustomProdEEEEE10hipError_tPvRmT0_T1_jT2_SS_T4_T3_P12ihipStream_tbEUlT_E_NS1_11comp_targetILNS1_3genE2ELNS1_11target_archE906ELNS1_3gpuE6ELNS1_3repE0EEENS1_30default_config_static_selectorELNS0_4arch9wavefront6targetE1EEEvSR_,"axG",@progbits,_ZN7rocprim17ROCPRIM_400000_NS6detail17trampoline_kernelINS0_14default_configENS1_32segmented_reduce_config_selectorIN3c108BFloat16EEEZNS1_21segmented_reduce_implIS3_PKS6_PS6_PKlS6_N6hipcub16HIPCUB_304000_NS6detail27convert_result_type_wrapperISA_SB_N2at6native12_GLOBAL__N_110CustomProdEEEEE10hipError_tPvRmT0_T1_jT2_SS_T4_T3_P12ihipStream_tbEUlT_E_NS1_11comp_targetILNS1_3genE2ELNS1_11target_archE906ELNS1_3gpuE6ELNS1_3repE0EEENS1_30default_config_static_selectorELNS0_4arch9wavefront6targetE1EEEvSR_,comdat
.Lfunc_end277:
	.size	_ZN7rocprim17ROCPRIM_400000_NS6detail17trampoline_kernelINS0_14default_configENS1_32segmented_reduce_config_selectorIN3c108BFloat16EEEZNS1_21segmented_reduce_implIS3_PKS6_PS6_PKlS6_N6hipcub16HIPCUB_304000_NS6detail27convert_result_type_wrapperISA_SB_N2at6native12_GLOBAL__N_110CustomProdEEEEE10hipError_tPvRmT0_T1_jT2_SS_T4_T3_P12ihipStream_tbEUlT_E_NS1_11comp_targetILNS1_3genE2ELNS1_11target_archE906ELNS1_3gpuE6ELNS1_3repE0EEENS1_30default_config_static_selectorELNS0_4arch9wavefront6targetE1EEEvSR_, .Lfunc_end277-_ZN7rocprim17ROCPRIM_400000_NS6detail17trampoline_kernelINS0_14default_configENS1_32segmented_reduce_config_selectorIN3c108BFloat16EEEZNS1_21segmented_reduce_implIS3_PKS6_PS6_PKlS6_N6hipcub16HIPCUB_304000_NS6detail27convert_result_type_wrapperISA_SB_N2at6native12_GLOBAL__N_110CustomProdEEEEE10hipError_tPvRmT0_T1_jT2_SS_T4_T3_P12ihipStream_tbEUlT_E_NS1_11comp_targetILNS1_3genE2ELNS1_11target_archE906ELNS1_3gpuE6ELNS1_3repE0EEENS1_30default_config_static_selectorELNS0_4arch9wavefront6targetE1EEEvSR_
                                        ; -- End function
	.set _ZN7rocprim17ROCPRIM_400000_NS6detail17trampoline_kernelINS0_14default_configENS1_32segmented_reduce_config_selectorIN3c108BFloat16EEEZNS1_21segmented_reduce_implIS3_PKS6_PS6_PKlS6_N6hipcub16HIPCUB_304000_NS6detail27convert_result_type_wrapperISA_SB_N2at6native12_GLOBAL__N_110CustomProdEEEEE10hipError_tPvRmT0_T1_jT2_SS_T4_T3_P12ihipStream_tbEUlT_E_NS1_11comp_targetILNS1_3genE2ELNS1_11target_archE906ELNS1_3gpuE6ELNS1_3repE0EEENS1_30default_config_static_selectorELNS0_4arch9wavefront6targetE1EEEvSR_.num_vgpr, 26
	.set _ZN7rocprim17ROCPRIM_400000_NS6detail17trampoline_kernelINS0_14default_configENS1_32segmented_reduce_config_selectorIN3c108BFloat16EEEZNS1_21segmented_reduce_implIS3_PKS6_PS6_PKlS6_N6hipcub16HIPCUB_304000_NS6detail27convert_result_type_wrapperISA_SB_N2at6native12_GLOBAL__N_110CustomProdEEEEE10hipError_tPvRmT0_T1_jT2_SS_T4_T3_P12ihipStream_tbEUlT_E_NS1_11comp_targetILNS1_3genE2ELNS1_11target_archE906ELNS1_3gpuE6ELNS1_3repE0EEENS1_30default_config_static_selectorELNS0_4arch9wavefront6targetE1EEEvSR_.num_agpr, 0
	.set _ZN7rocprim17ROCPRIM_400000_NS6detail17trampoline_kernelINS0_14default_configENS1_32segmented_reduce_config_selectorIN3c108BFloat16EEEZNS1_21segmented_reduce_implIS3_PKS6_PS6_PKlS6_N6hipcub16HIPCUB_304000_NS6detail27convert_result_type_wrapperISA_SB_N2at6native12_GLOBAL__N_110CustomProdEEEEE10hipError_tPvRmT0_T1_jT2_SS_T4_T3_P12ihipStream_tbEUlT_E_NS1_11comp_targetILNS1_3genE2ELNS1_11target_archE906ELNS1_3gpuE6ELNS1_3repE0EEENS1_30default_config_static_selectorELNS0_4arch9wavefront6targetE1EEEvSR_.numbered_sgpr, 50
	.set _ZN7rocprim17ROCPRIM_400000_NS6detail17trampoline_kernelINS0_14default_configENS1_32segmented_reduce_config_selectorIN3c108BFloat16EEEZNS1_21segmented_reduce_implIS3_PKS6_PS6_PKlS6_N6hipcub16HIPCUB_304000_NS6detail27convert_result_type_wrapperISA_SB_N2at6native12_GLOBAL__N_110CustomProdEEEEE10hipError_tPvRmT0_T1_jT2_SS_T4_T3_P12ihipStream_tbEUlT_E_NS1_11comp_targetILNS1_3genE2ELNS1_11target_archE906ELNS1_3gpuE6ELNS1_3repE0EEENS1_30default_config_static_selectorELNS0_4arch9wavefront6targetE1EEEvSR_.num_named_barrier, 0
	.set _ZN7rocprim17ROCPRIM_400000_NS6detail17trampoline_kernelINS0_14default_configENS1_32segmented_reduce_config_selectorIN3c108BFloat16EEEZNS1_21segmented_reduce_implIS3_PKS6_PS6_PKlS6_N6hipcub16HIPCUB_304000_NS6detail27convert_result_type_wrapperISA_SB_N2at6native12_GLOBAL__N_110CustomProdEEEEE10hipError_tPvRmT0_T1_jT2_SS_T4_T3_P12ihipStream_tbEUlT_E_NS1_11comp_targetILNS1_3genE2ELNS1_11target_archE906ELNS1_3gpuE6ELNS1_3repE0EEENS1_30default_config_static_selectorELNS0_4arch9wavefront6targetE1EEEvSR_.private_seg_size, 0
	.set _ZN7rocprim17ROCPRIM_400000_NS6detail17trampoline_kernelINS0_14default_configENS1_32segmented_reduce_config_selectorIN3c108BFloat16EEEZNS1_21segmented_reduce_implIS3_PKS6_PS6_PKlS6_N6hipcub16HIPCUB_304000_NS6detail27convert_result_type_wrapperISA_SB_N2at6native12_GLOBAL__N_110CustomProdEEEEE10hipError_tPvRmT0_T1_jT2_SS_T4_T3_P12ihipStream_tbEUlT_E_NS1_11comp_targetILNS1_3genE2ELNS1_11target_archE906ELNS1_3gpuE6ELNS1_3repE0EEENS1_30default_config_static_selectorELNS0_4arch9wavefront6targetE1EEEvSR_.uses_vcc, 1
	.set _ZN7rocprim17ROCPRIM_400000_NS6detail17trampoline_kernelINS0_14default_configENS1_32segmented_reduce_config_selectorIN3c108BFloat16EEEZNS1_21segmented_reduce_implIS3_PKS6_PS6_PKlS6_N6hipcub16HIPCUB_304000_NS6detail27convert_result_type_wrapperISA_SB_N2at6native12_GLOBAL__N_110CustomProdEEEEE10hipError_tPvRmT0_T1_jT2_SS_T4_T3_P12ihipStream_tbEUlT_E_NS1_11comp_targetILNS1_3genE2ELNS1_11target_archE906ELNS1_3gpuE6ELNS1_3repE0EEENS1_30default_config_static_selectorELNS0_4arch9wavefront6targetE1EEEvSR_.uses_flat_scratch, 0
	.set _ZN7rocprim17ROCPRIM_400000_NS6detail17trampoline_kernelINS0_14default_configENS1_32segmented_reduce_config_selectorIN3c108BFloat16EEEZNS1_21segmented_reduce_implIS3_PKS6_PS6_PKlS6_N6hipcub16HIPCUB_304000_NS6detail27convert_result_type_wrapperISA_SB_N2at6native12_GLOBAL__N_110CustomProdEEEEE10hipError_tPvRmT0_T1_jT2_SS_T4_T3_P12ihipStream_tbEUlT_E_NS1_11comp_targetILNS1_3genE2ELNS1_11target_archE906ELNS1_3gpuE6ELNS1_3repE0EEENS1_30default_config_static_selectorELNS0_4arch9wavefront6targetE1EEEvSR_.has_dyn_sized_stack, 0
	.set _ZN7rocprim17ROCPRIM_400000_NS6detail17trampoline_kernelINS0_14default_configENS1_32segmented_reduce_config_selectorIN3c108BFloat16EEEZNS1_21segmented_reduce_implIS3_PKS6_PS6_PKlS6_N6hipcub16HIPCUB_304000_NS6detail27convert_result_type_wrapperISA_SB_N2at6native12_GLOBAL__N_110CustomProdEEEEE10hipError_tPvRmT0_T1_jT2_SS_T4_T3_P12ihipStream_tbEUlT_E_NS1_11comp_targetILNS1_3genE2ELNS1_11target_archE906ELNS1_3gpuE6ELNS1_3repE0EEENS1_30default_config_static_selectorELNS0_4arch9wavefront6targetE1EEEvSR_.has_recursion, 0
	.set _ZN7rocprim17ROCPRIM_400000_NS6detail17trampoline_kernelINS0_14default_configENS1_32segmented_reduce_config_selectorIN3c108BFloat16EEEZNS1_21segmented_reduce_implIS3_PKS6_PS6_PKlS6_N6hipcub16HIPCUB_304000_NS6detail27convert_result_type_wrapperISA_SB_N2at6native12_GLOBAL__N_110CustomProdEEEEE10hipError_tPvRmT0_T1_jT2_SS_T4_T3_P12ihipStream_tbEUlT_E_NS1_11comp_targetILNS1_3genE2ELNS1_11target_archE906ELNS1_3gpuE6ELNS1_3repE0EEENS1_30default_config_static_selectorELNS0_4arch9wavefront6targetE1EEEvSR_.has_indirect_call, 0
	.section	.AMDGPU.csdata,"",@progbits
; Kernel info:
; codeLenInByte = 6428
; TotalNumSgprs: 54
; NumVgprs: 26
; ScratchSize: 0
; MemoryBound: 0
; FloatMode: 240
; IeeeMode: 1
; LDSByteSize: 8 bytes/workgroup (compile time only)
; SGPRBlocks: 6
; VGPRBlocks: 6
; NumSGPRsForWavesPerEU: 54
; NumVGPRsForWavesPerEU: 26
; Occupancy: 9
; WaveLimiterHint : 1
; COMPUTE_PGM_RSRC2:SCRATCH_EN: 0
; COMPUTE_PGM_RSRC2:USER_SGPR: 6
; COMPUTE_PGM_RSRC2:TRAP_HANDLER: 0
; COMPUTE_PGM_RSRC2:TGID_X_EN: 1
; COMPUTE_PGM_RSRC2:TGID_Y_EN: 0
; COMPUTE_PGM_RSRC2:TGID_Z_EN: 0
; COMPUTE_PGM_RSRC2:TIDIG_COMP_CNT: 0
	.section	.text._ZN7rocprim17ROCPRIM_400000_NS6detail17trampoline_kernelINS0_14default_configENS1_32segmented_reduce_config_selectorIN3c108BFloat16EEEZNS1_21segmented_reduce_implIS3_PKS6_PS6_PKlS6_N6hipcub16HIPCUB_304000_NS6detail27convert_result_type_wrapperISA_SB_N2at6native12_GLOBAL__N_110CustomProdEEEEE10hipError_tPvRmT0_T1_jT2_SS_T4_T3_P12ihipStream_tbEUlT_E_NS1_11comp_targetILNS1_3genE9ELNS1_11target_archE1100ELNS1_3gpuE3ELNS1_3repE0EEENS1_30default_config_static_selectorELNS0_4arch9wavefront6targetE1EEEvSR_,"axG",@progbits,_ZN7rocprim17ROCPRIM_400000_NS6detail17trampoline_kernelINS0_14default_configENS1_32segmented_reduce_config_selectorIN3c108BFloat16EEEZNS1_21segmented_reduce_implIS3_PKS6_PS6_PKlS6_N6hipcub16HIPCUB_304000_NS6detail27convert_result_type_wrapperISA_SB_N2at6native12_GLOBAL__N_110CustomProdEEEEE10hipError_tPvRmT0_T1_jT2_SS_T4_T3_P12ihipStream_tbEUlT_E_NS1_11comp_targetILNS1_3genE9ELNS1_11target_archE1100ELNS1_3gpuE3ELNS1_3repE0EEENS1_30default_config_static_selectorELNS0_4arch9wavefront6targetE1EEEvSR_,comdat
	.globl	_ZN7rocprim17ROCPRIM_400000_NS6detail17trampoline_kernelINS0_14default_configENS1_32segmented_reduce_config_selectorIN3c108BFloat16EEEZNS1_21segmented_reduce_implIS3_PKS6_PS6_PKlS6_N6hipcub16HIPCUB_304000_NS6detail27convert_result_type_wrapperISA_SB_N2at6native12_GLOBAL__N_110CustomProdEEEEE10hipError_tPvRmT0_T1_jT2_SS_T4_T3_P12ihipStream_tbEUlT_E_NS1_11comp_targetILNS1_3genE9ELNS1_11target_archE1100ELNS1_3gpuE3ELNS1_3repE0EEENS1_30default_config_static_selectorELNS0_4arch9wavefront6targetE1EEEvSR_ ; -- Begin function _ZN7rocprim17ROCPRIM_400000_NS6detail17trampoline_kernelINS0_14default_configENS1_32segmented_reduce_config_selectorIN3c108BFloat16EEEZNS1_21segmented_reduce_implIS3_PKS6_PS6_PKlS6_N6hipcub16HIPCUB_304000_NS6detail27convert_result_type_wrapperISA_SB_N2at6native12_GLOBAL__N_110CustomProdEEEEE10hipError_tPvRmT0_T1_jT2_SS_T4_T3_P12ihipStream_tbEUlT_E_NS1_11comp_targetILNS1_3genE9ELNS1_11target_archE1100ELNS1_3gpuE3ELNS1_3repE0EEENS1_30default_config_static_selectorELNS0_4arch9wavefront6targetE1EEEvSR_
	.p2align	8
	.type	_ZN7rocprim17ROCPRIM_400000_NS6detail17trampoline_kernelINS0_14default_configENS1_32segmented_reduce_config_selectorIN3c108BFloat16EEEZNS1_21segmented_reduce_implIS3_PKS6_PS6_PKlS6_N6hipcub16HIPCUB_304000_NS6detail27convert_result_type_wrapperISA_SB_N2at6native12_GLOBAL__N_110CustomProdEEEEE10hipError_tPvRmT0_T1_jT2_SS_T4_T3_P12ihipStream_tbEUlT_E_NS1_11comp_targetILNS1_3genE9ELNS1_11target_archE1100ELNS1_3gpuE3ELNS1_3repE0EEENS1_30default_config_static_selectorELNS0_4arch9wavefront6targetE1EEEvSR_,@function
_ZN7rocprim17ROCPRIM_400000_NS6detail17trampoline_kernelINS0_14default_configENS1_32segmented_reduce_config_selectorIN3c108BFloat16EEEZNS1_21segmented_reduce_implIS3_PKS6_PS6_PKlS6_N6hipcub16HIPCUB_304000_NS6detail27convert_result_type_wrapperISA_SB_N2at6native12_GLOBAL__N_110CustomProdEEEEE10hipError_tPvRmT0_T1_jT2_SS_T4_T3_P12ihipStream_tbEUlT_E_NS1_11comp_targetILNS1_3genE9ELNS1_11target_archE1100ELNS1_3gpuE3ELNS1_3repE0EEENS1_30default_config_static_selectorELNS0_4arch9wavefront6targetE1EEEvSR_: ; @_ZN7rocprim17ROCPRIM_400000_NS6detail17trampoline_kernelINS0_14default_configENS1_32segmented_reduce_config_selectorIN3c108BFloat16EEEZNS1_21segmented_reduce_implIS3_PKS6_PS6_PKlS6_N6hipcub16HIPCUB_304000_NS6detail27convert_result_type_wrapperISA_SB_N2at6native12_GLOBAL__N_110CustomProdEEEEE10hipError_tPvRmT0_T1_jT2_SS_T4_T3_P12ihipStream_tbEUlT_E_NS1_11comp_targetILNS1_3genE9ELNS1_11target_archE1100ELNS1_3gpuE3ELNS1_3repE0EEENS1_30default_config_static_selectorELNS0_4arch9wavefront6targetE1EEEvSR_
; %bb.0:
	.section	.rodata,"a",@progbits
	.p2align	6, 0x0
	.amdhsa_kernel _ZN7rocprim17ROCPRIM_400000_NS6detail17trampoline_kernelINS0_14default_configENS1_32segmented_reduce_config_selectorIN3c108BFloat16EEEZNS1_21segmented_reduce_implIS3_PKS6_PS6_PKlS6_N6hipcub16HIPCUB_304000_NS6detail27convert_result_type_wrapperISA_SB_N2at6native12_GLOBAL__N_110CustomProdEEEEE10hipError_tPvRmT0_T1_jT2_SS_T4_T3_P12ihipStream_tbEUlT_E_NS1_11comp_targetILNS1_3genE9ELNS1_11target_archE1100ELNS1_3gpuE3ELNS1_3repE0EEENS1_30default_config_static_selectorELNS0_4arch9wavefront6targetE1EEEvSR_
		.amdhsa_group_segment_fixed_size 0
		.amdhsa_private_segment_fixed_size 0
		.amdhsa_kernarg_size 48
		.amdhsa_user_sgpr_count 6
		.amdhsa_user_sgpr_private_segment_buffer 1
		.amdhsa_user_sgpr_dispatch_ptr 0
		.amdhsa_user_sgpr_queue_ptr 0
		.amdhsa_user_sgpr_kernarg_segment_ptr 1
		.amdhsa_user_sgpr_dispatch_id 0
		.amdhsa_user_sgpr_flat_scratch_init 0
		.amdhsa_user_sgpr_private_segment_size 0
		.amdhsa_uses_dynamic_stack 0
		.amdhsa_system_sgpr_private_segment_wavefront_offset 0
		.amdhsa_system_sgpr_workgroup_id_x 1
		.amdhsa_system_sgpr_workgroup_id_y 0
		.amdhsa_system_sgpr_workgroup_id_z 0
		.amdhsa_system_sgpr_workgroup_info 0
		.amdhsa_system_vgpr_workitem_id 0
		.amdhsa_next_free_vgpr 1
		.amdhsa_next_free_sgpr 0
		.amdhsa_reserve_vcc 0
		.amdhsa_reserve_flat_scratch 0
		.amdhsa_float_round_mode_32 0
		.amdhsa_float_round_mode_16_64 0
		.amdhsa_float_denorm_mode_32 3
		.amdhsa_float_denorm_mode_16_64 3
		.amdhsa_dx10_clamp 1
		.amdhsa_ieee_mode 1
		.amdhsa_fp16_overflow 0
		.amdhsa_exception_fp_ieee_invalid_op 0
		.amdhsa_exception_fp_denorm_src 0
		.amdhsa_exception_fp_ieee_div_zero 0
		.amdhsa_exception_fp_ieee_overflow 0
		.amdhsa_exception_fp_ieee_underflow 0
		.amdhsa_exception_fp_ieee_inexact 0
		.amdhsa_exception_int_div_zero 0
	.end_amdhsa_kernel
	.section	.text._ZN7rocprim17ROCPRIM_400000_NS6detail17trampoline_kernelINS0_14default_configENS1_32segmented_reduce_config_selectorIN3c108BFloat16EEEZNS1_21segmented_reduce_implIS3_PKS6_PS6_PKlS6_N6hipcub16HIPCUB_304000_NS6detail27convert_result_type_wrapperISA_SB_N2at6native12_GLOBAL__N_110CustomProdEEEEE10hipError_tPvRmT0_T1_jT2_SS_T4_T3_P12ihipStream_tbEUlT_E_NS1_11comp_targetILNS1_3genE9ELNS1_11target_archE1100ELNS1_3gpuE3ELNS1_3repE0EEENS1_30default_config_static_selectorELNS0_4arch9wavefront6targetE1EEEvSR_,"axG",@progbits,_ZN7rocprim17ROCPRIM_400000_NS6detail17trampoline_kernelINS0_14default_configENS1_32segmented_reduce_config_selectorIN3c108BFloat16EEEZNS1_21segmented_reduce_implIS3_PKS6_PS6_PKlS6_N6hipcub16HIPCUB_304000_NS6detail27convert_result_type_wrapperISA_SB_N2at6native12_GLOBAL__N_110CustomProdEEEEE10hipError_tPvRmT0_T1_jT2_SS_T4_T3_P12ihipStream_tbEUlT_E_NS1_11comp_targetILNS1_3genE9ELNS1_11target_archE1100ELNS1_3gpuE3ELNS1_3repE0EEENS1_30default_config_static_selectorELNS0_4arch9wavefront6targetE1EEEvSR_,comdat
.Lfunc_end278:
	.size	_ZN7rocprim17ROCPRIM_400000_NS6detail17trampoline_kernelINS0_14default_configENS1_32segmented_reduce_config_selectorIN3c108BFloat16EEEZNS1_21segmented_reduce_implIS3_PKS6_PS6_PKlS6_N6hipcub16HIPCUB_304000_NS6detail27convert_result_type_wrapperISA_SB_N2at6native12_GLOBAL__N_110CustomProdEEEEE10hipError_tPvRmT0_T1_jT2_SS_T4_T3_P12ihipStream_tbEUlT_E_NS1_11comp_targetILNS1_3genE9ELNS1_11target_archE1100ELNS1_3gpuE3ELNS1_3repE0EEENS1_30default_config_static_selectorELNS0_4arch9wavefront6targetE1EEEvSR_, .Lfunc_end278-_ZN7rocprim17ROCPRIM_400000_NS6detail17trampoline_kernelINS0_14default_configENS1_32segmented_reduce_config_selectorIN3c108BFloat16EEEZNS1_21segmented_reduce_implIS3_PKS6_PS6_PKlS6_N6hipcub16HIPCUB_304000_NS6detail27convert_result_type_wrapperISA_SB_N2at6native12_GLOBAL__N_110CustomProdEEEEE10hipError_tPvRmT0_T1_jT2_SS_T4_T3_P12ihipStream_tbEUlT_E_NS1_11comp_targetILNS1_3genE9ELNS1_11target_archE1100ELNS1_3gpuE3ELNS1_3repE0EEENS1_30default_config_static_selectorELNS0_4arch9wavefront6targetE1EEEvSR_
                                        ; -- End function
	.set _ZN7rocprim17ROCPRIM_400000_NS6detail17trampoline_kernelINS0_14default_configENS1_32segmented_reduce_config_selectorIN3c108BFloat16EEEZNS1_21segmented_reduce_implIS3_PKS6_PS6_PKlS6_N6hipcub16HIPCUB_304000_NS6detail27convert_result_type_wrapperISA_SB_N2at6native12_GLOBAL__N_110CustomProdEEEEE10hipError_tPvRmT0_T1_jT2_SS_T4_T3_P12ihipStream_tbEUlT_E_NS1_11comp_targetILNS1_3genE9ELNS1_11target_archE1100ELNS1_3gpuE3ELNS1_3repE0EEENS1_30default_config_static_selectorELNS0_4arch9wavefront6targetE1EEEvSR_.num_vgpr, 0
	.set _ZN7rocprim17ROCPRIM_400000_NS6detail17trampoline_kernelINS0_14default_configENS1_32segmented_reduce_config_selectorIN3c108BFloat16EEEZNS1_21segmented_reduce_implIS3_PKS6_PS6_PKlS6_N6hipcub16HIPCUB_304000_NS6detail27convert_result_type_wrapperISA_SB_N2at6native12_GLOBAL__N_110CustomProdEEEEE10hipError_tPvRmT0_T1_jT2_SS_T4_T3_P12ihipStream_tbEUlT_E_NS1_11comp_targetILNS1_3genE9ELNS1_11target_archE1100ELNS1_3gpuE3ELNS1_3repE0EEENS1_30default_config_static_selectorELNS0_4arch9wavefront6targetE1EEEvSR_.num_agpr, 0
	.set _ZN7rocprim17ROCPRIM_400000_NS6detail17trampoline_kernelINS0_14default_configENS1_32segmented_reduce_config_selectorIN3c108BFloat16EEEZNS1_21segmented_reduce_implIS3_PKS6_PS6_PKlS6_N6hipcub16HIPCUB_304000_NS6detail27convert_result_type_wrapperISA_SB_N2at6native12_GLOBAL__N_110CustomProdEEEEE10hipError_tPvRmT0_T1_jT2_SS_T4_T3_P12ihipStream_tbEUlT_E_NS1_11comp_targetILNS1_3genE9ELNS1_11target_archE1100ELNS1_3gpuE3ELNS1_3repE0EEENS1_30default_config_static_selectorELNS0_4arch9wavefront6targetE1EEEvSR_.numbered_sgpr, 0
	.set _ZN7rocprim17ROCPRIM_400000_NS6detail17trampoline_kernelINS0_14default_configENS1_32segmented_reduce_config_selectorIN3c108BFloat16EEEZNS1_21segmented_reduce_implIS3_PKS6_PS6_PKlS6_N6hipcub16HIPCUB_304000_NS6detail27convert_result_type_wrapperISA_SB_N2at6native12_GLOBAL__N_110CustomProdEEEEE10hipError_tPvRmT0_T1_jT2_SS_T4_T3_P12ihipStream_tbEUlT_E_NS1_11comp_targetILNS1_3genE9ELNS1_11target_archE1100ELNS1_3gpuE3ELNS1_3repE0EEENS1_30default_config_static_selectorELNS0_4arch9wavefront6targetE1EEEvSR_.num_named_barrier, 0
	.set _ZN7rocprim17ROCPRIM_400000_NS6detail17trampoline_kernelINS0_14default_configENS1_32segmented_reduce_config_selectorIN3c108BFloat16EEEZNS1_21segmented_reduce_implIS3_PKS6_PS6_PKlS6_N6hipcub16HIPCUB_304000_NS6detail27convert_result_type_wrapperISA_SB_N2at6native12_GLOBAL__N_110CustomProdEEEEE10hipError_tPvRmT0_T1_jT2_SS_T4_T3_P12ihipStream_tbEUlT_E_NS1_11comp_targetILNS1_3genE9ELNS1_11target_archE1100ELNS1_3gpuE3ELNS1_3repE0EEENS1_30default_config_static_selectorELNS0_4arch9wavefront6targetE1EEEvSR_.private_seg_size, 0
	.set _ZN7rocprim17ROCPRIM_400000_NS6detail17trampoline_kernelINS0_14default_configENS1_32segmented_reduce_config_selectorIN3c108BFloat16EEEZNS1_21segmented_reduce_implIS3_PKS6_PS6_PKlS6_N6hipcub16HIPCUB_304000_NS6detail27convert_result_type_wrapperISA_SB_N2at6native12_GLOBAL__N_110CustomProdEEEEE10hipError_tPvRmT0_T1_jT2_SS_T4_T3_P12ihipStream_tbEUlT_E_NS1_11comp_targetILNS1_3genE9ELNS1_11target_archE1100ELNS1_3gpuE3ELNS1_3repE0EEENS1_30default_config_static_selectorELNS0_4arch9wavefront6targetE1EEEvSR_.uses_vcc, 0
	.set _ZN7rocprim17ROCPRIM_400000_NS6detail17trampoline_kernelINS0_14default_configENS1_32segmented_reduce_config_selectorIN3c108BFloat16EEEZNS1_21segmented_reduce_implIS3_PKS6_PS6_PKlS6_N6hipcub16HIPCUB_304000_NS6detail27convert_result_type_wrapperISA_SB_N2at6native12_GLOBAL__N_110CustomProdEEEEE10hipError_tPvRmT0_T1_jT2_SS_T4_T3_P12ihipStream_tbEUlT_E_NS1_11comp_targetILNS1_3genE9ELNS1_11target_archE1100ELNS1_3gpuE3ELNS1_3repE0EEENS1_30default_config_static_selectorELNS0_4arch9wavefront6targetE1EEEvSR_.uses_flat_scratch, 0
	.set _ZN7rocprim17ROCPRIM_400000_NS6detail17trampoline_kernelINS0_14default_configENS1_32segmented_reduce_config_selectorIN3c108BFloat16EEEZNS1_21segmented_reduce_implIS3_PKS6_PS6_PKlS6_N6hipcub16HIPCUB_304000_NS6detail27convert_result_type_wrapperISA_SB_N2at6native12_GLOBAL__N_110CustomProdEEEEE10hipError_tPvRmT0_T1_jT2_SS_T4_T3_P12ihipStream_tbEUlT_E_NS1_11comp_targetILNS1_3genE9ELNS1_11target_archE1100ELNS1_3gpuE3ELNS1_3repE0EEENS1_30default_config_static_selectorELNS0_4arch9wavefront6targetE1EEEvSR_.has_dyn_sized_stack, 0
	.set _ZN7rocprim17ROCPRIM_400000_NS6detail17trampoline_kernelINS0_14default_configENS1_32segmented_reduce_config_selectorIN3c108BFloat16EEEZNS1_21segmented_reduce_implIS3_PKS6_PS6_PKlS6_N6hipcub16HIPCUB_304000_NS6detail27convert_result_type_wrapperISA_SB_N2at6native12_GLOBAL__N_110CustomProdEEEEE10hipError_tPvRmT0_T1_jT2_SS_T4_T3_P12ihipStream_tbEUlT_E_NS1_11comp_targetILNS1_3genE9ELNS1_11target_archE1100ELNS1_3gpuE3ELNS1_3repE0EEENS1_30default_config_static_selectorELNS0_4arch9wavefront6targetE1EEEvSR_.has_recursion, 0
	.set _ZN7rocprim17ROCPRIM_400000_NS6detail17trampoline_kernelINS0_14default_configENS1_32segmented_reduce_config_selectorIN3c108BFloat16EEEZNS1_21segmented_reduce_implIS3_PKS6_PS6_PKlS6_N6hipcub16HIPCUB_304000_NS6detail27convert_result_type_wrapperISA_SB_N2at6native12_GLOBAL__N_110CustomProdEEEEE10hipError_tPvRmT0_T1_jT2_SS_T4_T3_P12ihipStream_tbEUlT_E_NS1_11comp_targetILNS1_3genE9ELNS1_11target_archE1100ELNS1_3gpuE3ELNS1_3repE0EEENS1_30default_config_static_selectorELNS0_4arch9wavefront6targetE1EEEvSR_.has_indirect_call, 0
	.section	.AMDGPU.csdata,"",@progbits
; Kernel info:
; codeLenInByte = 0
; TotalNumSgprs: 4
; NumVgprs: 0
; ScratchSize: 0
; MemoryBound: 0
; FloatMode: 240
; IeeeMode: 1
; LDSByteSize: 0 bytes/workgroup (compile time only)
; SGPRBlocks: 0
; VGPRBlocks: 0
; NumSGPRsForWavesPerEU: 4
; NumVGPRsForWavesPerEU: 1
; Occupancy: 10
; WaveLimiterHint : 0
; COMPUTE_PGM_RSRC2:SCRATCH_EN: 0
; COMPUTE_PGM_RSRC2:USER_SGPR: 6
; COMPUTE_PGM_RSRC2:TRAP_HANDLER: 0
; COMPUTE_PGM_RSRC2:TGID_X_EN: 1
; COMPUTE_PGM_RSRC2:TGID_Y_EN: 0
; COMPUTE_PGM_RSRC2:TGID_Z_EN: 0
; COMPUTE_PGM_RSRC2:TIDIG_COMP_CNT: 0
	.section	.text._ZN7rocprim17ROCPRIM_400000_NS6detail17trampoline_kernelINS0_14default_configENS1_32segmented_reduce_config_selectorIN3c108BFloat16EEEZNS1_21segmented_reduce_implIS3_PKS6_PS6_PKlS6_N6hipcub16HIPCUB_304000_NS6detail27convert_result_type_wrapperISA_SB_N2at6native12_GLOBAL__N_110CustomProdEEEEE10hipError_tPvRmT0_T1_jT2_SS_T4_T3_P12ihipStream_tbEUlT_E_NS1_11comp_targetILNS1_3genE8ELNS1_11target_archE1030ELNS1_3gpuE2ELNS1_3repE0EEENS1_30default_config_static_selectorELNS0_4arch9wavefront6targetE1EEEvSR_,"axG",@progbits,_ZN7rocprim17ROCPRIM_400000_NS6detail17trampoline_kernelINS0_14default_configENS1_32segmented_reduce_config_selectorIN3c108BFloat16EEEZNS1_21segmented_reduce_implIS3_PKS6_PS6_PKlS6_N6hipcub16HIPCUB_304000_NS6detail27convert_result_type_wrapperISA_SB_N2at6native12_GLOBAL__N_110CustomProdEEEEE10hipError_tPvRmT0_T1_jT2_SS_T4_T3_P12ihipStream_tbEUlT_E_NS1_11comp_targetILNS1_3genE8ELNS1_11target_archE1030ELNS1_3gpuE2ELNS1_3repE0EEENS1_30default_config_static_selectorELNS0_4arch9wavefront6targetE1EEEvSR_,comdat
	.globl	_ZN7rocprim17ROCPRIM_400000_NS6detail17trampoline_kernelINS0_14default_configENS1_32segmented_reduce_config_selectorIN3c108BFloat16EEEZNS1_21segmented_reduce_implIS3_PKS6_PS6_PKlS6_N6hipcub16HIPCUB_304000_NS6detail27convert_result_type_wrapperISA_SB_N2at6native12_GLOBAL__N_110CustomProdEEEEE10hipError_tPvRmT0_T1_jT2_SS_T4_T3_P12ihipStream_tbEUlT_E_NS1_11comp_targetILNS1_3genE8ELNS1_11target_archE1030ELNS1_3gpuE2ELNS1_3repE0EEENS1_30default_config_static_selectorELNS0_4arch9wavefront6targetE1EEEvSR_ ; -- Begin function _ZN7rocprim17ROCPRIM_400000_NS6detail17trampoline_kernelINS0_14default_configENS1_32segmented_reduce_config_selectorIN3c108BFloat16EEEZNS1_21segmented_reduce_implIS3_PKS6_PS6_PKlS6_N6hipcub16HIPCUB_304000_NS6detail27convert_result_type_wrapperISA_SB_N2at6native12_GLOBAL__N_110CustomProdEEEEE10hipError_tPvRmT0_T1_jT2_SS_T4_T3_P12ihipStream_tbEUlT_E_NS1_11comp_targetILNS1_3genE8ELNS1_11target_archE1030ELNS1_3gpuE2ELNS1_3repE0EEENS1_30default_config_static_selectorELNS0_4arch9wavefront6targetE1EEEvSR_
	.p2align	8
	.type	_ZN7rocprim17ROCPRIM_400000_NS6detail17trampoline_kernelINS0_14default_configENS1_32segmented_reduce_config_selectorIN3c108BFloat16EEEZNS1_21segmented_reduce_implIS3_PKS6_PS6_PKlS6_N6hipcub16HIPCUB_304000_NS6detail27convert_result_type_wrapperISA_SB_N2at6native12_GLOBAL__N_110CustomProdEEEEE10hipError_tPvRmT0_T1_jT2_SS_T4_T3_P12ihipStream_tbEUlT_E_NS1_11comp_targetILNS1_3genE8ELNS1_11target_archE1030ELNS1_3gpuE2ELNS1_3repE0EEENS1_30default_config_static_selectorELNS0_4arch9wavefront6targetE1EEEvSR_,@function
_ZN7rocprim17ROCPRIM_400000_NS6detail17trampoline_kernelINS0_14default_configENS1_32segmented_reduce_config_selectorIN3c108BFloat16EEEZNS1_21segmented_reduce_implIS3_PKS6_PS6_PKlS6_N6hipcub16HIPCUB_304000_NS6detail27convert_result_type_wrapperISA_SB_N2at6native12_GLOBAL__N_110CustomProdEEEEE10hipError_tPvRmT0_T1_jT2_SS_T4_T3_P12ihipStream_tbEUlT_E_NS1_11comp_targetILNS1_3genE8ELNS1_11target_archE1030ELNS1_3gpuE2ELNS1_3repE0EEENS1_30default_config_static_selectorELNS0_4arch9wavefront6targetE1EEEvSR_: ; @_ZN7rocprim17ROCPRIM_400000_NS6detail17trampoline_kernelINS0_14default_configENS1_32segmented_reduce_config_selectorIN3c108BFloat16EEEZNS1_21segmented_reduce_implIS3_PKS6_PS6_PKlS6_N6hipcub16HIPCUB_304000_NS6detail27convert_result_type_wrapperISA_SB_N2at6native12_GLOBAL__N_110CustomProdEEEEE10hipError_tPvRmT0_T1_jT2_SS_T4_T3_P12ihipStream_tbEUlT_E_NS1_11comp_targetILNS1_3genE8ELNS1_11target_archE1030ELNS1_3gpuE2ELNS1_3repE0EEENS1_30default_config_static_selectorELNS0_4arch9wavefront6targetE1EEEvSR_
; %bb.0:
	.section	.rodata,"a",@progbits
	.p2align	6, 0x0
	.amdhsa_kernel _ZN7rocprim17ROCPRIM_400000_NS6detail17trampoline_kernelINS0_14default_configENS1_32segmented_reduce_config_selectorIN3c108BFloat16EEEZNS1_21segmented_reduce_implIS3_PKS6_PS6_PKlS6_N6hipcub16HIPCUB_304000_NS6detail27convert_result_type_wrapperISA_SB_N2at6native12_GLOBAL__N_110CustomProdEEEEE10hipError_tPvRmT0_T1_jT2_SS_T4_T3_P12ihipStream_tbEUlT_E_NS1_11comp_targetILNS1_3genE8ELNS1_11target_archE1030ELNS1_3gpuE2ELNS1_3repE0EEENS1_30default_config_static_selectorELNS0_4arch9wavefront6targetE1EEEvSR_
		.amdhsa_group_segment_fixed_size 0
		.amdhsa_private_segment_fixed_size 0
		.amdhsa_kernarg_size 48
		.amdhsa_user_sgpr_count 6
		.amdhsa_user_sgpr_private_segment_buffer 1
		.amdhsa_user_sgpr_dispatch_ptr 0
		.amdhsa_user_sgpr_queue_ptr 0
		.amdhsa_user_sgpr_kernarg_segment_ptr 1
		.amdhsa_user_sgpr_dispatch_id 0
		.amdhsa_user_sgpr_flat_scratch_init 0
		.amdhsa_user_sgpr_private_segment_size 0
		.amdhsa_uses_dynamic_stack 0
		.amdhsa_system_sgpr_private_segment_wavefront_offset 0
		.amdhsa_system_sgpr_workgroup_id_x 1
		.amdhsa_system_sgpr_workgroup_id_y 0
		.amdhsa_system_sgpr_workgroup_id_z 0
		.amdhsa_system_sgpr_workgroup_info 0
		.amdhsa_system_vgpr_workitem_id 0
		.amdhsa_next_free_vgpr 1
		.amdhsa_next_free_sgpr 0
		.amdhsa_reserve_vcc 0
		.amdhsa_reserve_flat_scratch 0
		.amdhsa_float_round_mode_32 0
		.amdhsa_float_round_mode_16_64 0
		.amdhsa_float_denorm_mode_32 3
		.amdhsa_float_denorm_mode_16_64 3
		.amdhsa_dx10_clamp 1
		.amdhsa_ieee_mode 1
		.amdhsa_fp16_overflow 0
		.amdhsa_exception_fp_ieee_invalid_op 0
		.amdhsa_exception_fp_denorm_src 0
		.amdhsa_exception_fp_ieee_div_zero 0
		.amdhsa_exception_fp_ieee_overflow 0
		.amdhsa_exception_fp_ieee_underflow 0
		.amdhsa_exception_fp_ieee_inexact 0
		.amdhsa_exception_int_div_zero 0
	.end_amdhsa_kernel
	.section	.text._ZN7rocprim17ROCPRIM_400000_NS6detail17trampoline_kernelINS0_14default_configENS1_32segmented_reduce_config_selectorIN3c108BFloat16EEEZNS1_21segmented_reduce_implIS3_PKS6_PS6_PKlS6_N6hipcub16HIPCUB_304000_NS6detail27convert_result_type_wrapperISA_SB_N2at6native12_GLOBAL__N_110CustomProdEEEEE10hipError_tPvRmT0_T1_jT2_SS_T4_T3_P12ihipStream_tbEUlT_E_NS1_11comp_targetILNS1_3genE8ELNS1_11target_archE1030ELNS1_3gpuE2ELNS1_3repE0EEENS1_30default_config_static_selectorELNS0_4arch9wavefront6targetE1EEEvSR_,"axG",@progbits,_ZN7rocprim17ROCPRIM_400000_NS6detail17trampoline_kernelINS0_14default_configENS1_32segmented_reduce_config_selectorIN3c108BFloat16EEEZNS1_21segmented_reduce_implIS3_PKS6_PS6_PKlS6_N6hipcub16HIPCUB_304000_NS6detail27convert_result_type_wrapperISA_SB_N2at6native12_GLOBAL__N_110CustomProdEEEEE10hipError_tPvRmT0_T1_jT2_SS_T4_T3_P12ihipStream_tbEUlT_E_NS1_11comp_targetILNS1_3genE8ELNS1_11target_archE1030ELNS1_3gpuE2ELNS1_3repE0EEENS1_30default_config_static_selectorELNS0_4arch9wavefront6targetE1EEEvSR_,comdat
.Lfunc_end279:
	.size	_ZN7rocprim17ROCPRIM_400000_NS6detail17trampoline_kernelINS0_14default_configENS1_32segmented_reduce_config_selectorIN3c108BFloat16EEEZNS1_21segmented_reduce_implIS3_PKS6_PS6_PKlS6_N6hipcub16HIPCUB_304000_NS6detail27convert_result_type_wrapperISA_SB_N2at6native12_GLOBAL__N_110CustomProdEEEEE10hipError_tPvRmT0_T1_jT2_SS_T4_T3_P12ihipStream_tbEUlT_E_NS1_11comp_targetILNS1_3genE8ELNS1_11target_archE1030ELNS1_3gpuE2ELNS1_3repE0EEENS1_30default_config_static_selectorELNS0_4arch9wavefront6targetE1EEEvSR_, .Lfunc_end279-_ZN7rocprim17ROCPRIM_400000_NS6detail17trampoline_kernelINS0_14default_configENS1_32segmented_reduce_config_selectorIN3c108BFloat16EEEZNS1_21segmented_reduce_implIS3_PKS6_PS6_PKlS6_N6hipcub16HIPCUB_304000_NS6detail27convert_result_type_wrapperISA_SB_N2at6native12_GLOBAL__N_110CustomProdEEEEE10hipError_tPvRmT0_T1_jT2_SS_T4_T3_P12ihipStream_tbEUlT_E_NS1_11comp_targetILNS1_3genE8ELNS1_11target_archE1030ELNS1_3gpuE2ELNS1_3repE0EEENS1_30default_config_static_selectorELNS0_4arch9wavefront6targetE1EEEvSR_
                                        ; -- End function
	.set _ZN7rocprim17ROCPRIM_400000_NS6detail17trampoline_kernelINS0_14default_configENS1_32segmented_reduce_config_selectorIN3c108BFloat16EEEZNS1_21segmented_reduce_implIS3_PKS6_PS6_PKlS6_N6hipcub16HIPCUB_304000_NS6detail27convert_result_type_wrapperISA_SB_N2at6native12_GLOBAL__N_110CustomProdEEEEE10hipError_tPvRmT0_T1_jT2_SS_T4_T3_P12ihipStream_tbEUlT_E_NS1_11comp_targetILNS1_3genE8ELNS1_11target_archE1030ELNS1_3gpuE2ELNS1_3repE0EEENS1_30default_config_static_selectorELNS0_4arch9wavefront6targetE1EEEvSR_.num_vgpr, 0
	.set _ZN7rocprim17ROCPRIM_400000_NS6detail17trampoline_kernelINS0_14default_configENS1_32segmented_reduce_config_selectorIN3c108BFloat16EEEZNS1_21segmented_reduce_implIS3_PKS6_PS6_PKlS6_N6hipcub16HIPCUB_304000_NS6detail27convert_result_type_wrapperISA_SB_N2at6native12_GLOBAL__N_110CustomProdEEEEE10hipError_tPvRmT0_T1_jT2_SS_T4_T3_P12ihipStream_tbEUlT_E_NS1_11comp_targetILNS1_3genE8ELNS1_11target_archE1030ELNS1_3gpuE2ELNS1_3repE0EEENS1_30default_config_static_selectorELNS0_4arch9wavefront6targetE1EEEvSR_.num_agpr, 0
	.set _ZN7rocprim17ROCPRIM_400000_NS6detail17trampoline_kernelINS0_14default_configENS1_32segmented_reduce_config_selectorIN3c108BFloat16EEEZNS1_21segmented_reduce_implIS3_PKS6_PS6_PKlS6_N6hipcub16HIPCUB_304000_NS6detail27convert_result_type_wrapperISA_SB_N2at6native12_GLOBAL__N_110CustomProdEEEEE10hipError_tPvRmT0_T1_jT2_SS_T4_T3_P12ihipStream_tbEUlT_E_NS1_11comp_targetILNS1_3genE8ELNS1_11target_archE1030ELNS1_3gpuE2ELNS1_3repE0EEENS1_30default_config_static_selectorELNS0_4arch9wavefront6targetE1EEEvSR_.numbered_sgpr, 0
	.set _ZN7rocprim17ROCPRIM_400000_NS6detail17trampoline_kernelINS0_14default_configENS1_32segmented_reduce_config_selectorIN3c108BFloat16EEEZNS1_21segmented_reduce_implIS3_PKS6_PS6_PKlS6_N6hipcub16HIPCUB_304000_NS6detail27convert_result_type_wrapperISA_SB_N2at6native12_GLOBAL__N_110CustomProdEEEEE10hipError_tPvRmT0_T1_jT2_SS_T4_T3_P12ihipStream_tbEUlT_E_NS1_11comp_targetILNS1_3genE8ELNS1_11target_archE1030ELNS1_3gpuE2ELNS1_3repE0EEENS1_30default_config_static_selectorELNS0_4arch9wavefront6targetE1EEEvSR_.num_named_barrier, 0
	.set _ZN7rocprim17ROCPRIM_400000_NS6detail17trampoline_kernelINS0_14default_configENS1_32segmented_reduce_config_selectorIN3c108BFloat16EEEZNS1_21segmented_reduce_implIS3_PKS6_PS6_PKlS6_N6hipcub16HIPCUB_304000_NS6detail27convert_result_type_wrapperISA_SB_N2at6native12_GLOBAL__N_110CustomProdEEEEE10hipError_tPvRmT0_T1_jT2_SS_T4_T3_P12ihipStream_tbEUlT_E_NS1_11comp_targetILNS1_3genE8ELNS1_11target_archE1030ELNS1_3gpuE2ELNS1_3repE0EEENS1_30default_config_static_selectorELNS0_4arch9wavefront6targetE1EEEvSR_.private_seg_size, 0
	.set _ZN7rocprim17ROCPRIM_400000_NS6detail17trampoline_kernelINS0_14default_configENS1_32segmented_reduce_config_selectorIN3c108BFloat16EEEZNS1_21segmented_reduce_implIS3_PKS6_PS6_PKlS6_N6hipcub16HIPCUB_304000_NS6detail27convert_result_type_wrapperISA_SB_N2at6native12_GLOBAL__N_110CustomProdEEEEE10hipError_tPvRmT0_T1_jT2_SS_T4_T3_P12ihipStream_tbEUlT_E_NS1_11comp_targetILNS1_3genE8ELNS1_11target_archE1030ELNS1_3gpuE2ELNS1_3repE0EEENS1_30default_config_static_selectorELNS0_4arch9wavefront6targetE1EEEvSR_.uses_vcc, 0
	.set _ZN7rocprim17ROCPRIM_400000_NS6detail17trampoline_kernelINS0_14default_configENS1_32segmented_reduce_config_selectorIN3c108BFloat16EEEZNS1_21segmented_reduce_implIS3_PKS6_PS6_PKlS6_N6hipcub16HIPCUB_304000_NS6detail27convert_result_type_wrapperISA_SB_N2at6native12_GLOBAL__N_110CustomProdEEEEE10hipError_tPvRmT0_T1_jT2_SS_T4_T3_P12ihipStream_tbEUlT_E_NS1_11comp_targetILNS1_3genE8ELNS1_11target_archE1030ELNS1_3gpuE2ELNS1_3repE0EEENS1_30default_config_static_selectorELNS0_4arch9wavefront6targetE1EEEvSR_.uses_flat_scratch, 0
	.set _ZN7rocprim17ROCPRIM_400000_NS6detail17trampoline_kernelINS0_14default_configENS1_32segmented_reduce_config_selectorIN3c108BFloat16EEEZNS1_21segmented_reduce_implIS3_PKS6_PS6_PKlS6_N6hipcub16HIPCUB_304000_NS6detail27convert_result_type_wrapperISA_SB_N2at6native12_GLOBAL__N_110CustomProdEEEEE10hipError_tPvRmT0_T1_jT2_SS_T4_T3_P12ihipStream_tbEUlT_E_NS1_11comp_targetILNS1_3genE8ELNS1_11target_archE1030ELNS1_3gpuE2ELNS1_3repE0EEENS1_30default_config_static_selectorELNS0_4arch9wavefront6targetE1EEEvSR_.has_dyn_sized_stack, 0
	.set _ZN7rocprim17ROCPRIM_400000_NS6detail17trampoline_kernelINS0_14default_configENS1_32segmented_reduce_config_selectorIN3c108BFloat16EEEZNS1_21segmented_reduce_implIS3_PKS6_PS6_PKlS6_N6hipcub16HIPCUB_304000_NS6detail27convert_result_type_wrapperISA_SB_N2at6native12_GLOBAL__N_110CustomProdEEEEE10hipError_tPvRmT0_T1_jT2_SS_T4_T3_P12ihipStream_tbEUlT_E_NS1_11comp_targetILNS1_3genE8ELNS1_11target_archE1030ELNS1_3gpuE2ELNS1_3repE0EEENS1_30default_config_static_selectorELNS0_4arch9wavefront6targetE1EEEvSR_.has_recursion, 0
	.set _ZN7rocprim17ROCPRIM_400000_NS6detail17trampoline_kernelINS0_14default_configENS1_32segmented_reduce_config_selectorIN3c108BFloat16EEEZNS1_21segmented_reduce_implIS3_PKS6_PS6_PKlS6_N6hipcub16HIPCUB_304000_NS6detail27convert_result_type_wrapperISA_SB_N2at6native12_GLOBAL__N_110CustomProdEEEEE10hipError_tPvRmT0_T1_jT2_SS_T4_T3_P12ihipStream_tbEUlT_E_NS1_11comp_targetILNS1_3genE8ELNS1_11target_archE1030ELNS1_3gpuE2ELNS1_3repE0EEENS1_30default_config_static_selectorELNS0_4arch9wavefront6targetE1EEEvSR_.has_indirect_call, 0
	.section	.AMDGPU.csdata,"",@progbits
; Kernel info:
; codeLenInByte = 0
; TotalNumSgprs: 4
; NumVgprs: 0
; ScratchSize: 0
; MemoryBound: 0
; FloatMode: 240
; IeeeMode: 1
; LDSByteSize: 0 bytes/workgroup (compile time only)
; SGPRBlocks: 0
; VGPRBlocks: 0
; NumSGPRsForWavesPerEU: 4
; NumVGPRsForWavesPerEU: 1
; Occupancy: 10
; WaveLimiterHint : 0
; COMPUTE_PGM_RSRC2:SCRATCH_EN: 0
; COMPUTE_PGM_RSRC2:USER_SGPR: 6
; COMPUTE_PGM_RSRC2:TRAP_HANDLER: 0
; COMPUTE_PGM_RSRC2:TGID_X_EN: 1
; COMPUTE_PGM_RSRC2:TGID_Y_EN: 0
; COMPUTE_PGM_RSRC2:TGID_Z_EN: 0
; COMPUTE_PGM_RSRC2:TIDIG_COMP_CNT: 0
	.section	.AMDGPU.gpr_maximums,"",@progbits
	.set amdgpu.max_num_vgpr, 0
	.set amdgpu.max_num_agpr, 0
	.set amdgpu.max_num_sgpr, 0
	.section	.AMDGPU.csdata,"",@progbits
	.type	__hip_cuid_2cfdd46e6de0864,@object ; @__hip_cuid_2cfdd46e6de0864
	.section	.bss,"aw",@nobits
	.globl	__hip_cuid_2cfdd46e6de0864
__hip_cuid_2cfdd46e6de0864:
	.byte	0                               ; 0x0
	.size	__hip_cuid_2cfdd46e6de0864, 1

	.ident	"AMD clang version 22.0.0git (https://github.com/RadeonOpenCompute/llvm-project roc-7.2.4 26084 f58b06dce1f9c15707c5f808fd002e18c2accf7e)"
	.section	".note.GNU-stack","",@progbits
	.addrsig
	.addrsig_sym __hip_cuid_2cfdd46e6de0864
	.amdgpu_metadata
---
amdhsa.kernels:
  - .args:
      - .offset:         0
        .size:           4
        .value_kind:     by_value
      - .address_space:  global
        .offset:         8
        .size:           8
        .value_kind:     global_buffer
      - .address_space:  global
        .offset:         16
        .size:           8
        .value_kind:     global_buffer
      - .address_space:  global
        .offset:         24
        .size:           8
        .value_kind:     global_buffer
      - .address_space:  global
        .offset:         32
        .size:           8
        .value_kind:     global_buffer
      - .address_space:  global
        .offset:         40
        .size:           8
        .value_kind:     global_buffer
      - .address_space:  global
        .offset:         48
        .size:           8
        .value_kind:     global_buffer
      - .offset:         56
        .size:           8
        .value_kind:     by_value
      - .offset:         64
        .size:           8
        .value_kind:     by_value
      - .offset:         72
        .size:           8
        .value_kind:     by_value
      - .offset:         80
        .size:           8
        .value_kind:     by_value
      - .offset:         88
        .size:           8
        .value_kind:     by_value
      - .offset:         96
        .size:           8
        .value_kind:     by_value
      - .offset:         104
        .size:           8
        .value_kind:     by_value
      - .offset:         112
        .size:           8
        .value_kind:     by_value
      - .offset:         120
        .size:           8
        .value_kind:     by_value
      - .offset:         128
        .size:           8
        .value_kind:     by_value
      - .offset:         136
        .size:           4
        .value_kind:     hidden_block_count_x
      - .offset:         140
        .size:           4
        .value_kind:     hidden_block_count_y
      - .offset:         144
        .size:           4
        .value_kind:     hidden_block_count_z
      - .offset:         148
        .size:           2
        .value_kind:     hidden_group_size_x
      - .offset:         150
        .size:           2
        .value_kind:     hidden_group_size_y
      - .offset:         152
        .size:           2
        .value_kind:     hidden_group_size_z
      - .offset:         154
        .size:           2
        .value_kind:     hidden_remainder_x
      - .offset:         156
        .size:           2
        .value_kind:     hidden_remainder_y
      - .offset:         158
        .size:           2
        .value_kind:     hidden_remainder_z
      - .offset:         176
        .size:           8
        .value_kind:     hidden_global_offset_x
      - .offset:         184
        .size:           8
        .value_kind:     hidden_global_offset_y
      - .offset:         192
        .size:           8
        .value_kind:     hidden_global_offset_z
      - .offset:         200
        .size:           2
        .value_kind:     hidden_grid_dims
    .group_segment_fixed_size: 0
    .kernarg_segment_align: 8
    .kernarg_segment_size: 392
    .language:       OpenCL C
    .language_version:
      - 2
      - 0
    .max_flat_workgroup_size: 1024
    .name:           _ZN2at6native12_GLOBAL__N_130segment_reduce_backward_kernelIdiEEvNS0_13ReductionTypeEPT_PKS4_S7_S7_PKT0_SA_llS4_lllllll
    .private_segment_fixed_size: 0
    .sgpr_count:     56
    .sgpr_spill_count: 0
    .symbol:         _ZN2at6native12_GLOBAL__N_130segment_reduce_backward_kernelIdiEEvNS0_13ReductionTypeEPT_PKS4_S7_S7_PKT0_SA_llS4_lllllll.kd
    .uniform_work_group_size: 1
    .uses_dynamic_stack: false
    .vgpr_count:     37
    .vgpr_spill_count: 0
    .wavefront_size: 64
  - .args:
      - .offset:         0
        .size:           4
        .value_kind:     by_value
      - .address_space:  global
        .offset:         8
        .size:           8
        .value_kind:     global_buffer
      - .address_space:  global
        .offset:         16
        .size:           8
        .value_kind:     global_buffer
      - .address_space:  global
        .offset:         24
        .size:           8
        .value_kind:     global_buffer
      - .address_space:  global
        .offset:         32
        .size:           8
        .value_kind:     global_buffer
      - .address_space:  global
        .offset:         40
        .size:           8
        .value_kind:     global_buffer
      - .address_space:  global
        .offset:         48
        .size:           8
        .value_kind:     global_buffer
      - .offset:         56
        .size:           8
        .value_kind:     by_value
      - .offset:         64
        .size:           8
        .value_kind:     by_value
      - .offset:         72
        .size:           4
        .value_kind:     by_value
      - .offset:         80
        .size:           8
        .value_kind:     by_value
      - .offset:         88
        .size:           8
        .value_kind:     by_value
      - .offset:         96
        .size:           8
        .value_kind:     by_value
      - .offset:         104
        .size:           8
        .value_kind:     by_value
      - .offset:         112
        .size:           8
        .value_kind:     by_value
      - .offset:         120
        .size:           8
        .value_kind:     by_value
      - .offset:         128
        .size:           8
        .value_kind:     by_value
      - .offset:         136
        .size:           4
        .value_kind:     hidden_block_count_x
      - .offset:         140
        .size:           4
        .value_kind:     hidden_block_count_y
      - .offset:         144
        .size:           4
        .value_kind:     hidden_block_count_z
      - .offset:         148
        .size:           2
        .value_kind:     hidden_group_size_x
      - .offset:         150
        .size:           2
        .value_kind:     hidden_group_size_y
      - .offset:         152
        .size:           2
        .value_kind:     hidden_group_size_z
      - .offset:         154
        .size:           2
        .value_kind:     hidden_remainder_x
      - .offset:         156
        .size:           2
        .value_kind:     hidden_remainder_y
      - .offset:         158
        .size:           2
        .value_kind:     hidden_remainder_z
      - .offset:         176
        .size:           8
        .value_kind:     hidden_global_offset_x
      - .offset:         184
        .size:           8
        .value_kind:     hidden_global_offset_y
      - .offset:         192
        .size:           8
        .value_kind:     hidden_global_offset_z
      - .offset:         200
        .size:           2
        .value_kind:     hidden_grid_dims
    .group_segment_fixed_size: 0
    .kernarg_segment_align: 8
    .kernarg_segment_size: 392
    .language:       OpenCL C
    .language_version:
      - 2
      - 0
    .max_flat_workgroup_size: 1024
    .name:           _ZN2at6native12_GLOBAL__N_130segment_reduce_backward_kernelIfiEEvNS0_13ReductionTypeEPT_PKS4_S7_S7_PKT0_SA_llS4_lllllll
    .private_segment_fixed_size: 0
    .sgpr_count:     48
    .sgpr_spill_count: 0
    .symbol:         _ZN2at6native12_GLOBAL__N_130segment_reduce_backward_kernelIfiEEvNS0_13ReductionTypeEPT_PKS4_S7_S7_PKT0_SA_llS4_lllllll.kd
    .uniform_work_group_size: 1
    .uses_dynamic_stack: false
    .vgpr_count:     32
    .vgpr_spill_count: 0
    .wavefront_size: 64
  - .args:
      - .offset:         0
        .size:           4
        .value_kind:     by_value
      - .address_space:  global
        .offset:         8
        .size:           8
        .value_kind:     global_buffer
      - .address_space:  global
        .offset:         16
        .size:           8
        .value_kind:     global_buffer
      - .address_space:  global
        .offset:         24
        .size:           8
        .value_kind:     global_buffer
      - .address_space:  global
        .offset:         32
        .size:           8
        .value_kind:     global_buffer
      - .address_space:  global
        .offset:         40
        .size:           8
        .value_kind:     global_buffer
      - .address_space:  global
        .offset:         48
        .size:           8
        .value_kind:     global_buffer
      - .offset:         56
        .size:           8
        .value_kind:     by_value
      - .offset:         64
        .size:           8
        .value_kind:     by_value
      - .offset:         72
        .size:           2
        .value_kind:     by_value
      - .offset:         80
        .size:           8
        .value_kind:     by_value
      - .offset:         88
        .size:           8
        .value_kind:     by_value
      - .offset:         96
        .size:           8
        .value_kind:     by_value
      - .offset:         104
        .size:           8
        .value_kind:     by_value
      - .offset:         112
        .size:           8
        .value_kind:     by_value
      - .offset:         120
        .size:           8
        .value_kind:     by_value
      - .offset:         128
        .size:           8
        .value_kind:     by_value
      - .offset:         136
        .size:           4
        .value_kind:     hidden_block_count_x
      - .offset:         140
        .size:           4
        .value_kind:     hidden_block_count_y
      - .offset:         144
        .size:           4
        .value_kind:     hidden_block_count_z
      - .offset:         148
        .size:           2
        .value_kind:     hidden_group_size_x
      - .offset:         150
        .size:           2
        .value_kind:     hidden_group_size_y
      - .offset:         152
        .size:           2
        .value_kind:     hidden_group_size_z
      - .offset:         154
        .size:           2
        .value_kind:     hidden_remainder_x
      - .offset:         156
        .size:           2
        .value_kind:     hidden_remainder_y
      - .offset:         158
        .size:           2
        .value_kind:     hidden_remainder_z
      - .offset:         176
        .size:           8
        .value_kind:     hidden_global_offset_x
      - .offset:         184
        .size:           8
        .value_kind:     hidden_global_offset_y
      - .offset:         192
        .size:           8
        .value_kind:     hidden_global_offset_z
      - .offset:         200
        .size:           2
        .value_kind:     hidden_grid_dims
    .group_segment_fixed_size: 0
    .kernarg_segment_align: 8
    .kernarg_segment_size: 392
    .language:       OpenCL C
    .language_version:
      - 2
      - 0
    .max_flat_workgroup_size: 1024
    .name:           _ZN2at6native12_GLOBAL__N_130segment_reduce_backward_kernelIN3c108BFloat16EiEEvNS0_13ReductionTypeEPT_PKS6_S9_S9_PKT0_SC_llS6_lllllll
    .private_segment_fixed_size: 0
    .sgpr_count:     48
    .sgpr_spill_count: 0
    .symbol:         _ZN2at6native12_GLOBAL__N_130segment_reduce_backward_kernelIN3c108BFloat16EiEEvNS0_13ReductionTypeEPT_PKS6_S9_S9_PKT0_SC_llS6_lllllll.kd
    .uniform_work_group_size: 1
    .uses_dynamic_stack: false
    .vgpr_count:     35
    .vgpr_spill_count: 0
    .wavefront_size: 64
  - .args:
      - .offset:         0
        .size:           4
        .value_kind:     by_value
      - .address_space:  global
        .offset:         8
        .size:           8
        .value_kind:     global_buffer
      - .address_space:  global
        .offset:         16
        .size:           8
        .value_kind:     global_buffer
      - .address_space:  global
        .offset:         24
        .size:           8
        .value_kind:     global_buffer
      - .address_space:  global
        .offset:         32
        .size:           8
        .value_kind:     global_buffer
      - .address_space:  global
        .offset:         40
        .size:           8
        .value_kind:     global_buffer
      - .address_space:  global
        .offset:         48
        .size:           8
        .value_kind:     global_buffer
      - .offset:         56
        .size:           8
        .value_kind:     by_value
      - .offset:         64
        .size:           8
        .value_kind:     by_value
      - .offset:         72
        .size:           2
        .value_kind:     by_value
      - .offset:         80
        .size:           8
        .value_kind:     by_value
      - .offset:         88
        .size:           8
        .value_kind:     by_value
      - .offset:         96
        .size:           8
        .value_kind:     by_value
      - .offset:         104
        .size:           8
        .value_kind:     by_value
      - .offset:         112
        .size:           8
        .value_kind:     by_value
      - .offset:         120
        .size:           8
        .value_kind:     by_value
      - .offset:         128
        .size:           8
        .value_kind:     by_value
      - .offset:         136
        .size:           4
        .value_kind:     hidden_block_count_x
      - .offset:         140
        .size:           4
        .value_kind:     hidden_block_count_y
      - .offset:         144
        .size:           4
        .value_kind:     hidden_block_count_z
      - .offset:         148
        .size:           2
        .value_kind:     hidden_group_size_x
      - .offset:         150
        .size:           2
        .value_kind:     hidden_group_size_y
      - .offset:         152
        .size:           2
        .value_kind:     hidden_group_size_z
      - .offset:         154
        .size:           2
        .value_kind:     hidden_remainder_x
      - .offset:         156
        .size:           2
        .value_kind:     hidden_remainder_y
      - .offset:         158
        .size:           2
        .value_kind:     hidden_remainder_z
      - .offset:         176
        .size:           8
        .value_kind:     hidden_global_offset_x
      - .offset:         184
        .size:           8
        .value_kind:     hidden_global_offset_y
      - .offset:         192
        .size:           8
        .value_kind:     hidden_global_offset_z
      - .offset:         200
        .size:           2
        .value_kind:     hidden_grid_dims
    .group_segment_fixed_size: 0
    .kernarg_segment_align: 8
    .kernarg_segment_size: 392
    .language:       OpenCL C
    .language_version:
      - 2
      - 0
    .max_flat_workgroup_size: 1024
    .name:           _ZN2at6native12_GLOBAL__N_130segment_reduce_backward_kernelIN3c104HalfEiEEvNS0_13ReductionTypeEPT_PKS6_S9_S9_PKT0_SC_llS6_lllllll
    .private_segment_fixed_size: 0
    .sgpr_count:     48
    .sgpr_spill_count: 0
    .symbol:         _ZN2at6native12_GLOBAL__N_130segment_reduce_backward_kernelIN3c104HalfEiEEvNS0_13ReductionTypeEPT_PKS6_S9_S9_PKT0_SC_llS6_lllllll.kd
    .uniform_work_group_size: 1
    .uses_dynamic_stack: false
    .vgpr_count:     34
    .vgpr_spill_count: 0
    .wavefront_size: 64
  - .args:
      - .offset:         0
        .size:           4
        .value_kind:     by_value
      - .address_space:  global
        .offset:         8
        .size:           8
        .value_kind:     global_buffer
      - .address_space:  global
        .offset:         16
        .size:           8
        .value_kind:     global_buffer
      - .address_space:  global
        .offset:         24
        .size:           8
        .value_kind:     global_buffer
      - .address_space:  global
        .offset:         32
        .size:           8
        .value_kind:     global_buffer
      - .address_space:  global
        .offset:         40
        .size:           8
        .value_kind:     global_buffer
      - .address_space:  global
        .offset:         48
        .size:           8
        .value_kind:     global_buffer
      - .offset:         56
        .size:           8
        .value_kind:     by_value
      - .offset:         64
        .size:           8
        .value_kind:     by_value
      - .offset:         72
        .size:           8
        .value_kind:     by_value
      - .offset:         80
        .size:           8
        .value_kind:     by_value
      - .offset:         88
        .size:           8
        .value_kind:     by_value
      - .offset:         96
        .size:           8
        .value_kind:     by_value
      - .offset:         104
        .size:           8
        .value_kind:     by_value
      - .offset:         112
        .size:           8
        .value_kind:     by_value
      - .offset:         120
        .size:           8
        .value_kind:     by_value
      - .offset:         128
        .size:           8
        .value_kind:     by_value
      - .offset:         136
        .size:           4
        .value_kind:     hidden_block_count_x
      - .offset:         140
        .size:           4
        .value_kind:     hidden_block_count_y
      - .offset:         144
        .size:           4
        .value_kind:     hidden_block_count_z
      - .offset:         148
        .size:           2
        .value_kind:     hidden_group_size_x
      - .offset:         150
        .size:           2
        .value_kind:     hidden_group_size_y
      - .offset:         152
        .size:           2
        .value_kind:     hidden_group_size_z
      - .offset:         154
        .size:           2
        .value_kind:     hidden_remainder_x
      - .offset:         156
        .size:           2
        .value_kind:     hidden_remainder_y
      - .offset:         158
        .size:           2
        .value_kind:     hidden_remainder_z
      - .offset:         176
        .size:           8
        .value_kind:     hidden_global_offset_x
      - .offset:         184
        .size:           8
        .value_kind:     hidden_global_offset_y
      - .offset:         192
        .size:           8
        .value_kind:     hidden_global_offset_z
      - .offset:         200
        .size:           2
        .value_kind:     hidden_grid_dims
    .group_segment_fixed_size: 0
    .kernarg_segment_align: 8
    .kernarg_segment_size: 392
    .language:       OpenCL C
    .language_version:
      - 2
      - 0
    .max_flat_workgroup_size: 1024
    .name:           _ZN2at6native12_GLOBAL__N_130segment_reduce_backward_kernelIdlEEvNS0_13ReductionTypeEPT_PKS4_S7_S7_PKT0_SA_llS4_lllllll
    .private_segment_fixed_size: 0
    .sgpr_count:     56
    .sgpr_spill_count: 0
    .symbol:         _ZN2at6native12_GLOBAL__N_130segment_reduce_backward_kernelIdlEEvNS0_13ReductionTypeEPT_PKS4_S7_S7_PKT0_SA_llS4_lllllll.kd
    .uniform_work_group_size: 1
    .uses_dynamic_stack: false
    .vgpr_count:     36
    .vgpr_spill_count: 0
    .wavefront_size: 64
  - .args:
      - .offset:         0
        .size:           4
        .value_kind:     by_value
      - .address_space:  global
        .offset:         8
        .size:           8
        .value_kind:     global_buffer
      - .address_space:  global
        .offset:         16
        .size:           8
        .value_kind:     global_buffer
      - .address_space:  global
        .offset:         24
        .size:           8
        .value_kind:     global_buffer
      - .address_space:  global
        .offset:         32
        .size:           8
        .value_kind:     global_buffer
      - .address_space:  global
        .offset:         40
        .size:           8
        .value_kind:     global_buffer
      - .address_space:  global
        .offset:         48
        .size:           8
        .value_kind:     global_buffer
      - .offset:         56
        .size:           8
        .value_kind:     by_value
      - .offset:         64
        .size:           8
        .value_kind:     by_value
      - .offset:         72
        .size:           4
        .value_kind:     by_value
      - .offset:         80
        .size:           8
        .value_kind:     by_value
      - .offset:         88
        .size:           8
        .value_kind:     by_value
      - .offset:         96
        .size:           8
        .value_kind:     by_value
      - .offset:         104
        .size:           8
        .value_kind:     by_value
      - .offset:         112
        .size:           8
        .value_kind:     by_value
      - .offset:         120
        .size:           8
        .value_kind:     by_value
      - .offset:         128
        .size:           8
        .value_kind:     by_value
      - .offset:         136
        .size:           4
        .value_kind:     hidden_block_count_x
      - .offset:         140
        .size:           4
        .value_kind:     hidden_block_count_y
      - .offset:         144
        .size:           4
        .value_kind:     hidden_block_count_z
      - .offset:         148
        .size:           2
        .value_kind:     hidden_group_size_x
      - .offset:         150
        .size:           2
        .value_kind:     hidden_group_size_y
      - .offset:         152
        .size:           2
        .value_kind:     hidden_group_size_z
      - .offset:         154
        .size:           2
        .value_kind:     hidden_remainder_x
      - .offset:         156
        .size:           2
        .value_kind:     hidden_remainder_y
      - .offset:         158
        .size:           2
        .value_kind:     hidden_remainder_z
      - .offset:         176
        .size:           8
        .value_kind:     hidden_global_offset_x
      - .offset:         184
        .size:           8
        .value_kind:     hidden_global_offset_y
      - .offset:         192
        .size:           8
        .value_kind:     hidden_global_offset_z
      - .offset:         200
        .size:           2
        .value_kind:     hidden_grid_dims
    .group_segment_fixed_size: 0
    .kernarg_segment_align: 8
    .kernarg_segment_size: 392
    .language:       OpenCL C
    .language_version:
      - 2
      - 0
    .max_flat_workgroup_size: 1024
    .name:           _ZN2at6native12_GLOBAL__N_130segment_reduce_backward_kernelIflEEvNS0_13ReductionTypeEPT_PKS4_S7_S7_PKT0_SA_llS4_lllllll
    .private_segment_fixed_size: 0
    .sgpr_count:     48
    .sgpr_spill_count: 0
    .symbol:         _ZN2at6native12_GLOBAL__N_130segment_reduce_backward_kernelIflEEvNS0_13ReductionTypeEPT_PKS4_S7_S7_PKT0_SA_llS4_lllllll.kd
    .uniform_work_group_size: 1
    .uses_dynamic_stack: false
    .vgpr_count:     31
    .vgpr_spill_count: 0
    .wavefront_size: 64
  - .args:
      - .offset:         0
        .size:           4
        .value_kind:     by_value
      - .address_space:  global
        .offset:         8
        .size:           8
        .value_kind:     global_buffer
      - .address_space:  global
        .offset:         16
        .size:           8
        .value_kind:     global_buffer
      - .address_space:  global
        .offset:         24
        .size:           8
        .value_kind:     global_buffer
      - .address_space:  global
        .offset:         32
        .size:           8
        .value_kind:     global_buffer
      - .address_space:  global
        .offset:         40
        .size:           8
        .value_kind:     global_buffer
      - .address_space:  global
        .offset:         48
        .size:           8
        .value_kind:     global_buffer
      - .offset:         56
        .size:           8
        .value_kind:     by_value
      - .offset:         64
        .size:           8
        .value_kind:     by_value
      - .offset:         72
        .size:           2
        .value_kind:     by_value
      - .offset:         80
        .size:           8
        .value_kind:     by_value
      - .offset:         88
        .size:           8
        .value_kind:     by_value
      - .offset:         96
        .size:           8
        .value_kind:     by_value
      - .offset:         104
        .size:           8
        .value_kind:     by_value
      - .offset:         112
        .size:           8
        .value_kind:     by_value
      - .offset:         120
        .size:           8
        .value_kind:     by_value
      - .offset:         128
        .size:           8
        .value_kind:     by_value
      - .offset:         136
        .size:           4
        .value_kind:     hidden_block_count_x
      - .offset:         140
        .size:           4
        .value_kind:     hidden_block_count_y
      - .offset:         144
        .size:           4
        .value_kind:     hidden_block_count_z
      - .offset:         148
        .size:           2
        .value_kind:     hidden_group_size_x
      - .offset:         150
        .size:           2
        .value_kind:     hidden_group_size_y
      - .offset:         152
        .size:           2
        .value_kind:     hidden_group_size_z
      - .offset:         154
        .size:           2
        .value_kind:     hidden_remainder_x
      - .offset:         156
        .size:           2
        .value_kind:     hidden_remainder_y
      - .offset:         158
        .size:           2
        .value_kind:     hidden_remainder_z
      - .offset:         176
        .size:           8
        .value_kind:     hidden_global_offset_x
      - .offset:         184
        .size:           8
        .value_kind:     hidden_global_offset_y
      - .offset:         192
        .size:           8
        .value_kind:     hidden_global_offset_z
      - .offset:         200
        .size:           2
        .value_kind:     hidden_grid_dims
    .group_segment_fixed_size: 0
    .kernarg_segment_align: 8
    .kernarg_segment_size: 392
    .language:       OpenCL C
    .language_version:
      - 2
      - 0
    .max_flat_workgroup_size: 1024
    .name:           _ZN2at6native12_GLOBAL__N_130segment_reduce_backward_kernelIN3c108BFloat16ElEEvNS0_13ReductionTypeEPT_PKS6_S9_S9_PKT0_SC_llS6_lllllll
    .private_segment_fixed_size: 0
    .sgpr_count:     48
    .sgpr_spill_count: 0
    .symbol:         _ZN2at6native12_GLOBAL__N_130segment_reduce_backward_kernelIN3c108BFloat16ElEEvNS0_13ReductionTypeEPT_PKS6_S9_S9_PKT0_SC_llS6_lllllll.kd
    .uniform_work_group_size: 1
    .uses_dynamic_stack: false
    .vgpr_count:     35
    .vgpr_spill_count: 0
    .wavefront_size: 64
  - .args:
      - .offset:         0
        .size:           4
        .value_kind:     by_value
      - .address_space:  global
        .offset:         8
        .size:           8
        .value_kind:     global_buffer
      - .address_space:  global
        .offset:         16
        .size:           8
        .value_kind:     global_buffer
      - .address_space:  global
        .offset:         24
        .size:           8
        .value_kind:     global_buffer
      - .address_space:  global
        .offset:         32
        .size:           8
        .value_kind:     global_buffer
      - .address_space:  global
        .offset:         40
        .size:           8
        .value_kind:     global_buffer
      - .address_space:  global
        .offset:         48
        .size:           8
        .value_kind:     global_buffer
      - .offset:         56
        .size:           8
        .value_kind:     by_value
      - .offset:         64
        .size:           8
        .value_kind:     by_value
      - .offset:         72
        .size:           2
        .value_kind:     by_value
      - .offset:         80
        .size:           8
        .value_kind:     by_value
      - .offset:         88
        .size:           8
        .value_kind:     by_value
      - .offset:         96
        .size:           8
        .value_kind:     by_value
      - .offset:         104
        .size:           8
        .value_kind:     by_value
      - .offset:         112
        .size:           8
        .value_kind:     by_value
      - .offset:         120
        .size:           8
        .value_kind:     by_value
      - .offset:         128
        .size:           8
        .value_kind:     by_value
      - .offset:         136
        .size:           4
        .value_kind:     hidden_block_count_x
      - .offset:         140
        .size:           4
        .value_kind:     hidden_block_count_y
      - .offset:         144
        .size:           4
        .value_kind:     hidden_block_count_z
      - .offset:         148
        .size:           2
        .value_kind:     hidden_group_size_x
      - .offset:         150
        .size:           2
        .value_kind:     hidden_group_size_y
      - .offset:         152
        .size:           2
        .value_kind:     hidden_group_size_z
      - .offset:         154
        .size:           2
        .value_kind:     hidden_remainder_x
      - .offset:         156
        .size:           2
        .value_kind:     hidden_remainder_y
      - .offset:         158
        .size:           2
        .value_kind:     hidden_remainder_z
      - .offset:         176
        .size:           8
        .value_kind:     hidden_global_offset_x
      - .offset:         184
        .size:           8
        .value_kind:     hidden_global_offset_y
      - .offset:         192
        .size:           8
        .value_kind:     hidden_global_offset_z
      - .offset:         200
        .size:           2
        .value_kind:     hidden_grid_dims
    .group_segment_fixed_size: 0
    .kernarg_segment_align: 8
    .kernarg_segment_size: 392
    .language:       OpenCL C
    .language_version:
      - 2
      - 0
    .max_flat_workgroup_size: 1024
    .name:           _ZN2at6native12_GLOBAL__N_130segment_reduce_backward_kernelIN3c104HalfElEEvNS0_13ReductionTypeEPT_PKS6_S9_S9_PKT0_SC_llS6_lllllll
    .private_segment_fixed_size: 0
    .sgpr_count:     48
    .sgpr_spill_count: 0
    .symbol:         _ZN2at6native12_GLOBAL__N_130segment_reduce_backward_kernelIN3c104HalfElEEvNS0_13ReductionTypeEPT_PKS6_S9_S9_PKT0_SC_llS6_lllllll.kd
    .uniform_work_group_size: 1
    .uses_dynamic_stack: false
    .vgpr_count:     33
    .vgpr_spill_count: 0
    .wavefront_size: 64
  - .args:
      - .offset:         0
        .size:           4
        .value_kind:     by_value
      - .address_space:  global
        .offset:         8
        .size:           8
        .value_kind:     global_buffer
      - .address_space:  global
        .offset:         16
        .size:           8
        .value_kind:     global_buffer
      - .address_space:  global
        .offset:         24
        .size:           8
        .value_kind:     global_buffer
      - .address_space:  global
        .offset:         32
        .size:           8
        .value_kind:     global_buffer
      - .offset:         40
        .size:           8
        .value_kind:     by_value
      - .offset:         48
        .size:           8
        .value_kind:     by_value
      - .offset:         56
        .size:           1
        .value_kind:     by_value
      - .offset:         64
        .size:           8
        .value_kind:     by_value
      - .offset:         72
        .size:           8
        .value_kind:     by_value
      - .offset:         80
        .size:           8
        .value_kind:     by_value
      - .offset:         88
        .size:           8
        .value_kind:     by_value
      - .offset:         96
        .size:           8
        .value_kind:     by_value
      - .offset:         104
        .size:           8
        .value_kind:     by_value
      - .offset:         112
        .size:           8
        .value_kind:     by_value
      - .offset:         120
        .size:           8
        .value_kind:     by_value
      - .offset:         128
        .size:           4
        .value_kind:     hidden_block_count_x
      - .offset:         132
        .size:           4
        .value_kind:     hidden_block_count_y
      - .offset:         136
        .size:           4
        .value_kind:     hidden_block_count_z
      - .offset:         140
        .size:           2
        .value_kind:     hidden_group_size_x
      - .offset:         142
        .size:           2
        .value_kind:     hidden_group_size_y
      - .offset:         144
        .size:           2
        .value_kind:     hidden_group_size_z
      - .offset:         146
        .size:           2
        .value_kind:     hidden_remainder_x
      - .offset:         148
        .size:           2
        .value_kind:     hidden_remainder_y
      - .offset:         150
        .size:           2
        .value_kind:     hidden_remainder_z
      - .offset:         168
        .size:           8
        .value_kind:     hidden_global_offset_x
      - .offset:         176
        .size:           8
        .value_kind:     hidden_global_offset_y
      - .offset:         184
        .size:           8
        .value_kind:     hidden_global_offset_z
      - .offset:         192
        .size:           2
        .value_kind:     hidden_grid_dims
    .group_segment_fixed_size: 0
    .kernarg_segment_align: 8
    .kernarg_segment_size: 384
    .language:       OpenCL C
    .language_version:
      - 2
      - 0
    .max_flat_workgroup_size: 1024
    .name:           _ZN2at6native12_GLOBAL__N_129segment_reduce_forward_kernelIdiEEvNS0_13ReductionTypeEPT_PKS4_PKT0_SA_llbS4_lllllll
    .private_segment_fixed_size: 0
    .sgpr_count:     48
    .sgpr_spill_count: 0
    .symbol:         _ZN2at6native12_GLOBAL__N_129segment_reduce_forward_kernelIdiEEvNS0_13ReductionTypeEPT_PKS4_PKT0_SA_llbS4_lllllll.kd
    .uniform_work_group_size: 1
    .uses_dynamic_stack: false
    .vgpr_count:     22
    .vgpr_spill_count: 0
    .wavefront_size: 64
  - .args:
      - .offset:         0
        .size:           56
        .value_kind:     by_value
    .group_segment_fixed_size: 0
    .kernarg_segment_align: 8
    .kernarg_segment_size: 56
    .language:       OpenCL C
    .language_version:
      - 2
      - 0
    .max_flat_workgroup_size: 256
    .name:           _ZN7rocprim17ROCPRIM_400000_NS6detail17trampoline_kernelINS0_14default_configENS1_32segmented_reduce_config_selectorIdEEZNS1_21segmented_reduce_implIS3_PKdPdPKidN6hipcub16HIPCUB_304000_NS6detail27convert_result_type_wrapperIS8_S9_N2at6native12_GLOBAL__N_19CustomMaxEEEEE10hipError_tPvRmT0_T1_jT2_SQ_T4_T3_P12ihipStream_tbEUlT_E_NS1_11comp_targetILNS1_3genE0ELNS1_11target_archE4294967295ELNS1_3gpuE0ELNS1_3repE0EEENS1_30default_config_static_selectorELNS0_4arch9wavefront6targetE1EEEvSP_
    .private_segment_fixed_size: 0
    .sgpr_count:     4
    .sgpr_spill_count: 0
    .symbol:         _ZN7rocprim17ROCPRIM_400000_NS6detail17trampoline_kernelINS0_14default_configENS1_32segmented_reduce_config_selectorIdEEZNS1_21segmented_reduce_implIS3_PKdPdPKidN6hipcub16HIPCUB_304000_NS6detail27convert_result_type_wrapperIS8_S9_N2at6native12_GLOBAL__N_19CustomMaxEEEEE10hipError_tPvRmT0_T1_jT2_SQ_T4_T3_P12ihipStream_tbEUlT_E_NS1_11comp_targetILNS1_3genE0ELNS1_11target_archE4294967295ELNS1_3gpuE0ELNS1_3repE0EEENS1_30default_config_static_selectorELNS0_4arch9wavefront6targetE1EEEvSP_.kd
    .uniform_work_group_size: 1
    .uses_dynamic_stack: false
    .vgpr_count:     0
    .vgpr_spill_count: 0
    .wavefront_size: 64
  - .args:
      - .offset:         0
        .size:           56
        .value_kind:     by_value
    .group_segment_fixed_size: 0
    .kernarg_segment_align: 8
    .kernarg_segment_size: 56
    .language:       OpenCL C
    .language_version:
      - 2
      - 0
    .max_flat_workgroup_size: 256
    .name:           _ZN7rocprim17ROCPRIM_400000_NS6detail17trampoline_kernelINS0_14default_configENS1_32segmented_reduce_config_selectorIdEEZNS1_21segmented_reduce_implIS3_PKdPdPKidN6hipcub16HIPCUB_304000_NS6detail27convert_result_type_wrapperIS8_S9_N2at6native12_GLOBAL__N_19CustomMaxEEEEE10hipError_tPvRmT0_T1_jT2_SQ_T4_T3_P12ihipStream_tbEUlT_E_NS1_11comp_targetILNS1_3genE5ELNS1_11target_archE942ELNS1_3gpuE9ELNS1_3repE0EEENS1_30default_config_static_selectorELNS0_4arch9wavefront6targetE1EEEvSP_
    .private_segment_fixed_size: 0
    .sgpr_count:     4
    .sgpr_spill_count: 0
    .symbol:         _ZN7rocprim17ROCPRIM_400000_NS6detail17trampoline_kernelINS0_14default_configENS1_32segmented_reduce_config_selectorIdEEZNS1_21segmented_reduce_implIS3_PKdPdPKidN6hipcub16HIPCUB_304000_NS6detail27convert_result_type_wrapperIS8_S9_N2at6native12_GLOBAL__N_19CustomMaxEEEEE10hipError_tPvRmT0_T1_jT2_SQ_T4_T3_P12ihipStream_tbEUlT_E_NS1_11comp_targetILNS1_3genE5ELNS1_11target_archE942ELNS1_3gpuE9ELNS1_3repE0EEENS1_30default_config_static_selectorELNS0_4arch9wavefront6targetE1EEEvSP_.kd
    .uniform_work_group_size: 1
    .uses_dynamic_stack: false
    .vgpr_count:     0
    .vgpr_spill_count: 0
    .wavefront_size: 64
  - .args:
      - .offset:         0
        .size:           56
        .value_kind:     by_value
    .group_segment_fixed_size: 0
    .kernarg_segment_align: 8
    .kernarg_segment_size: 56
    .language:       OpenCL C
    .language_version:
      - 2
      - 0
    .max_flat_workgroup_size: 256
    .name:           _ZN7rocprim17ROCPRIM_400000_NS6detail17trampoline_kernelINS0_14default_configENS1_32segmented_reduce_config_selectorIdEEZNS1_21segmented_reduce_implIS3_PKdPdPKidN6hipcub16HIPCUB_304000_NS6detail27convert_result_type_wrapperIS8_S9_N2at6native12_GLOBAL__N_19CustomMaxEEEEE10hipError_tPvRmT0_T1_jT2_SQ_T4_T3_P12ihipStream_tbEUlT_E_NS1_11comp_targetILNS1_3genE10ELNS1_11target_archE1201ELNS1_3gpuE5ELNS1_3repE0EEENS1_30default_config_static_selectorELNS0_4arch9wavefront6targetE1EEEvSP_
    .private_segment_fixed_size: 0
    .sgpr_count:     4
    .sgpr_spill_count: 0
    .symbol:         _ZN7rocprim17ROCPRIM_400000_NS6detail17trampoline_kernelINS0_14default_configENS1_32segmented_reduce_config_selectorIdEEZNS1_21segmented_reduce_implIS3_PKdPdPKidN6hipcub16HIPCUB_304000_NS6detail27convert_result_type_wrapperIS8_S9_N2at6native12_GLOBAL__N_19CustomMaxEEEEE10hipError_tPvRmT0_T1_jT2_SQ_T4_T3_P12ihipStream_tbEUlT_E_NS1_11comp_targetILNS1_3genE10ELNS1_11target_archE1201ELNS1_3gpuE5ELNS1_3repE0EEENS1_30default_config_static_selectorELNS0_4arch9wavefront6targetE1EEEvSP_.kd
    .uniform_work_group_size: 1
    .uses_dynamic_stack: false
    .vgpr_count:     0
    .vgpr_spill_count: 0
    .wavefront_size: 64
  - .args:
      - .offset:         0
        .size:           56
        .value_kind:     by_value
    .group_segment_fixed_size: 0
    .kernarg_segment_align: 8
    .kernarg_segment_size: 56
    .language:       OpenCL C
    .language_version:
      - 2
      - 0
    .max_flat_workgroup_size: 256
    .name:           _ZN7rocprim17ROCPRIM_400000_NS6detail17trampoline_kernelINS0_14default_configENS1_32segmented_reduce_config_selectorIdEEZNS1_21segmented_reduce_implIS3_PKdPdPKidN6hipcub16HIPCUB_304000_NS6detail27convert_result_type_wrapperIS8_S9_N2at6native12_GLOBAL__N_19CustomMaxEEEEE10hipError_tPvRmT0_T1_jT2_SQ_T4_T3_P12ihipStream_tbEUlT_E_NS1_11comp_targetILNS1_3genE4ELNS1_11target_archE910ELNS1_3gpuE8ELNS1_3repE0EEENS1_30default_config_static_selectorELNS0_4arch9wavefront6targetE1EEEvSP_
    .private_segment_fixed_size: 0
    .sgpr_count:     4
    .sgpr_spill_count: 0
    .symbol:         _ZN7rocprim17ROCPRIM_400000_NS6detail17trampoline_kernelINS0_14default_configENS1_32segmented_reduce_config_selectorIdEEZNS1_21segmented_reduce_implIS3_PKdPdPKidN6hipcub16HIPCUB_304000_NS6detail27convert_result_type_wrapperIS8_S9_N2at6native12_GLOBAL__N_19CustomMaxEEEEE10hipError_tPvRmT0_T1_jT2_SQ_T4_T3_P12ihipStream_tbEUlT_E_NS1_11comp_targetILNS1_3genE4ELNS1_11target_archE910ELNS1_3gpuE8ELNS1_3repE0EEENS1_30default_config_static_selectorELNS0_4arch9wavefront6targetE1EEEvSP_.kd
    .uniform_work_group_size: 1
    .uses_dynamic_stack: false
    .vgpr_count:     0
    .vgpr_spill_count: 0
    .wavefront_size: 64
  - .args:
      - .offset:         0
        .size:           56
        .value_kind:     by_value
    .group_segment_fixed_size: 0
    .kernarg_segment_align: 8
    .kernarg_segment_size: 56
    .language:       OpenCL C
    .language_version:
      - 2
      - 0
    .max_flat_workgroup_size: 256
    .name:           _ZN7rocprim17ROCPRIM_400000_NS6detail17trampoline_kernelINS0_14default_configENS1_32segmented_reduce_config_selectorIdEEZNS1_21segmented_reduce_implIS3_PKdPdPKidN6hipcub16HIPCUB_304000_NS6detail27convert_result_type_wrapperIS8_S9_N2at6native12_GLOBAL__N_19CustomMaxEEEEE10hipError_tPvRmT0_T1_jT2_SQ_T4_T3_P12ihipStream_tbEUlT_E_NS1_11comp_targetILNS1_3genE3ELNS1_11target_archE908ELNS1_3gpuE7ELNS1_3repE0EEENS1_30default_config_static_selectorELNS0_4arch9wavefront6targetE1EEEvSP_
    .private_segment_fixed_size: 0
    .sgpr_count:     4
    .sgpr_spill_count: 0
    .symbol:         _ZN7rocprim17ROCPRIM_400000_NS6detail17trampoline_kernelINS0_14default_configENS1_32segmented_reduce_config_selectorIdEEZNS1_21segmented_reduce_implIS3_PKdPdPKidN6hipcub16HIPCUB_304000_NS6detail27convert_result_type_wrapperIS8_S9_N2at6native12_GLOBAL__N_19CustomMaxEEEEE10hipError_tPvRmT0_T1_jT2_SQ_T4_T3_P12ihipStream_tbEUlT_E_NS1_11comp_targetILNS1_3genE3ELNS1_11target_archE908ELNS1_3gpuE7ELNS1_3repE0EEENS1_30default_config_static_selectorELNS0_4arch9wavefront6targetE1EEEvSP_.kd
    .uniform_work_group_size: 1
    .uses_dynamic_stack: false
    .vgpr_count:     0
    .vgpr_spill_count: 0
    .wavefront_size: 64
  - .args:
      - .offset:         0
        .size:           56
        .value_kind:     by_value
    .group_segment_fixed_size: 32
    .kernarg_segment_align: 8
    .kernarg_segment_size: 56
    .language:       OpenCL C
    .language_version:
      - 2
      - 0
    .max_flat_workgroup_size: 256
    .name:           _ZN7rocprim17ROCPRIM_400000_NS6detail17trampoline_kernelINS0_14default_configENS1_32segmented_reduce_config_selectorIdEEZNS1_21segmented_reduce_implIS3_PKdPdPKidN6hipcub16HIPCUB_304000_NS6detail27convert_result_type_wrapperIS8_S9_N2at6native12_GLOBAL__N_19CustomMaxEEEEE10hipError_tPvRmT0_T1_jT2_SQ_T4_T3_P12ihipStream_tbEUlT_E_NS1_11comp_targetILNS1_3genE2ELNS1_11target_archE906ELNS1_3gpuE6ELNS1_3repE0EEENS1_30default_config_static_selectorELNS0_4arch9wavefront6targetE1EEEvSP_
    .private_segment_fixed_size: 0
    .sgpr_count:     28
    .sgpr_spill_count: 0
    .symbol:         _ZN7rocprim17ROCPRIM_400000_NS6detail17trampoline_kernelINS0_14default_configENS1_32segmented_reduce_config_selectorIdEEZNS1_21segmented_reduce_implIS3_PKdPdPKidN6hipcub16HIPCUB_304000_NS6detail27convert_result_type_wrapperIS8_S9_N2at6native12_GLOBAL__N_19CustomMaxEEEEE10hipError_tPvRmT0_T1_jT2_SQ_T4_T3_P12ihipStream_tbEUlT_E_NS1_11comp_targetILNS1_3genE2ELNS1_11target_archE906ELNS1_3gpuE6ELNS1_3repE0EEENS1_30default_config_static_selectorELNS0_4arch9wavefront6targetE1EEEvSP_.kd
    .uniform_work_group_size: 1
    .uses_dynamic_stack: false
    .vgpr_count:     26
    .vgpr_spill_count: 0
    .wavefront_size: 64
  - .args:
      - .offset:         0
        .size:           56
        .value_kind:     by_value
    .group_segment_fixed_size: 0
    .kernarg_segment_align: 8
    .kernarg_segment_size: 56
    .language:       OpenCL C
    .language_version:
      - 2
      - 0
    .max_flat_workgroup_size: 256
    .name:           _ZN7rocprim17ROCPRIM_400000_NS6detail17trampoline_kernelINS0_14default_configENS1_32segmented_reduce_config_selectorIdEEZNS1_21segmented_reduce_implIS3_PKdPdPKidN6hipcub16HIPCUB_304000_NS6detail27convert_result_type_wrapperIS8_S9_N2at6native12_GLOBAL__N_19CustomMaxEEEEE10hipError_tPvRmT0_T1_jT2_SQ_T4_T3_P12ihipStream_tbEUlT_E_NS1_11comp_targetILNS1_3genE9ELNS1_11target_archE1100ELNS1_3gpuE3ELNS1_3repE0EEENS1_30default_config_static_selectorELNS0_4arch9wavefront6targetE1EEEvSP_
    .private_segment_fixed_size: 0
    .sgpr_count:     4
    .sgpr_spill_count: 0
    .symbol:         _ZN7rocprim17ROCPRIM_400000_NS6detail17trampoline_kernelINS0_14default_configENS1_32segmented_reduce_config_selectorIdEEZNS1_21segmented_reduce_implIS3_PKdPdPKidN6hipcub16HIPCUB_304000_NS6detail27convert_result_type_wrapperIS8_S9_N2at6native12_GLOBAL__N_19CustomMaxEEEEE10hipError_tPvRmT0_T1_jT2_SQ_T4_T3_P12ihipStream_tbEUlT_E_NS1_11comp_targetILNS1_3genE9ELNS1_11target_archE1100ELNS1_3gpuE3ELNS1_3repE0EEENS1_30default_config_static_selectorELNS0_4arch9wavefront6targetE1EEEvSP_.kd
    .uniform_work_group_size: 1
    .uses_dynamic_stack: false
    .vgpr_count:     0
    .vgpr_spill_count: 0
    .wavefront_size: 64
  - .args:
      - .offset:         0
        .size:           56
        .value_kind:     by_value
    .group_segment_fixed_size: 0
    .kernarg_segment_align: 8
    .kernarg_segment_size: 56
    .language:       OpenCL C
    .language_version:
      - 2
      - 0
    .max_flat_workgroup_size: 256
    .name:           _ZN7rocprim17ROCPRIM_400000_NS6detail17trampoline_kernelINS0_14default_configENS1_32segmented_reduce_config_selectorIdEEZNS1_21segmented_reduce_implIS3_PKdPdPKidN6hipcub16HIPCUB_304000_NS6detail27convert_result_type_wrapperIS8_S9_N2at6native12_GLOBAL__N_19CustomMaxEEEEE10hipError_tPvRmT0_T1_jT2_SQ_T4_T3_P12ihipStream_tbEUlT_E_NS1_11comp_targetILNS1_3genE8ELNS1_11target_archE1030ELNS1_3gpuE2ELNS1_3repE0EEENS1_30default_config_static_selectorELNS0_4arch9wavefront6targetE1EEEvSP_
    .private_segment_fixed_size: 0
    .sgpr_count:     4
    .sgpr_spill_count: 0
    .symbol:         _ZN7rocprim17ROCPRIM_400000_NS6detail17trampoline_kernelINS0_14default_configENS1_32segmented_reduce_config_selectorIdEEZNS1_21segmented_reduce_implIS3_PKdPdPKidN6hipcub16HIPCUB_304000_NS6detail27convert_result_type_wrapperIS8_S9_N2at6native12_GLOBAL__N_19CustomMaxEEEEE10hipError_tPvRmT0_T1_jT2_SQ_T4_T3_P12ihipStream_tbEUlT_E_NS1_11comp_targetILNS1_3genE8ELNS1_11target_archE1030ELNS1_3gpuE2ELNS1_3repE0EEENS1_30default_config_static_selectorELNS0_4arch9wavefront6targetE1EEEvSP_.kd
    .uniform_work_group_size: 1
    .uses_dynamic_stack: false
    .vgpr_count:     0
    .vgpr_spill_count: 0
    .wavefront_size: 64
  - .args:
      - .offset:         0
        .size:           56
        .value_kind:     by_value
    .group_segment_fixed_size: 0
    .kernarg_segment_align: 8
    .kernarg_segment_size: 56
    .language:       OpenCL C
    .language_version:
      - 2
      - 0
    .max_flat_workgroup_size: 256
    .name:           _ZN7rocprim17ROCPRIM_400000_NS6detail17trampoline_kernelINS0_14default_configENS1_32segmented_reduce_config_selectorIdEEZNS1_21segmented_reduce_implIS3_PKdPdPKidN6hipcub16HIPCUB_304000_NS6detail27convert_result_type_wrapperIS8_S9_N2at6native12_GLOBAL__N_19CustomSumEEEEE10hipError_tPvRmT0_T1_jT2_SQ_T4_T3_P12ihipStream_tbEUlT_E_NS1_11comp_targetILNS1_3genE0ELNS1_11target_archE4294967295ELNS1_3gpuE0ELNS1_3repE0EEENS1_30default_config_static_selectorELNS0_4arch9wavefront6targetE1EEEvSP_
    .private_segment_fixed_size: 0
    .sgpr_count:     4
    .sgpr_spill_count: 0
    .symbol:         _ZN7rocprim17ROCPRIM_400000_NS6detail17trampoline_kernelINS0_14default_configENS1_32segmented_reduce_config_selectorIdEEZNS1_21segmented_reduce_implIS3_PKdPdPKidN6hipcub16HIPCUB_304000_NS6detail27convert_result_type_wrapperIS8_S9_N2at6native12_GLOBAL__N_19CustomSumEEEEE10hipError_tPvRmT0_T1_jT2_SQ_T4_T3_P12ihipStream_tbEUlT_E_NS1_11comp_targetILNS1_3genE0ELNS1_11target_archE4294967295ELNS1_3gpuE0ELNS1_3repE0EEENS1_30default_config_static_selectorELNS0_4arch9wavefront6targetE1EEEvSP_.kd
    .uniform_work_group_size: 1
    .uses_dynamic_stack: false
    .vgpr_count:     0
    .vgpr_spill_count: 0
    .wavefront_size: 64
  - .args:
      - .offset:         0
        .size:           56
        .value_kind:     by_value
    .group_segment_fixed_size: 0
    .kernarg_segment_align: 8
    .kernarg_segment_size: 56
    .language:       OpenCL C
    .language_version:
      - 2
      - 0
    .max_flat_workgroup_size: 256
    .name:           _ZN7rocprim17ROCPRIM_400000_NS6detail17trampoline_kernelINS0_14default_configENS1_32segmented_reduce_config_selectorIdEEZNS1_21segmented_reduce_implIS3_PKdPdPKidN6hipcub16HIPCUB_304000_NS6detail27convert_result_type_wrapperIS8_S9_N2at6native12_GLOBAL__N_19CustomSumEEEEE10hipError_tPvRmT0_T1_jT2_SQ_T4_T3_P12ihipStream_tbEUlT_E_NS1_11comp_targetILNS1_3genE5ELNS1_11target_archE942ELNS1_3gpuE9ELNS1_3repE0EEENS1_30default_config_static_selectorELNS0_4arch9wavefront6targetE1EEEvSP_
    .private_segment_fixed_size: 0
    .sgpr_count:     4
    .sgpr_spill_count: 0
    .symbol:         _ZN7rocprim17ROCPRIM_400000_NS6detail17trampoline_kernelINS0_14default_configENS1_32segmented_reduce_config_selectorIdEEZNS1_21segmented_reduce_implIS3_PKdPdPKidN6hipcub16HIPCUB_304000_NS6detail27convert_result_type_wrapperIS8_S9_N2at6native12_GLOBAL__N_19CustomSumEEEEE10hipError_tPvRmT0_T1_jT2_SQ_T4_T3_P12ihipStream_tbEUlT_E_NS1_11comp_targetILNS1_3genE5ELNS1_11target_archE942ELNS1_3gpuE9ELNS1_3repE0EEENS1_30default_config_static_selectorELNS0_4arch9wavefront6targetE1EEEvSP_.kd
    .uniform_work_group_size: 1
    .uses_dynamic_stack: false
    .vgpr_count:     0
    .vgpr_spill_count: 0
    .wavefront_size: 64
  - .args:
      - .offset:         0
        .size:           56
        .value_kind:     by_value
    .group_segment_fixed_size: 0
    .kernarg_segment_align: 8
    .kernarg_segment_size: 56
    .language:       OpenCL C
    .language_version:
      - 2
      - 0
    .max_flat_workgroup_size: 256
    .name:           _ZN7rocprim17ROCPRIM_400000_NS6detail17trampoline_kernelINS0_14default_configENS1_32segmented_reduce_config_selectorIdEEZNS1_21segmented_reduce_implIS3_PKdPdPKidN6hipcub16HIPCUB_304000_NS6detail27convert_result_type_wrapperIS8_S9_N2at6native12_GLOBAL__N_19CustomSumEEEEE10hipError_tPvRmT0_T1_jT2_SQ_T4_T3_P12ihipStream_tbEUlT_E_NS1_11comp_targetILNS1_3genE10ELNS1_11target_archE1201ELNS1_3gpuE5ELNS1_3repE0EEENS1_30default_config_static_selectorELNS0_4arch9wavefront6targetE1EEEvSP_
    .private_segment_fixed_size: 0
    .sgpr_count:     4
    .sgpr_spill_count: 0
    .symbol:         _ZN7rocprim17ROCPRIM_400000_NS6detail17trampoline_kernelINS0_14default_configENS1_32segmented_reduce_config_selectorIdEEZNS1_21segmented_reduce_implIS3_PKdPdPKidN6hipcub16HIPCUB_304000_NS6detail27convert_result_type_wrapperIS8_S9_N2at6native12_GLOBAL__N_19CustomSumEEEEE10hipError_tPvRmT0_T1_jT2_SQ_T4_T3_P12ihipStream_tbEUlT_E_NS1_11comp_targetILNS1_3genE10ELNS1_11target_archE1201ELNS1_3gpuE5ELNS1_3repE0EEENS1_30default_config_static_selectorELNS0_4arch9wavefront6targetE1EEEvSP_.kd
    .uniform_work_group_size: 1
    .uses_dynamic_stack: false
    .vgpr_count:     0
    .vgpr_spill_count: 0
    .wavefront_size: 64
  - .args:
      - .offset:         0
        .size:           56
        .value_kind:     by_value
    .group_segment_fixed_size: 0
    .kernarg_segment_align: 8
    .kernarg_segment_size: 56
    .language:       OpenCL C
    .language_version:
      - 2
      - 0
    .max_flat_workgroup_size: 256
    .name:           _ZN7rocprim17ROCPRIM_400000_NS6detail17trampoline_kernelINS0_14default_configENS1_32segmented_reduce_config_selectorIdEEZNS1_21segmented_reduce_implIS3_PKdPdPKidN6hipcub16HIPCUB_304000_NS6detail27convert_result_type_wrapperIS8_S9_N2at6native12_GLOBAL__N_19CustomSumEEEEE10hipError_tPvRmT0_T1_jT2_SQ_T4_T3_P12ihipStream_tbEUlT_E_NS1_11comp_targetILNS1_3genE4ELNS1_11target_archE910ELNS1_3gpuE8ELNS1_3repE0EEENS1_30default_config_static_selectorELNS0_4arch9wavefront6targetE1EEEvSP_
    .private_segment_fixed_size: 0
    .sgpr_count:     4
    .sgpr_spill_count: 0
    .symbol:         _ZN7rocprim17ROCPRIM_400000_NS6detail17trampoline_kernelINS0_14default_configENS1_32segmented_reduce_config_selectorIdEEZNS1_21segmented_reduce_implIS3_PKdPdPKidN6hipcub16HIPCUB_304000_NS6detail27convert_result_type_wrapperIS8_S9_N2at6native12_GLOBAL__N_19CustomSumEEEEE10hipError_tPvRmT0_T1_jT2_SQ_T4_T3_P12ihipStream_tbEUlT_E_NS1_11comp_targetILNS1_3genE4ELNS1_11target_archE910ELNS1_3gpuE8ELNS1_3repE0EEENS1_30default_config_static_selectorELNS0_4arch9wavefront6targetE1EEEvSP_.kd
    .uniform_work_group_size: 1
    .uses_dynamic_stack: false
    .vgpr_count:     0
    .vgpr_spill_count: 0
    .wavefront_size: 64
  - .args:
      - .offset:         0
        .size:           56
        .value_kind:     by_value
    .group_segment_fixed_size: 0
    .kernarg_segment_align: 8
    .kernarg_segment_size: 56
    .language:       OpenCL C
    .language_version:
      - 2
      - 0
    .max_flat_workgroup_size: 256
    .name:           _ZN7rocprim17ROCPRIM_400000_NS6detail17trampoline_kernelINS0_14default_configENS1_32segmented_reduce_config_selectorIdEEZNS1_21segmented_reduce_implIS3_PKdPdPKidN6hipcub16HIPCUB_304000_NS6detail27convert_result_type_wrapperIS8_S9_N2at6native12_GLOBAL__N_19CustomSumEEEEE10hipError_tPvRmT0_T1_jT2_SQ_T4_T3_P12ihipStream_tbEUlT_E_NS1_11comp_targetILNS1_3genE3ELNS1_11target_archE908ELNS1_3gpuE7ELNS1_3repE0EEENS1_30default_config_static_selectorELNS0_4arch9wavefront6targetE1EEEvSP_
    .private_segment_fixed_size: 0
    .sgpr_count:     4
    .sgpr_spill_count: 0
    .symbol:         _ZN7rocprim17ROCPRIM_400000_NS6detail17trampoline_kernelINS0_14default_configENS1_32segmented_reduce_config_selectorIdEEZNS1_21segmented_reduce_implIS3_PKdPdPKidN6hipcub16HIPCUB_304000_NS6detail27convert_result_type_wrapperIS8_S9_N2at6native12_GLOBAL__N_19CustomSumEEEEE10hipError_tPvRmT0_T1_jT2_SQ_T4_T3_P12ihipStream_tbEUlT_E_NS1_11comp_targetILNS1_3genE3ELNS1_11target_archE908ELNS1_3gpuE7ELNS1_3repE0EEENS1_30default_config_static_selectorELNS0_4arch9wavefront6targetE1EEEvSP_.kd
    .uniform_work_group_size: 1
    .uses_dynamic_stack: false
    .vgpr_count:     0
    .vgpr_spill_count: 0
    .wavefront_size: 64
  - .args:
      - .offset:         0
        .size:           56
        .value_kind:     by_value
    .group_segment_fixed_size: 32
    .kernarg_segment_align: 8
    .kernarg_segment_size: 56
    .language:       OpenCL C
    .language_version:
      - 2
      - 0
    .max_flat_workgroup_size: 256
    .name:           _ZN7rocprim17ROCPRIM_400000_NS6detail17trampoline_kernelINS0_14default_configENS1_32segmented_reduce_config_selectorIdEEZNS1_21segmented_reduce_implIS3_PKdPdPKidN6hipcub16HIPCUB_304000_NS6detail27convert_result_type_wrapperIS8_S9_N2at6native12_GLOBAL__N_19CustomSumEEEEE10hipError_tPvRmT0_T1_jT2_SQ_T4_T3_P12ihipStream_tbEUlT_E_NS1_11comp_targetILNS1_3genE2ELNS1_11target_archE906ELNS1_3gpuE6ELNS1_3repE0EEENS1_30default_config_static_selectorELNS0_4arch9wavefront6targetE1EEEvSP_
    .private_segment_fixed_size: 0
    .sgpr_count:     38
    .sgpr_spill_count: 0
    .symbol:         _ZN7rocprim17ROCPRIM_400000_NS6detail17trampoline_kernelINS0_14default_configENS1_32segmented_reduce_config_selectorIdEEZNS1_21segmented_reduce_implIS3_PKdPdPKidN6hipcub16HIPCUB_304000_NS6detail27convert_result_type_wrapperIS8_S9_N2at6native12_GLOBAL__N_19CustomSumEEEEE10hipError_tPvRmT0_T1_jT2_SQ_T4_T3_P12ihipStream_tbEUlT_E_NS1_11comp_targetILNS1_3genE2ELNS1_11target_archE906ELNS1_3gpuE6ELNS1_3repE0EEENS1_30default_config_static_selectorELNS0_4arch9wavefront6targetE1EEEvSP_.kd
    .uniform_work_group_size: 1
    .uses_dynamic_stack: false
    .vgpr_count:     24
    .vgpr_spill_count: 0
    .wavefront_size: 64
  - .args:
      - .offset:         0
        .size:           56
        .value_kind:     by_value
    .group_segment_fixed_size: 0
    .kernarg_segment_align: 8
    .kernarg_segment_size: 56
    .language:       OpenCL C
    .language_version:
      - 2
      - 0
    .max_flat_workgroup_size: 256
    .name:           _ZN7rocprim17ROCPRIM_400000_NS6detail17trampoline_kernelINS0_14default_configENS1_32segmented_reduce_config_selectorIdEEZNS1_21segmented_reduce_implIS3_PKdPdPKidN6hipcub16HIPCUB_304000_NS6detail27convert_result_type_wrapperIS8_S9_N2at6native12_GLOBAL__N_19CustomSumEEEEE10hipError_tPvRmT0_T1_jT2_SQ_T4_T3_P12ihipStream_tbEUlT_E_NS1_11comp_targetILNS1_3genE9ELNS1_11target_archE1100ELNS1_3gpuE3ELNS1_3repE0EEENS1_30default_config_static_selectorELNS0_4arch9wavefront6targetE1EEEvSP_
    .private_segment_fixed_size: 0
    .sgpr_count:     4
    .sgpr_spill_count: 0
    .symbol:         _ZN7rocprim17ROCPRIM_400000_NS6detail17trampoline_kernelINS0_14default_configENS1_32segmented_reduce_config_selectorIdEEZNS1_21segmented_reduce_implIS3_PKdPdPKidN6hipcub16HIPCUB_304000_NS6detail27convert_result_type_wrapperIS8_S9_N2at6native12_GLOBAL__N_19CustomSumEEEEE10hipError_tPvRmT0_T1_jT2_SQ_T4_T3_P12ihipStream_tbEUlT_E_NS1_11comp_targetILNS1_3genE9ELNS1_11target_archE1100ELNS1_3gpuE3ELNS1_3repE0EEENS1_30default_config_static_selectorELNS0_4arch9wavefront6targetE1EEEvSP_.kd
    .uniform_work_group_size: 1
    .uses_dynamic_stack: false
    .vgpr_count:     0
    .vgpr_spill_count: 0
    .wavefront_size: 64
  - .args:
      - .offset:         0
        .size:           56
        .value_kind:     by_value
    .group_segment_fixed_size: 0
    .kernarg_segment_align: 8
    .kernarg_segment_size: 56
    .language:       OpenCL C
    .language_version:
      - 2
      - 0
    .max_flat_workgroup_size: 256
    .name:           _ZN7rocprim17ROCPRIM_400000_NS6detail17trampoline_kernelINS0_14default_configENS1_32segmented_reduce_config_selectorIdEEZNS1_21segmented_reduce_implIS3_PKdPdPKidN6hipcub16HIPCUB_304000_NS6detail27convert_result_type_wrapperIS8_S9_N2at6native12_GLOBAL__N_19CustomSumEEEEE10hipError_tPvRmT0_T1_jT2_SQ_T4_T3_P12ihipStream_tbEUlT_E_NS1_11comp_targetILNS1_3genE8ELNS1_11target_archE1030ELNS1_3gpuE2ELNS1_3repE0EEENS1_30default_config_static_selectorELNS0_4arch9wavefront6targetE1EEEvSP_
    .private_segment_fixed_size: 0
    .sgpr_count:     4
    .sgpr_spill_count: 0
    .symbol:         _ZN7rocprim17ROCPRIM_400000_NS6detail17trampoline_kernelINS0_14default_configENS1_32segmented_reduce_config_selectorIdEEZNS1_21segmented_reduce_implIS3_PKdPdPKidN6hipcub16HIPCUB_304000_NS6detail27convert_result_type_wrapperIS8_S9_N2at6native12_GLOBAL__N_19CustomSumEEEEE10hipError_tPvRmT0_T1_jT2_SQ_T4_T3_P12ihipStream_tbEUlT_E_NS1_11comp_targetILNS1_3genE8ELNS1_11target_archE1030ELNS1_3gpuE2ELNS1_3repE0EEENS1_30default_config_static_selectorELNS0_4arch9wavefront6targetE1EEEvSP_.kd
    .uniform_work_group_size: 1
    .uses_dynamic_stack: false
    .vgpr_count:     0
    .vgpr_spill_count: 0
    .wavefront_size: 64
  - .args:
      - .address_space:  global
        .offset:         0
        .size:           8
        .value_kind:     global_buffer
      - .address_space:  global
        .offset:         8
        .size:           8
        .value_kind:     global_buffer
      - .offset:         16
        .size:           8
        .value_kind:     by_value
      - .offset:         24
        .size:           1
        .value_kind:     by_value
      - .offset:         32
        .size:           8
        .value_kind:     by_value
      - .offset:         40
        .size:           4
        .value_kind:     hidden_block_count_x
      - .offset:         44
        .size:           4
        .value_kind:     hidden_block_count_y
      - .offset:         48
        .size:           4
        .value_kind:     hidden_block_count_z
      - .offset:         52
        .size:           2
        .value_kind:     hidden_group_size_x
      - .offset:         54
        .size:           2
        .value_kind:     hidden_group_size_y
      - .offset:         56
        .size:           2
        .value_kind:     hidden_group_size_z
      - .offset:         58
        .size:           2
        .value_kind:     hidden_remainder_x
      - .offset:         60
        .size:           2
        .value_kind:     hidden_remainder_y
      - .offset:         62
        .size:           2
        .value_kind:     hidden_remainder_z
      - .offset:         80
        .size:           8
        .value_kind:     hidden_global_offset_x
      - .offset:         88
        .size:           8
        .value_kind:     hidden_global_offset_y
      - .offset:         96
        .size:           8
        .value_kind:     hidden_global_offset_z
      - .offset:         104
        .size:           2
        .value_kind:     hidden_grid_dims
    .group_segment_fixed_size: 0
    .kernarg_segment_align: 8
    .kernarg_segment_size: 296
    .language:       OpenCL C
    .language_version:
      - 2
      - 0
    .max_flat_workgroup_size: 1024
    .name:           _ZN2at6native12_GLOBAL__N_119post_sum_div_kernelIdiEEvPT_PKT0_lbS3_
    .private_segment_fixed_size: 0
    .sgpr_count:     32
    .sgpr_spill_count: 0
    .symbol:         _ZN2at6native12_GLOBAL__N_119post_sum_div_kernelIdiEEvPT_PKT0_lbS3_.kd
    .uniform_work_group_size: 1
    .uses_dynamic_stack: false
    .vgpr_count:     19
    .vgpr_spill_count: 0
    .wavefront_size: 64
  - .args:
      - .offset:         0
        .size:           56
        .value_kind:     by_value
    .group_segment_fixed_size: 0
    .kernarg_segment_align: 8
    .kernarg_segment_size: 56
    .language:       OpenCL C
    .language_version:
      - 2
      - 0
    .max_flat_workgroup_size: 256
    .name:           _ZN7rocprim17ROCPRIM_400000_NS6detail17trampoline_kernelINS0_14default_configENS1_32segmented_reduce_config_selectorIdEEZNS1_21segmented_reduce_implIS3_PKdPdPKidN6hipcub16HIPCUB_304000_NS6detail27convert_result_type_wrapperIS8_S9_N2at6native12_GLOBAL__N_19CustomMinEEEEE10hipError_tPvRmT0_T1_jT2_SQ_T4_T3_P12ihipStream_tbEUlT_E_NS1_11comp_targetILNS1_3genE0ELNS1_11target_archE4294967295ELNS1_3gpuE0ELNS1_3repE0EEENS1_30default_config_static_selectorELNS0_4arch9wavefront6targetE1EEEvSP_
    .private_segment_fixed_size: 0
    .sgpr_count:     4
    .sgpr_spill_count: 0
    .symbol:         _ZN7rocprim17ROCPRIM_400000_NS6detail17trampoline_kernelINS0_14default_configENS1_32segmented_reduce_config_selectorIdEEZNS1_21segmented_reduce_implIS3_PKdPdPKidN6hipcub16HIPCUB_304000_NS6detail27convert_result_type_wrapperIS8_S9_N2at6native12_GLOBAL__N_19CustomMinEEEEE10hipError_tPvRmT0_T1_jT2_SQ_T4_T3_P12ihipStream_tbEUlT_E_NS1_11comp_targetILNS1_3genE0ELNS1_11target_archE4294967295ELNS1_3gpuE0ELNS1_3repE0EEENS1_30default_config_static_selectorELNS0_4arch9wavefront6targetE1EEEvSP_.kd
    .uniform_work_group_size: 1
    .uses_dynamic_stack: false
    .vgpr_count:     0
    .vgpr_spill_count: 0
    .wavefront_size: 64
  - .args:
      - .offset:         0
        .size:           56
        .value_kind:     by_value
    .group_segment_fixed_size: 0
    .kernarg_segment_align: 8
    .kernarg_segment_size: 56
    .language:       OpenCL C
    .language_version:
      - 2
      - 0
    .max_flat_workgroup_size: 256
    .name:           _ZN7rocprim17ROCPRIM_400000_NS6detail17trampoline_kernelINS0_14default_configENS1_32segmented_reduce_config_selectorIdEEZNS1_21segmented_reduce_implIS3_PKdPdPKidN6hipcub16HIPCUB_304000_NS6detail27convert_result_type_wrapperIS8_S9_N2at6native12_GLOBAL__N_19CustomMinEEEEE10hipError_tPvRmT0_T1_jT2_SQ_T4_T3_P12ihipStream_tbEUlT_E_NS1_11comp_targetILNS1_3genE5ELNS1_11target_archE942ELNS1_3gpuE9ELNS1_3repE0EEENS1_30default_config_static_selectorELNS0_4arch9wavefront6targetE1EEEvSP_
    .private_segment_fixed_size: 0
    .sgpr_count:     4
    .sgpr_spill_count: 0
    .symbol:         _ZN7rocprim17ROCPRIM_400000_NS6detail17trampoline_kernelINS0_14default_configENS1_32segmented_reduce_config_selectorIdEEZNS1_21segmented_reduce_implIS3_PKdPdPKidN6hipcub16HIPCUB_304000_NS6detail27convert_result_type_wrapperIS8_S9_N2at6native12_GLOBAL__N_19CustomMinEEEEE10hipError_tPvRmT0_T1_jT2_SQ_T4_T3_P12ihipStream_tbEUlT_E_NS1_11comp_targetILNS1_3genE5ELNS1_11target_archE942ELNS1_3gpuE9ELNS1_3repE0EEENS1_30default_config_static_selectorELNS0_4arch9wavefront6targetE1EEEvSP_.kd
    .uniform_work_group_size: 1
    .uses_dynamic_stack: false
    .vgpr_count:     0
    .vgpr_spill_count: 0
    .wavefront_size: 64
  - .args:
      - .offset:         0
        .size:           56
        .value_kind:     by_value
    .group_segment_fixed_size: 0
    .kernarg_segment_align: 8
    .kernarg_segment_size: 56
    .language:       OpenCL C
    .language_version:
      - 2
      - 0
    .max_flat_workgroup_size: 256
    .name:           _ZN7rocprim17ROCPRIM_400000_NS6detail17trampoline_kernelINS0_14default_configENS1_32segmented_reduce_config_selectorIdEEZNS1_21segmented_reduce_implIS3_PKdPdPKidN6hipcub16HIPCUB_304000_NS6detail27convert_result_type_wrapperIS8_S9_N2at6native12_GLOBAL__N_19CustomMinEEEEE10hipError_tPvRmT0_T1_jT2_SQ_T4_T3_P12ihipStream_tbEUlT_E_NS1_11comp_targetILNS1_3genE10ELNS1_11target_archE1201ELNS1_3gpuE5ELNS1_3repE0EEENS1_30default_config_static_selectorELNS0_4arch9wavefront6targetE1EEEvSP_
    .private_segment_fixed_size: 0
    .sgpr_count:     4
    .sgpr_spill_count: 0
    .symbol:         _ZN7rocprim17ROCPRIM_400000_NS6detail17trampoline_kernelINS0_14default_configENS1_32segmented_reduce_config_selectorIdEEZNS1_21segmented_reduce_implIS3_PKdPdPKidN6hipcub16HIPCUB_304000_NS6detail27convert_result_type_wrapperIS8_S9_N2at6native12_GLOBAL__N_19CustomMinEEEEE10hipError_tPvRmT0_T1_jT2_SQ_T4_T3_P12ihipStream_tbEUlT_E_NS1_11comp_targetILNS1_3genE10ELNS1_11target_archE1201ELNS1_3gpuE5ELNS1_3repE0EEENS1_30default_config_static_selectorELNS0_4arch9wavefront6targetE1EEEvSP_.kd
    .uniform_work_group_size: 1
    .uses_dynamic_stack: false
    .vgpr_count:     0
    .vgpr_spill_count: 0
    .wavefront_size: 64
  - .args:
      - .offset:         0
        .size:           56
        .value_kind:     by_value
    .group_segment_fixed_size: 0
    .kernarg_segment_align: 8
    .kernarg_segment_size: 56
    .language:       OpenCL C
    .language_version:
      - 2
      - 0
    .max_flat_workgroup_size: 256
    .name:           _ZN7rocprim17ROCPRIM_400000_NS6detail17trampoline_kernelINS0_14default_configENS1_32segmented_reduce_config_selectorIdEEZNS1_21segmented_reduce_implIS3_PKdPdPKidN6hipcub16HIPCUB_304000_NS6detail27convert_result_type_wrapperIS8_S9_N2at6native12_GLOBAL__N_19CustomMinEEEEE10hipError_tPvRmT0_T1_jT2_SQ_T4_T3_P12ihipStream_tbEUlT_E_NS1_11comp_targetILNS1_3genE4ELNS1_11target_archE910ELNS1_3gpuE8ELNS1_3repE0EEENS1_30default_config_static_selectorELNS0_4arch9wavefront6targetE1EEEvSP_
    .private_segment_fixed_size: 0
    .sgpr_count:     4
    .sgpr_spill_count: 0
    .symbol:         _ZN7rocprim17ROCPRIM_400000_NS6detail17trampoline_kernelINS0_14default_configENS1_32segmented_reduce_config_selectorIdEEZNS1_21segmented_reduce_implIS3_PKdPdPKidN6hipcub16HIPCUB_304000_NS6detail27convert_result_type_wrapperIS8_S9_N2at6native12_GLOBAL__N_19CustomMinEEEEE10hipError_tPvRmT0_T1_jT2_SQ_T4_T3_P12ihipStream_tbEUlT_E_NS1_11comp_targetILNS1_3genE4ELNS1_11target_archE910ELNS1_3gpuE8ELNS1_3repE0EEENS1_30default_config_static_selectorELNS0_4arch9wavefront6targetE1EEEvSP_.kd
    .uniform_work_group_size: 1
    .uses_dynamic_stack: false
    .vgpr_count:     0
    .vgpr_spill_count: 0
    .wavefront_size: 64
  - .args:
      - .offset:         0
        .size:           56
        .value_kind:     by_value
    .group_segment_fixed_size: 0
    .kernarg_segment_align: 8
    .kernarg_segment_size: 56
    .language:       OpenCL C
    .language_version:
      - 2
      - 0
    .max_flat_workgroup_size: 256
    .name:           _ZN7rocprim17ROCPRIM_400000_NS6detail17trampoline_kernelINS0_14default_configENS1_32segmented_reduce_config_selectorIdEEZNS1_21segmented_reduce_implIS3_PKdPdPKidN6hipcub16HIPCUB_304000_NS6detail27convert_result_type_wrapperIS8_S9_N2at6native12_GLOBAL__N_19CustomMinEEEEE10hipError_tPvRmT0_T1_jT2_SQ_T4_T3_P12ihipStream_tbEUlT_E_NS1_11comp_targetILNS1_3genE3ELNS1_11target_archE908ELNS1_3gpuE7ELNS1_3repE0EEENS1_30default_config_static_selectorELNS0_4arch9wavefront6targetE1EEEvSP_
    .private_segment_fixed_size: 0
    .sgpr_count:     4
    .sgpr_spill_count: 0
    .symbol:         _ZN7rocprim17ROCPRIM_400000_NS6detail17trampoline_kernelINS0_14default_configENS1_32segmented_reduce_config_selectorIdEEZNS1_21segmented_reduce_implIS3_PKdPdPKidN6hipcub16HIPCUB_304000_NS6detail27convert_result_type_wrapperIS8_S9_N2at6native12_GLOBAL__N_19CustomMinEEEEE10hipError_tPvRmT0_T1_jT2_SQ_T4_T3_P12ihipStream_tbEUlT_E_NS1_11comp_targetILNS1_3genE3ELNS1_11target_archE908ELNS1_3gpuE7ELNS1_3repE0EEENS1_30default_config_static_selectorELNS0_4arch9wavefront6targetE1EEEvSP_.kd
    .uniform_work_group_size: 1
    .uses_dynamic_stack: false
    .vgpr_count:     0
    .vgpr_spill_count: 0
    .wavefront_size: 64
  - .args:
      - .offset:         0
        .size:           56
        .value_kind:     by_value
    .group_segment_fixed_size: 32
    .kernarg_segment_align: 8
    .kernarg_segment_size: 56
    .language:       OpenCL C
    .language_version:
      - 2
      - 0
    .max_flat_workgroup_size: 256
    .name:           _ZN7rocprim17ROCPRIM_400000_NS6detail17trampoline_kernelINS0_14default_configENS1_32segmented_reduce_config_selectorIdEEZNS1_21segmented_reduce_implIS3_PKdPdPKidN6hipcub16HIPCUB_304000_NS6detail27convert_result_type_wrapperIS8_S9_N2at6native12_GLOBAL__N_19CustomMinEEEEE10hipError_tPvRmT0_T1_jT2_SQ_T4_T3_P12ihipStream_tbEUlT_E_NS1_11comp_targetILNS1_3genE2ELNS1_11target_archE906ELNS1_3gpuE6ELNS1_3repE0EEENS1_30default_config_static_selectorELNS0_4arch9wavefront6targetE1EEEvSP_
    .private_segment_fixed_size: 0
    .sgpr_count:     28
    .sgpr_spill_count: 0
    .symbol:         _ZN7rocprim17ROCPRIM_400000_NS6detail17trampoline_kernelINS0_14default_configENS1_32segmented_reduce_config_selectorIdEEZNS1_21segmented_reduce_implIS3_PKdPdPKidN6hipcub16HIPCUB_304000_NS6detail27convert_result_type_wrapperIS8_S9_N2at6native12_GLOBAL__N_19CustomMinEEEEE10hipError_tPvRmT0_T1_jT2_SQ_T4_T3_P12ihipStream_tbEUlT_E_NS1_11comp_targetILNS1_3genE2ELNS1_11target_archE906ELNS1_3gpuE6ELNS1_3repE0EEENS1_30default_config_static_selectorELNS0_4arch9wavefront6targetE1EEEvSP_.kd
    .uniform_work_group_size: 1
    .uses_dynamic_stack: false
    .vgpr_count:     26
    .vgpr_spill_count: 0
    .wavefront_size: 64
  - .args:
      - .offset:         0
        .size:           56
        .value_kind:     by_value
    .group_segment_fixed_size: 0
    .kernarg_segment_align: 8
    .kernarg_segment_size: 56
    .language:       OpenCL C
    .language_version:
      - 2
      - 0
    .max_flat_workgroup_size: 256
    .name:           _ZN7rocprim17ROCPRIM_400000_NS6detail17trampoline_kernelINS0_14default_configENS1_32segmented_reduce_config_selectorIdEEZNS1_21segmented_reduce_implIS3_PKdPdPKidN6hipcub16HIPCUB_304000_NS6detail27convert_result_type_wrapperIS8_S9_N2at6native12_GLOBAL__N_19CustomMinEEEEE10hipError_tPvRmT0_T1_jT2_SQ_T4_T3_P12ihipStream_tbEUlT_E_NS1_11comp_targetILNS1_3genE9ELNS1_11target_archE1100ELNS1_3gpuE3ELNS1_3repE0EEENS1_30default_config_static_selectorELNS0_4arch9wavefront6targetE1EEEvSP_
    .private_segment_fixed_size: 0
    .sgpr_count:     4
    .sgpr_spill_count: 0
    .symbol:         _ZN7rocprim17ROCPRIM_400000_NS6detail17trampoline_kernelINS0_14default_configENS1_32segmented_reduce_config_selectorIdEEZNS1_21segmented_reduce_implIS3_PKdPdPKidN6hipcub16HIPCUB_304000_NS6detail27convert_result_type_wrapperIS8_S9_N2at6native12_GLOBAL__N_19CustomMinEEEEE10hipError_tPvRmT0_T1_jT2_SQ_T4_T3_P12ihipStream_tbEUlT_E_NS1_11comp_targetILNS1_3genE9ELNS1_11target_archE1100ELNS1_3gpuE3ELNS1_3repE0EEENS1_30default_config_static_selectorELNS0_4arch9wavefront6targetE1EEEvSP_.kd
    .uniform_work_group_size: 1
    .uses_dynamic_stack: false
    .vgpr_count:     0
    .vgpr_spill_count: 0
    .wavefront_size: 64
  - .args:
      - .offset:         0
        .size:           56
        .value_kind:     by_value
    .group_segment_fixed_size: 0
    .kernarg_segment_align: 8
    .kernarg_segment_size: 56
    .language:       OpenCL C
    .language_version:
      - 2
      - 0
    .max_flat_workgroup_size: 256
    .name:           _ZN7rocprim17ROCPRIM_400000_NS6detail17trampoline_kernelINS0_14default_configENS1_32segmented_reduce_config_selectorIdEEZNS1_21segmented_reduce_implIS3_PKdPdPKidN6hipcub16HIPCUB_304000_NS6detail27convert_result_type_wrapperIS8_S9_N2at6native12_GLOBAL__N_19CustomMinEEEEE10hipError_tPvRmT0_T1_jT2_SQ_T4_T3_P12ihipStream_tbEUlT_E_NS1_11comp_targetILNS1_3genE8ELNS1_11target_archE1030ELNS1_3gpuE2ELNS1_3repE0EEENS1_30default_config_static_selectorELNS0_4arch9wavefront6targetE1EEEvSP_
    .private_segment_fixed_size: 0
    .sgpr_count:     4
    .sgpr_spill_count: 0
    .symbol:         _ZN7rocprim17ROCPRIM_400000_NS6detail17trampoline_kernelINS0_14default_configENS1_32segmented_reduce_config_selectorIdEEZNS1_21segmented_reduce_implIS3_PKdPdPKidN6hipcub16HIPCUB_304000_NS6detail27convert_result_type_wrapperIS8_S9_N2at6native12_GLOBAL__N_19CustomMinEEEEE10hipError_tPvRmT0_T1_jT2_SQ_T4_T3_P12ihipStream_tbEUlT_E_NS1_11comp_targetILNS1_3genE8ELNS1_11target_archE1030ELNS1_3gpuE2ELNS1_3repE0EEENS1_30default_config_static_selectorELNS0_4arch9wavefront6targetE1EEEvSP_.kd
    .uniform_work_group_size: 1
    .uses_dynamic_stack: false
    .vgpr_count:     0
    .vgpr_spill_count: 0
    .wavefront_size: 64
  - .args:
      - .offset:         0
        .size:           56
        .value_kind:     by_value
    .group_segment_fixed_size: 0
    .kernarg_segment_align: 8
    .kernarg_segment_size: 56
    .language:       OpenCL C
    .language_version:
      - 2
      - 0
    .max_flat_workgroup_size: 256
    .name:           _ZN7rocprim17ROCPRIM_400000_NS6detail17trampoline_kernelINS0_14default_configENS1_32segmented_reduce_config_selectorIdEEZNS1_21segmented_reduce_implIS3_PKdPdPKidN6hipcub16HIPCUB_304000_NS6detail27convert_result_type_wrapperIS8_S9_N2at6native12_GLOBAL__N_110CustomProdEEEEE10hipError_tPvRmT0_T1_jT2_SQ_T4_T3_P12ihipStream_tbEUlT_E_NS1_11comp_targetILNS1_3genE0ELNS1_11target_archE4294967295ELNS1_3gpuE0ELNS1_3repE0EEENS1_30default_config_static_selectorELNS0_4arch9wavefront6targetE1EEEvSP_
    .private_segment_fixed_size: 0
    .sgpr_count:     4
    .sgpr_spill_count: 0
    .symbol:         _ZN7rocprim17ROCPRIM_400000_NS6detail17trampoline_kernelINS0_14default_configENS1_32segmented_reduce_config_selectorIdEEZNS1_21segmented_reduce_implIS3_PKdPdPKidN6hipcub16HIPCUB_304000_NS6detail27convert_result_type_wrapperIS8_S9_N2at6native12_GLOBAL__N_110CustomProdEEEEE10hipError_tPvRmT0_T1_jT2_SQ_T4_T3_P12ihipStream_tbEUlT_E_NS1_11comp_targetILNS1_3genE0ELNS1_11target_archE4294967295ELNS1_3gpuE0ELNS1_3repE0EEENS1_30default_config_static_selectorELNS0_4arch9wavefront6targetE1EEEvSP_.kd
    .uniform_work_group_size: 1
    .uses_dynamic_stack: false
    .vgpr_count:     0
    .vgpr_spill_count: 0
    .wavefront_size: 64
  - .args:
      - .offset:         0
        .size:           56
        .value_kind:     by_value
    .group_segment_fixed_size: 0
    .kernarg_segment_align: 8
    .kernarg_segment_size: 56
    .language:       OpenCL C
    .language_version:
      - 2
      - 0
    .max_flat_workgroup_size: 256
    .name:           _ZN7rocprim17ROCPRIM_400000_NS6detail17trampoline_kernelINS0_14default_configENS1_32segmented_reduce_config_selectorIdEEZNS1_21segmented_reduce_implIS3_PKdPdPKidN6hipcub16HIPCUB_304000_NS6detail27convert_result_type_wrapperIS8_S9_N2at6native12_GLOBAL__N_110CustomProdEEEEE10hipError_tPvRmT0_T1_jT2_SQ_T4_T3_P12ihipStream_tbEUlT_E_NS1_11comp_targetILNS1_3genE5ELNS1_11target_archE942ELNS1_3gpuE9ELNS1_3repE0EEENS1_30default_config_static_selectorELNS0_4arch9wavefront6targetE1EEEvSP_
    .private_segment_fixed_size: 0
    .sgpr_count:     4
    .sgpr_spill_count: 0
    .symbol:         _ZN7rocprim17ROCPRIM_400000_NS6detail17trampoline_kernelINS0_14default_configENS1_32segmented_reduce_config_selectorIdEEZNS1_21segmented_reduce_implIS3_PKdPdPKidN6hipcub16HIPCUB_304000_NS6detail27convert_result_type_wrapperIS8_S9_N2at6native12_GLOBAL__N_110CustomProdEEEEE10hipError_tPvRmT0_T1_jT2_SQ_T4_T3_P12ihipStream_tbEUlT_E_NS1_11comp_targetILNS1_3genE5ELNS1_11target_archE942ELNS1_3gpuE9ELNS1_3repE0EEENS1_30default_config_static_selectorELNS0_4arch9wavefront6targetE1EEEvSP_.kd
    .uniform_work_group_size: 1
    .uses_dynamic_stack: false
    .vgpr_count:     0
    .vgpr_spill_count: 0
    .wavefront_size: 64
  - .args:
      - .offset:         0
        .size:           56
        .value_kind:     by_value
    .group_segment_fixed_size: 0
    .kernarg_segment_align: 8
    .kernarg_segment_size: 56
    .language:       OpenCL C
    .language_version:
      - 2
      - 0
    .max_flat_workgroup_size: 256
    .name:           _ZN7rocprim17ROCPRIM_400000_NS6detail17trampoline_kernelINS0_14default_configENS1_32segmented_reduce_config_selectorIdEEZNS1_21segmented_reduce_implIS3_PKdPdPKidN6hipcub16HIPCUB_304000_NS6detail27convert_result_type_wrapperIS8_S9_N2at6native12_GLOBAL__N_110CustomProdEEEEE10hipError_tPvRmT0_T1_jT2_SQ_T4_T3_P12ihipStream_tbEUlT_E_NS1_11comp_targetILNS1_3genE10ELNS1_11target_archE1201ELNS1_3gpuE5ELNS1_3repE0EEENS1_30default_config_static_selectorELNS0_4arch9wavefront6targetE1EEEvSP_
    .private_segment_fixed_size: 0
    .sgpr_count:     4
    .sgpr_spill_count: 0
    .symbol:         _ZN7rocprim17ROCPRIM_400000_NS6detail17trampoline_kernelINS0_14default_configENS1_32segmented_reduce_config_selectorIdEEZNS1_21segmented_reduce_implIS3_PKdPdPKidN6hipcub16HIPCUB_304000_NS6detail27convert_result_type_wrapperIS8_S9_N2at6native12_GLOBAL__N_110CustomProdEEEEE10hipError_tPvRmT0_T1_jT2_SQ_T4_T3_P12ihipStream_tbEUlT_E_NS1_11comp_targetILNS1_3genE10ELNS1_11target_archE1201ELNS1_3gpuE5ELNS1_3repE0EEENS1_30default_config_static_selectorELNS0_4arch9wavefront6targetE1EEEvSP_.kd
    .uniform_work_group_size: 1
    .uses_dynamic_stack: false
    .vgpr_count:     0
    .vgpr_spill_count: 0
    .wavefront_size: 64
  - .args:
      - .offset:         0
        .size:           56
        .value_kind:     by_value
    .group_segment_fixed_size: 0
    .kernarg_segment_align: 8
    .kernarg_segment_size: 56
    .language:       OpenCL C
    .language_version:
      - 2
      - 0
    .max_flat_workgroup_size: 256
    .name:           _ZN7rocprim17ROCPRIM_400000_NS6detail17trampoline_kernelINS0_14default_configENS1_32segmented_reduce_config_selectorIdEEZNS1_21segmented_reduce_implIS3_PKdPdPKidN6hipcub16HIPCUB_304000_NS6detail27convert_result_type_wrapperIS8_S9_N2at6native12_GLOBAL__N_110CustomProdEEEEE10hipError_tPvRmT0_T1_jT2_SQ_T4_T3_P12ihipStream_tbEUlT_E_NS1_11comp_targetILNS1_3genE4ELNS1_11target_archE910ELNS1_3gpuE8ELNS1_3repE0EEENS1_30default_config_static_selectorELNS0_4arch9wavefront6targetE1EEEvSP_
    .private_segment_fixed_size: 0
    .sgpr_count:     4
    .sgpr_spill_count: 0
    .symbol:         _ZN7rocprim17ROCPRIM_400000_NS6detail17trampoline_kernelINS0_14default_configENS1_32segmented_reduce_config_selectorIdEEZNS1_21segmented_reduce_implIS3_PKdPdPKidN6hipcub16HIPCUB_304000_NS6detail27convert_result_type_wrapperIS8_S9_N2at6native12_GLOBAL__N_110CustomProdEEEEE10hipError_tPvRmT0_T1_jT2_SQ_T4_T3_P12ihipStream_tbEUlT_E_NS1_11comp_targetILNS1_3genE4ELNS1_11target_archE910ELNS1_3gpuE8ELNS1_3repE0EEENS1_30default_config_static_selectorELNS0_4arch9wavefront6targetE1EEEvSP_.kd
    .uniform_work_group_size: 1
    .uses_dynamic_stack: false
    .vgpr_count:     0
    .vgpr_spill_count: 0
    .wavefront_size: 64
  - .args:
      - .offset:         0
        .size:           56
        .value_kind:     by_value
    .group_segment_fixed_size: 0
    .kernarg_segment_align: 8
    .kernarg_segment_size: 56
    .language:       OpenCL C
    .language_version:
      - 2
      - 0
    .max_flat_workgroup_size: 256
    .name:           _ZN7rocprim17ROCPRIM_400000_NS6detail17trampoline_kernelINS0_14default_configENS1_32segmented_reduce_config_selectorIdEEZNS1_21segmented_reduce_implIS3_PKdPdPKidN6hipcub16HIPCUB_304000_NS6detail27convert_result_type_wrapperIS8_S9_N2at6native12_GLOBAL__N_110CustomProdEEEEE10hipError_tPvRmT0_T1_jT2_SQ_T4_T3_P12ihipStream_tbEUlT_E_NS1_11comp_targetILNS1_3genE3ELNS1_11target_archE908ELNS1_3gpuE7ELNS1_3repE0EEENS1_30default_config_static_selectorELNS0_4arch9wavefront6targetE1EEEvSP_
    .private_segment_fixed_size: 0
    .sgpr_count:     4
    .sgpr_spill_count: 0
    .symbol:         _ZN7rocprim17ROCPRIM_400000_NS6detail17trampoline_kernelINS0_14default_configENS1_32segmented_reduce_config_selectorIdEEZNS1_21segmented_reduce_implIS3_PKdPdPKidN6hipcub16HIPCUB_304000_NS6detail27convert_result_type_wrapperIS8_S9_N2at6native12_GLOBAL__N_110CustomProdEEEEE10hipError_tPvRmT0_T1_jT2_SQ_T4_T3_P12ihipStream_tbEUlT_E_NS1_11comp_targetILNS1_3genE3ELNS1_11target_archE908ELNS1_3gpuE7ELNS1_3repE0EEENS1_30default_config_static_selectorELNS0_4arch9wavefront6targetE1EEEvSP_.kd
    .uniform_work_group_size: 1
    .uses_dynamic_stack: false
    .vgpr_count:     0
    .vgpr_spill_count: 0
    .wavefront_size: 64
  - .args:
      - .offset:         0
        .size:           56
        .value_kind:     by_value
    .group_segment_fixed_size: 32
    .kernarg_segment_align: 8
    .kernarg_segment_size: 56
    .language:       OpenCL C
    .language_version:
      - 2
      - 0
    .max_flat_workgroup_size: 256
    .name:           _ZN7rocprim17ROCPRIM_400000_NS6detail17trampoline_kernelINS0_14default_configENS1_32segmented_reduce_config_selectorIdEEZNS1_21segmented_reduce_implIS3_PKdPdPKidN6hipcub16HIPCUB_304000_NS6detail27convert_result_type_wrapperIS8_S9_N2at6native12_GLOBAL__N_110CustomProdEEEEE10hipError_tPvRmT0_T1_jT2_SQ_T4_T3_P12ihipStream_tbEUlT_E_NS1_11comp_targetILNS1_3genE2ELNS1_11target_archE906ELNS1_3gpuE6ELNS1_3repE0EEENS1_30default_config_static_selectorELNS0_4arch9wavefront6targetE1EEEvSP_
    .private_segment_fixed_size: 0
    .sgpr_count:     38
    .sgpr_spill_count: 0
    .symbol:         _ZN7rocprim17ROCPRIM_400000_NS6detail17trampoline_kernelINS0_14default_configENS1_32segmented_reduce_config_selectorIdEEZNS1_21segmented_reduce_implIS3_PKdPdPKidN6hipcub16HIPCUB_304000_NS6detail27convert_result_type_wrapperIS8_S9_N2at6native12_GLOBAL__N_110CustomProdEEEEE10hipError_tPvRmT0_T1_jT2_SQ_T4_T3_P12ihipStream_tbEUlT_E_NS1_11comp_targetILNS1_3genE2ELNS1_11target_archE906ELNS1_3gpuE6ELNS1_3repE0EEENS1_30default_config_static_selectorELNS0_4arch9wavefront6targetE1EEEvSP_.kd
    .uniform_work_group_size: 1
    .uses_dynamic_stack: false
    .vgpr_count:     24
    .vgpr_spill_count: 0
    .wavefront_size: 64
  - .args:
      - .offset:         0
        .size:           56
        .value_kind:     by_value
    .group_segment_fixed_size: 0
    .kernarg_segment_align: 8
    .kernarg_segment_size: 56
    .language:       OpenCL C
    .language_version:
      - 2
      - 0
    .max_flat_workgroup_size: 256
    .name:           _ZN7rocprim17ROCPRIM_400000_NS6detail17trampoline_kernelINS0_14default_configENS1_32segmented_reduce_config_selectorIdEEZNS1_21segmented_reduce_implIS3_PKdPdPKidN6hipcub16HIPCUB_304000_NS6detail27convert_result_type_wrapperIS8_S9_N2at6native12_GLOBAL__N_110CustomProdEEEEE10hipError_tPvRmT0_T1_jT2_SQ_T4_T3_P12ihipStream_tbEUlT_E_NS1_11comp_targetILNS1_3genE9ELNS1_11target_archE1100ELNS1_3gpuE3ELNS1_3repE0EEENS1_30default_config_static_selectorELNS0_4arch9wavefront6targetE1EEEvSP_
    .private_segment_fixed_size: 0
    .sgpr_count:     4
    .sgpr_spill_count: 0
    .symbol:         _ZN7rocprim17ROCPRIM_400000_NS6detail17trampoline_kernelINS0_14default_configENS1_32segmented_reduce_config_selectorIdEEZNS1_21segmented_reduce_implIS3_PKdPdPKidN6hipcub16HIPCUB_304000_NS6detail27convert_result_type_wrapperIS8_S9_N2at6native12_GLOBAL__N_110CustomProdEEEEE10hipError_tPvRmT0_T1_jT2_SQ_T4_T3_P12ihipStream_tbEUlT_E_NS1_11comp_targetILNS1_3genE9ELNS1_11target_archE1100ELNS1_3gpuE3ELNS1_3repE0EEENS1_30default_config_static_selectorELNS0_4arch9wavefront6targetE1EEEvSP_.kd
    .uniform_work_group_size: 1
    .uses_dynamic_stack: false
    .vgpr_count:     0
    .vgpr_spill_count: 0
    .wavefront_size: 64
  - .args:
      - .offset:         0
        .size:           56
        .value_kind:     by_value
    .group_segment_fixed_size: 0
    .kernarg_segment_align: 8
    .kernarg_segment_size: 56
    .language:       OpenCL C
    .language_version:
      - 2
      - 0
    .max_flat_workgroup_size: 256
    .name:           _ZN7rocprim17ROCPRIM_400000_NS6detail17trampoline_kernelINS0_14default_configENS1_32segmented_reduce_config_selectorIdEEZNS1_21segmented_reduce_implIS3_PKdPdPKidN6hipcub16HIPCUB_304000_NS6detail27convert_result_type_wrapperIS8_S9_N2at6native12_GLOBAL__N_110CustomProdEEEEE10hipError_tPvRmT0_T1_jT2_SQ_T4_T3_P12ihipStream_tbEUlT_E_NS1_11comp_targetILNS1_3genE8ELNS1_11target_archE1030ELNS1_3gpuE2ELNS1_3repE0EEENS1_30default_config_static_selectorELNS0_4arch9wavefront6targetE1EEEvSP_
    .private_segment_fixed_size: 0
    .sgpr_count:     4
    .sgpr_spill_count: 0
    .symbol:         _ZN7rocprim17ROCPRIM_400000_NS6detail17trampoline_kernelINS0_14default_configENS1_32segmented_reduce_config_selectorIdEEZNS1_21segmented_reduce_implIS3_PKdPdPKidN6hipcub16HIPCUB_304000_NS6detail27convert_result_type_wrapperIS8_S9_N2at6native12_GLOBAL__N_110CustomProdEEEEE10hipError_tPvRmT0_T1_jT2_SQ_T4_T3_P12ihipStream_tbEUlT_E_NS1_11comp_targetILNS1_3genE8ELNS1_11target_archE1030ELNS1_3gpuE2ELNS1_3repE0EEENS1_30default_config_static_selectorELNS0_4arch9wavefront6targetE1EEEvSP_.kd
    .uniform_work_group_size: 1
    .uses_dynamic_stack: false
    .vgpr_count:     0
    .vgpr_spill_count: 0
    .wavefront_size: 64
  - .args:
      - .offset:         0
        .size:           4
        .value_kind:     by_value
      - .address_space:  global
        .offset:         8
        .size:           8
        .value_kind:     global_buffer
      - .address_space:  global
        .offset:         16
        .size:           8
        .value_kind:     global_buffer
      - .address_space:  global
        .offset:         24
        .size:           8
        .value_kind:     global_buffer
      - .address_space:  global
        .offset:         32
        .size:           8
        .value_kind:     global_buffer
      - .offset:         40
        .size:           8
        .value_kind:     by_value
      - .offset:         48
        .size:           8
        .value_kind:     by_value
      - .offset:         56
        .size:           1
        .value_kind:     by_value
      - .offset:         60
        .size:           4
        .value_kind:     by_value
      - .offset:         64
        .size:           8
        .value_kind:     by_value
      - .offset:         72
        .size:           8
        .value_kind:     by_value
      - .offset:         80
        .size:           8
        .value_kind:     by_value
      - .offset:         88
        .size:           8
        .value_kind:     by_value
      - .offset:         96
        .size:           8
        .value_kind:     by_value
      - .offset:         104
        .size:           8
        .value_kind:     by_value
      - .offset:         112
        .size:           8
        .value_kind:     by_value
      - .offset:         120
        .size:           4
        .value_kind:     hidden_block_count_x
      - .offset:         124
        .size:           4
        .value_kind:     hidden_block_count_y
      - .offset:         128
        .size:           4
        .value_kind:     hidden_block_count_z
      - .offset:         132
        .size:           2
        .value_kind:     hidden_group_size_x
      - .offset:         134
        .size:           2
        .value_kind:     hidden_group_size_y
      - .offset:         136
        .size:           2
        .value_kind:     hidden_group_size_z
      - .offset:         138
        .size:           2
        .value_kind:     hidden_remainder_x
      - .offset:         140
        .size:           2
        .value_kind:     hidden_remainder_y
      - .offset:         142
        .size:           2
        .value_kind:     hidden_remainder_z
      - .offset:         160
        .size:           8
        .value_kind:     hidden_global_offset_x
      - .offset:         168
        .size:           8
        .value_kind:     hidden_global_offset_y
      - .offset:         176
        .size:           8
        .value_kind:     hidden_global_offset_z
      - .offset:         184
        .size:           2
        .value_kind:     hidden_grid_dims
    .group_segment_fixed_size: 0
    .kernarg_segment_align: 8
    .kernarg_segment_size: 376
    .language:       OpenCL C
    .language_version:
      - 2
      - 0
    .max_flat_workgroup_size: 1024
    .name:           _ZN2at6native12_GLOBAL__N_129segment_reduce_forward_kernelIfiEEvNS0_13ReductionTypeEPT_PKS4_PKT0_SA_llbS4_lllllll
    .private_segment_fixed_size: 0
    .sgpr_count:     46
    .sgpr_spill_count: 0
    .symbol:         _ZN2at6native12_GLOBAL__N_129segment_reduce_forward_kernelIfiEEvNS0_13ReductionTypeEPT_PKS4_PKT0_SA_llbS4_lllllll.kd
    .uniform_work_group_size: 1
    .uses_dynamic_stack: false
    .vgpr_count:     19
    .vgpr_spill_count: 0
    .wavefront_size: 64
  - .args:
      - .offset:         0
        .size:           48
        .value_kind:     by_value
    .group_segment_fixed_size: 0
    .kernarg_segment_align: 8
    .kernarg_segment_size: 48
    .language:       OpenCL C
    .language_version:
      - 2
      - 0
    .max_flat_workgroup_size: 256
    .name:           _ZN7rocprim17ROCPRIM_400000_NS6detail17trampoline_kernelINS0_14default_configENS1_32segmented_reduce_config_selectorIfEEZNS1_21segmented_reduce_implIS3_PKfPfPKifN6hipcub16HIPCUB_304000_NS6detail27convert_result_type_wrapperIS8_S9_N2at6native12_GLOBAL__N_19CustomMaxEEEEE10hipError_tPvRmT0_T1_jT2_SQ_T4_T3_P12ihipStream_tbEUlT_E_NS1_11comp_targetILNS1_3genE0ELNS1_11target_archE4294967295ELNS1_3gpuE0ELNS1_3repE0EEENS1_30default_config_static_selectorELNS0_4arch9wavefront6targetE1EEEvSP_
    .private_segment_fixed_size: 0
    .sgpr_count:     4
    .sgpr_spill_count: 0
    .symbol:         _ZN7rocprim17ROCPRIM_400000_NS6detail17trampoline_kernelINS0_14default_configENS1_32segmented_reduce_config_selectorIfEEZNS1_21segmented_reduce_implIS3_PKfPfPKifN6hipcub16HIPCUB_304000_NS6detail27convert_result_type_wrapperIS8_S9_N2at6native12_GLOBAL__N_19CustomMaxEEEEE10hipError_tPvRmT0_T1_jT2_SQ_T4_T3_P12ihipStream_tbEUlT_E_NS1_11comp_targetILNS1_3genE0ELNS1_11target_archE4294967295ELNS1_3gpuE0ELNS1_3repE0EEENS1_30default_config_static_selectorELNS0_4arch9wavefront6targetE1EEEvSP_.kd
    .uniform_work_group_size: 1
    .uses_dynamic_stack: false
    .vgpr_count:     0
    .vgpr_spill_count: 0
    .wavefront_size: 64
  - .args:
      - .offset:         0
        .size:           48
        .value_kind:     by_value
    .group_segment_fixed_size: 0
    .kernarg_segment_align: 8
    .kernarg_segment_size: 48
    .language:       OpenCL C
    .language_version:
      - 2
      - 0
    .max_flat_workgroup_size: 256
    .name:           _ZN7rocprim17ROCPRIM_400000_NS6detail17trampoline_kernelINS0_14default_configENS1_32segmented_reduce_config_selectorIfEEZNS1_21segmented_reduce_implIS3_PKfPfPKifN6hipcub16HIPCUB_304000_NS6detail27convert_result_type_wrapperIS8_S9_N2at6native12_GLOBAL__N_19CustomMaxEEEEE10hipError_tPvRmT0_T1_jT2_SQ_T4_T3_P12ihipStream_tbEUlT_E_NS1_11comp_targetILNS1_3genE5ELNS1_11target_archE942ELNS1_3gpuE9ELNS1_3repE0EEENS1_30default_config_static_selectorELNS0_4arch9wavefront6targetE1EEEvSP_
    .private_segment_fixed_size: 0
    .sgpr_count:     4
    .sgpr_spill_count: 0
    .symbol:         _ZN7rocprim17ROCPRIM_400000_NS6detail17trampoline_kernelINS0_14default_configENS1_32segmented_reduce_config_selectorIfEEZNS1_21segmented_reduce_implIS3_PKfPfPKifN6hipcub16HIPCUB_304000_NS6detail27convert_result_type_wrapperIS8_S9_N2at6native12_GLOBAL__N_19CustomMaxEEEEE10hipError_tPvRmT0_T1_jT2_SQ_T4_T3_P12ihipStream_tbEUlT_E_NS1_11comp_targetILNS1_3genE5ELNS1_11target_archE942ELNS1_3gpuE9ELNS1_3repE0EEENS1_30default_config_static_selectorELNS0_4arch9wavefront6targetE1EEEvSP_.kd
    .uniform_work_group_size: 1
    .uses_dynamic_stack: false
    .vgpr_count:     0
    .vgpr_spill_count: 0
    .wavefront_size: 64
  - .args:
      - .offset:         0
        .size:           48
        .value_kind:     by_value
    .group_segment_fixed_size: 0
    .kernarg_segment_align: 8
    .kernarg_segment_size: 48
    .language:       OpenCL C
    .language_version:
      - 2
      - 0
    .max_flat_workgroup_size: 256
    .name:           _ZN7rocprim17ROCPRIM_400000_NS6detail17trampoline_kernelINS0_14default_configENS1_32segmented_reduce_config_selectorIfEEZNS1_21segmented_reduce_implIS3_PKfPfPKifN6hipcub16HIPCUB_304000_NS6detail27convert_result_type_wrapperIS8_S9_N2at6native12_GLOBAL__N_19CustomMaxEEEEE10hipError_tPvRmT0_T1_jT2_SQ_T4_T3_P12ihipStream_tbEUlT_E_NS1_11comp_targetILNS1_3genE10ELNS1_11target_archE1201ELNS1_3gpuE5ELNS1_3repE0EEENS1_30default_config_static_selectorELNS0_4arch9wavefront6targetE1EEEvSP_
    .private_segment_fixed_size: 0
    .sgpr_count:     4
    .sgpr_spill_count: 0
    .symbol:         _ZN7rocprim17ROCPRIM_400000_NS6detail17trampoline_kernelINS0_14default_configENS1_32segmented_reduce_config_selectorIfEEZNS1_21segmented_reduce_implIS3_PKfPfPKifN6hipcub16HIPCUB_304000_NS6detail27convert_result_type_wrapperIS8_S9_N2at6native12_GLOBAL__N_19CustomMaxEEEEE10hipError_tPvRmT0_T1_jT2_SQ_T4_T3_P12ihipStream_tbEUlT_E_NS1_11comp_targetILNS1_3genE10ELNS1_11target_archE1201ELNS1_3gpuE5ELNS1_3repE0EEENS1_30default_config_static_selectorELNS0_4arch9wavefront6targetE1EEEvSP_.kd
    .uniform_work_group_size: 1
    .uses_dynamic_stack: false
    .vgpr_count:     0
    .vgpr_spill_count: 0
    .wavefront_size: 64
  - .args:
      - .offset:         0
        .size:           48
        .value_kind:     by_value
    .group_segment_fixed_size: 0
    .kernarg_segment_align: 8
    .kernarg_segment_size: 48
    .language:       OpenCL C
    .language_version:
      - 2
      - 0
    .max_flat_workgroup_size: 256
    .name:           _ZN7rocprim17ROCPRIM_400000_NS6detail17trampoline_kernelINS0_14default_configENS1_32segmented_reduce_config_selectorIfEEZNS1_21segmented_reduce_implIS3_PKfPfPKifN6hipcub16HIPCUB_304000_NS6detail27convert_result_type_wrapperIS8_S9_N2at6native12_GLOBAL__N_19CustomMaxEEEEE10hipError_tPvRmT0_T1_jT2_SQ_T4_T3_P12ihipStream_tbEUlT_E_NS1_11comp_targetILNS1_3genE4ELNS1_11target_archE910ELNS1_3gpuE8ELNS1_3repE0EEENS1_30default_config_static_selectorELNS0_4arch9wavefront6targetE1EEEvSP_
    .private_segment_fixed_size: 0
    .sgpr_count:     4
    .sgpr_spill_count: 0
    .symbol:         _ZN7rocprim17ROCPRIM_400000_NS6detail17trampoline_kernelINS0_14default_configENS1_32segmented_reduce_config_selectorIfEEZNS1_21segmented_reduce_implIS3_PKfPfPKifN6hipcub16HIPCUB_304000_NS6detail27convert_result_type_wrapperIS8_S9_N2at6native12_GLOBAL__N_19CustomMaxEEEEE10hipError_tPvRmT0_T1_jT2_SQ_T4_T3_P12ihipStream_tbEUlT_E_NS1_11comp_targetILNS1_3genE4ELNS1_11target_archE910ELNS1_3gpuE8ELNS1_3repE0EEENS1_30default_config_static_selectorELNS0_4arch9wavefront6targetE1EEEvSP_.kd
    .uniform_work_group_size: 1
    .uses_dynamic_stack: false
    .vgpr_count:     0
    .vgpr_spill_count: 0
    .wavefront_size: 64
  - .args:
      - .offset:         0
        .size:           48
        .value_kind:     by_value
    .group_segment_fixed_size: 0
    .kernarg_segment_align: 8
    .kernarg_segment_size: 48
    .language:       OpenCL C
    .language_version:
      - 2
      - 0
    .max_flat_workgroup_size: 256
    .name:           _ZN7rocprim17ROCPRIM_400000_NS6detail17trampoline_kernelINS0_14default_configENS1_32segmented_reduce_config_selectorIfEEZNS1_21segmented_reduce_implIS3_PKfPfPKifN6hipcub16HIPCUB_304000_NS6detail27convert_result_type_wrapperIS8_S9_N2at6native12_GLOBAL__N_19CustomMaxEEEEE10hipError_tPvRmT0_T1_jT2_SQ_T4_T3_P12ihipStream_tbEUlT_E_NS1_11comp_targetILNS1_3genE3ELNS1_11target_archE908ELNS1_3gpuE7ELNS1_3repE0EEENS1_30default_config_static_selectorELNS0_4arch9wavefront6targetE1EEEvSP_
    .private_segment_fixed_size: 0
    .sgpr_count:     4
    .sgpr_spill_count: 0
    .symbol:         _ZN7rocprim17ROCPRIM_400000_NS6detail17trampoline_kernelINS0_14default_configENS1_32segmented_reduce_config_selectorIfEEZNS1_21segmented_reduce_implIS3_PKfPfPKifN6hipcub16HIPCUB_304000_NS6detail27convert_result_type_wrapperIS8_S9_N2at6native12_GLOBAL__N_19CustomMaxEEEEE10hipError_tPvRmT0_T1_jT2_SQ_T4_T3_P12ihipStream_tbEUlT_E_NS1_11comp_targetILNS1_3genE3ELNS1_11target_archE908ELNS1_3gpuE7ELNS1_3repE0EEENS1_30default_config_static_selectorELNS0_4arch9wavefront6targetE1EEEvSP_.kd
    .uniform_work_group_size: 1
    .uses_dynamic_stack: false
    .vgpr_count:     0
    .vgpr_spill_count: 0
    .wavefront_size: 64
  - .args:
      - .offset:         0
        .size:           48
        .value_kind:     by_value
    .group_segment_fixed_size: 16
    .kernarg_segment_align: 8
    .kernarg_segment_size: 48
    .language:       OpenCL C
    .language_version:
      - 2
      - 0
    .max_flat_workgroup_size: 256
    .name:           _ZN7rocprim17ROCPRIM_400000_NS6detail17trampoline_kernelINS0_14default_configENS1_32segmented_reduce_config_selectorIfEEZNS1_21segmented_reduce_implIS3_PKfPfPKifN6hipcub16HIPCUB_304000_NS6detail27convert_result_type_wrapperIS8_S9_N2at6native12_GLOBAL__N_19CustomMaxEEEEE10hipError_tPvRmT0_T1_jT2_SQ_T4_T3_P12ihipStream_tbEUlT_E_NS1_11comp_targetILNS1_3genE2ELNS1_11target_archE906ELNS1_3gpuE6ELNS1_3repE0EEENS1_30default_config_static_selectorELNS0_4arch9wavefront6targetE1EEEvSP_
    .private_segment_fixed_size: 0
    .sgpr_count:     27
    .sgpr_spill_count: 0
    .symbol:         _ZN7rocprim17ROCPRIM_400000_NS6detail17trampoline_kernelINS0_14default_configENS1_32segmented_reduce_config_selectorIfEEZNS1_21segmented_reduce_implIS3_PKfPfPKifN6hipcub16HIPCUB_304000_NS6detail27convert_result_type_wrapperIS8_S9_N2at6native12_GLOBAL__N_19CustomMaxEEEEE10hipError_tPvRmT0_T1_jT2_SQ_T4_T3_P12ihipStream_tbEUlT_E_NS1_11comp_targetILNS1_3genE2ELNS1_11target_archE906ELNS1_3gpuE6ELNS1_3repE0EEENS1_30default_config_static_selectorELNS0_4arch9wavefront6targetE1EEEvSP_.kd
    .uniform_work_group_size: 1
    .uses_dynamic_stack: false
    .vgpr_count:     33
    .vgpr_spill_count: 0
    .wavefront_size: 64
  - .args:
      - .offset:         0
        .size:           48
        .value_kind:     by_value
    .group_segment_fixed_size: 0
    .kernarg_segment_align: 8
    .kernarg_segment_size: 48
    .language:       OpenCL C
    .language_version:
      - 2
      - 0
    .max_flat_workgroup_size: 256
    .name:           _ZN7rocprim17ROCPRIM_400000_NS6detail17trampoline_kernelINS0_14default_configENS1_32segmented_reduce_config_selectorIfEEZNS1_21segmented_reduce_implIS3_PKfPfPKifN6hipcub16HIPCUB_304000_NS6detail27convert_result_type_wrapperIS8_S9_N2at6native12_GLOBAL__N_19CustomMaxEEEEE10hipError_tPvRmT0_T1_jT2_SQ_T4_T3_P12ihipStream_tbEUlT_E_NS1_11comp_targetILNS1_3genE9ELNS1_11target_archE1100ELNS1_3gpuE3ELNS1_3repE0EEENS1_30default_config_static_selectorELNS0_4arch9wavefront6targetE1EEEvSP_
    .private_segment_fixed_size: 0
    .sgpr_count:     4
    .sgpr_spill_count: 0
    .symbol:         _ZN7rocprim17ROCPRIM_400000_NS6detail17trampoline_kernelINS0_14default_configENS1_32segmented_reduce_config_selectorIfEEZNS1_21segmented_reduce_implIS3_PKfPfPKifN6hipcub16HIPCUB_304000_NS6detail27convert_result_type_wrapperIS8_S9_N2at6native12_GLOBAL__N_19CustomMaxEEEEE10hipError_tPvRmT0_T1_jT2_SQ_T4_T3_P12ihipStream_tbEUlT_E_NS1_11comp_targetILNS1_3genE9ELNS1_11target_archE1100ELNS1_3gpuE3ELNS1_3repE0EEENS1_30default_config_static_selectorELNS0_4arch9wavefront6targetE1EEEvSP_.kd
    .uniform_work_group_size: 1
    .uses_dynamic_stack: false
    .vgpr_count:     0
    .vgpr_spill_count: 0
    .wavefront_size: 64
  - .args:
      - .offset:         0
        .size:           48
        .value_kind:     by_value
    .group_segment_fixed_size: 0
    .kernarg_segment_align: 8
    .kernarg_segment_size: 48
    .language:       OpenCL C
    .language_version:
      - 2
      - 0
    .max_flat_workgroup_size: 256
    .name:           _ZN7rocprim17ROCPRIM_400000_NS6detail17trampoline_kernelINS0_14default_configENS1_32segmented_reduce_config_selectorIfEEZNS1_21segmented_reduce_implIS3_PKfPfPKifN6hipcub16HIPCUB_304000_NS6detail27convert_result_type_wrapperIS8_S9_N2at6native12_GLOBAL__N_19CustomMaxEEEEE10hipError_tPvRmT0_T1_jT2_SQ_T4_T3_P12ihipStream_tbEUlT_E_NS1_11comp_targetILNS1_3genE8ELNS1_11target_archE1030ELNS1_3gpuE2ELNS1_3repE0EEENS1_30default_config_static_selectorELNS0_4arch9wavefront6targetE1EEEvSP_
    .private_segment_fixed_size: 0
    .sgpr_count:     4
    .sgpr_spill_count: 0
    .symbol:         _ZN7rocprim17ROCPRIM_400000_NS6detail17trampoline_kernelINS0_14default_configENS1_32segmented_reduce_config_selectorIfEEZNS1_21segmented_reduce_implIS3_PKfPfPKifN6hipcub16HIPCUB_304000_NS6detail27convert_result_type_wrapperIS8_S9_N2at6native12_GLOBAL__N_19CustomMaxEEEEE10hipError_tPvRmT0_T1_jT2_SQ_T4_T3_P12ihipStream_tbEUlT_E_NS1_11comp_targetILNS1_3genE8ELNS1_11target_archE1030ELNS1_3gpuE2ELNS1_3repE0EEENS1_30default_config_static_selectorELNS0_4arch9wavefront6targetE1EEEvSP_.kd
    .uniform_work_group_size: 1
    .uses_dynamic_stack: false
    .vgpr_count:     0
    .vgpr_spill_count: 0
    .wavefront_size: 64
  - .args:
      - .offset:         0
        .size:           48
        .value_kind:     by_value
    .group_segment_fixed_size: 0
    .kernarg_segment_align: 8
    .kernarg_segment_size: 48
    .language:       OpenCL C
    .language_version:
      - 2
      - 0
    .max_flat_workgroup_size: 256
    .name:           _ZN7rocprim17ROCPRIM_400000_NS6detail17trampoline_kernelINS0_14default_configENS1_32segmented_reduce_config_selectorIfEEZNS1_21segmented_reduce_implIS3_PKfPfPKifN6hipcub16HIPCUB_304000_NS6detail27convert_result_type_wrapperIS8_S9_N2at6native12_GLOBAL__N_19CustomSumEEEEE10hipError_tPvRmT0_T1_jT2_SQ_T4_T3_P12ihipStream_tbEUlT_E_NS1_11comp_targetILNS1_3genE0ELNS1_11target_archE4294967295ELNS1_3gpuE0ELNS1_3repE0EEENS1_30default_config_static_selectorELNS0_4arch9wavefront6targetE1EEEvSP_
    .private_segment_fixed_size: 0
    .sgpr_count:     4
    .sgpr_spill_count: 0
    .symbol:         _ZN7rocprim17ROCPRIM_400000_NS6detail17trampoline_kernelINS0_14default_configENS1_32segmented_reduce_config_selectorIfEEZNS1_21segmented_reduce_implIS3_PKfPfPKifN6hipcub16HIPCUB_304000_NS6detail27convert_result_type_wrapperIS8_S9_N2at6native12_GLOBAL__N_19CustomSumEEEEE10hipError_tPvRmT0_T1_jT2_SQ_T4_T3_P12ihipStream_tbEUlT_E_NS1_11comp_targetILNS1_3genE0ELNS1_11target_archE4294967295ELNS1_3gpuE0ELNS1_3repE0EEENS1_30default_config_static_selectorELNS0_4arch9wavefront6targetE1EEEvSP_.kd
    .uniform_work_group_size: 1
    .uses_dynamic_stack: false
    .vgpr_count:     0
    .vgpr_spill_count: 0
    .wavefront_size: 64
  - .args:
      - .offset:         0
        .size:           48
        .value_kind:     by_value
    .group_segment_fixed_size: 0
    .kernarg_segment_align: 8
    .kernarg_segment_size: 48
    .language:       OpenCL C
    .language_version:
      - 2
      - 0
    .max_flat_workgroup_size: 256
    .name:           _ZN7rocprim17ROCPRIM_400000_NS6detail17trampoline_kernelINS0_14default_configENS1_32segmented_reduce_config_selectorIfEEZNS1_21segmented_reduce_implIS3_PKfPfPKifN6hipcub16HIPCUB_304000_NS6detail27convert_result_type_wrapperIS8_S9_N2at6native12_GLOBAL__N_19CustomSumEEEEE10hipError_tPvRmT0_T1_jT2_SQ_T4_T3_P12ihipStream_tbEUlT_E_NS1_11comp_targetILNS1_3genE5ELNS1_11target_archE942ELNS1_3gpuE9ELNS1_3repE0EEENS1_30default_config_static_selectorELNS0_4arch9wavefront6targetE1EEEvSP_
    .private_segment_fixed_size: 0
    .sgpr_count:     4
    .sgpr_spill_count: 0
    .symbol:         _ZN7rocprim17ROCPRIM_400000_NS6detail17trampoline_kernelINS0_14default_configENS1_32segmented_reduce_config_selectorIfEEZNS1_21segmented_reduce_implIS3_PKfPfPKifN6hipcub16HIPCUB_304000_NS6detail27convert_result_type_wrapperIS8_S9_N2at6native12_GLOBAL__N_19CustomSumEEEEE10hipError_tPvRmT0_T1_jT2_SQ_T4_T3_P12ihipStream_tbEUlT_E_NS1_11comp_targetILNS1_3genE5ELNS1_11target_archE942ELNS1_3gpuE9ELNS1_3repE0EEENS1_30default_config_static_selectorELNS0_4arch9wavefront6targetE1EEEvSP_.kd
    .uniform_work_group_size: 1
    .uses_dynamic_stack: false
    .vgpr_count:     0
    .vgpr_spill_count: 0
    .wavefront_size: 64
  - .args:
      - .offset:         0
        .size:           48
        .value_kind:     by_value
    .group_segment_fixed_size: 0
    .kernarg_segment_align: 8
    .kernarg_segment_size: 48
    .language:       OpenCL C
    .language_version:
      - 2
      - 0
    .max_flat_workgroup_size: 256
    .name:           _ZN7rocprim17ROCPRIM_400000_NS6detail17trampoline_kernelINS0_14default_configENS1_32segmented_reduce_config_selectorIfEEZNS1_21segmented_reduce_implIS3_PKfPfPKifN6hipcub16HIPCUB_304000_NS6detail27convert_result_type_wrapperIS8_S9_N2at6native12_GLOBAL__N_19CustomSumEEEEE10hipError_tPvRmT0_T1_jT2_SQ_T4_T3_P12ihipStream_tbEUlT_E_NS1_11comp_targetILNS1_3genE10ELNS1_11target_archE1201ELNS1_3gpuE5ELNS1_3repE0EEENS1_30default_config_static_selectorELNS0_4arch9wavefront6targetE1EEEvSP_
    .private_segment_fixed_size: 0
    .sgpr_count:     4
    .sgpr_spill_count: 0
    .symbol:         _ZN7rocprim17ROCPRIM_400000_NS6detail17trampoline_kernelINS0_14default_configENS1_32segmented_reduce_config_selectorIfEEZNS1_21segmented_reduce_implIS3_PKfPfPKifN6hipcub16HIPCUB_304000_NS6detail27convert_result_type_wrapperIS8_S9_N2at6native12_GLOBAL__N_19CustomSumEEEEE10hipError_tPvRmT0_T1_jT2_SQ_T4_T3_P12ihipStream_tbEUlT_E_NS1_11comp_targetILNS1_3genE10ELNS1_11target_archE1201ELNS1_3gpuE5ELNS1_3repE0EEENS1_30default_config_static_selectorELNS0_4arch9wavefront6targetE1EEEvSP_.kd
    .uniform_work_group_size: 1
    .uses_dynamic_stack: false
    .vgpr_count:     0
    .vgpr_spill_count: 0
    .wavefront_size: 64
  - .args:
      - .offset:         0
        .size:           48
        .value_kind:     by_value
    .group_segment_fixed_size: 0
    .kernarg_segment_align: 8
    .kernarg_segment_size: 48
    .language:       OpenCL C
    .language_version:
      - 2
      - 0
    .max_flat_workgroup_size: 256
    .name:           _ZN7rocprim17ROCPRIM_400000_NS6detail17trampoline_kernelINS0_14default_configENS1_32segmented_reduce_config_selectorIfEEZNS1_21segmented_reduce_implIS3_PKfPfPKifN6hipcub16HIPCUB_304000_NS6detail27convert_result_type_wrapperIS8_S9_N2at6native12_GLOBAL__N_19CustomSumEEEEE10hipError_tPvRmT0_T1_jT2_SQ_T4_T3_P12ihipStream_tbEUlT_E_NS1_11comp_targetILNS1_3genE4ELNS1_11target_archE910ELNS1_3gpuE8ELNS1_3repE0EEENS1_30default_config_static_selectorELNS0_4arch9wavefront6targetE1EEEvSP_
    .private_segment_fixed_size: 0
    .sgpr_count:     4
    .sgpr_spill_count: 0
    .symbol:         _ZN7rocprim17ROCPRIM_400000_NS6detail17trampoline_kernelINS0_14default_configENS1_32segmented_reduce_config_selectorIfEEZNS1_21segmented_reduce_implIS3_PKfPfPKifN6hipcub16HIPCUB_304000_NS6detail27convert_result_type_wrapperIS8_S9_N2at6native12_GLOBAL__N_19CustomSumEEEEE10hipError_tPvRmT0_T1_jT2_SQ_T4_T3_P12ihipStream_tbEUlT_E_NS1_11comp_targetILNS1_3genE4ELNS1_11target_archE910ELNS1_3gpuE8ELNS1_3repE0EEENS1_30default_config_static_selectorELNS0_4arch9wavefront6targetE1EEEvSP_.kd
    .uniform_work_group_size: 1
    .uses_dynamic_stack: false
    .vgpr_count:     0
    .vgpr_spill_count: 0
    .wavefront_size: 64
  - .args:
      - .offset:         0
        .size:           48
        .value_kind:     by_value
    .group_segment_fixed_size: 0
    .kernarg_segment_align: 8
    .kernarg_segment_size: 48
    .language:       OpenCL C
    .language_version:
      - 2
      - 0
    .max_flat_workgroup_size: 256
    .name:           _ZN7rocprim17ROCPRIM_400000_NS6detail17trampoline_kernelINS0_14default_configENS1_32segmented_reduce_config_selectorIfEEZNS1_21segmented_reduce_implIS3_PKfPfPKifN6hipcub16HIPCUB_304000_NS6detail27convert_result_type_wrapperIS8_S9_N2at6native12_GLOBAL__N_19CustomSumEEEEE10hipError_tPvRmT0_T1_jT2_SQ_T4_T3_P12ihipStream_tbEUlT_E_NS1_11comp_targetILNS1_3genE3ELNS1_11target_archE908ELNS1_3gpuE7ELNS1_3repE0EEENS1_30default_config_static_selectorELNS0_4arch9wavefront6targetE1EEEvSP_
    .private_segment_fixed_size: 0
    .sgpr_count:     4
    .sgpr_spill_count: 0
    .symbol:         _ZN7rocprim17ROCPRIM_400000_NS6detail17trampoline_kernelINS0_14default_configENS1_32segmented_reduce_config_selectorIfEEZNS1_21segmented_reduce_implIS3_PKfPfPKifN6hipcub16HIPCUB_304000_NS6detail27convert_result_type_wrapperIS8_S9_N2at6native12_GLOBAL__N_19CustomSumEEEEE10hipError_tPvRmT0_T1_jT2_SQ_T4_T3_P12ihipStream_tbEUlT_E_NS1_11comp_targetILNS1_3genE3ELNS1_11target_archE908ELNS1_3gpuE7ELNS1_3repE0EEENS1_30default_config_static_selectorELNS0_4arch9wavefront6targetE1EEEvSP_.kd
    .uniform_work_group_size: 1
    .uses_dynamic_stack: false
    .vgpr_count:     0
    .vgpr_spill_count: 0
    .wavefront_size: 64
  - .args:
      - .offset:         0
        .size:           48
        .value_kind:     by_value
    .group_segment_fixed_size: 16
    .kernarg_segment_align: 8
    .kernarg_segment_size: 48
    .language:       OpenCL C
    .language_version:
      - 2
      - 0
    .max_flat_workgroup_size: 256
    .name:           _ZN7rocprim17ROCPRIM_400000_NS6detail17trampoline_kernelINS0_14default_configENS1_32segmented_reduce_config_selectorIfEEZNS1_21segmented_reduce_implIS3_PKfPfPKifN6hipcub16HIPCUB_304000_NS6detail27convert_result_type_wrapperIS8_S9_N2at6native12_GLOBAL__N_19CustomSumEEEEE10hipError_tPvRmT0_T1_jT2_SQ_T4_T3_P12ihipStream_tbEUlT_E_NS1_11comp_targetILNS1_3genE2ELNS1_11target_archE906ELNS1_3gpuE6ELNS1_3repE0EEENS1_30default_config_static_selectorELNS0_4arch9wavefront6targetE1EEEvSP_
    .private_segment_fixed_size: 0
    .sgpr_count:     53
    .sgpr_spill_count: 0
    .symbol:         _ZN7rocprim17ROCPRIM_400000_NS6detail17trampoline_kernelINS0_14default_configENS1_32segmented_reduce_config_selectorIfEEZNS1_21segmented_reduce_implIS3_PKfPfPKifN6hipcub16HIPCUB_304000_NS6detail27convert_result_type_wrapperIS8_S9_N2at6native12_GLOBAL__N_19CustomSumEEEEE10hipError_tPvRmT0_T1_jT2_SQ_T4_T3_P12ihipStream_tbEUlT_E_NS1_11comp_targetILNS1_3genE2ELNS1_11target_archE906ELNS1_3gpuE6ELNS1_3repE0EEENS1_30default_config_static_selectorELNS0_4arch9wavefront6targetE1EEEvSP_.kd
    .uniform_work_group_size: 1
    .uses_dynamic_stack: false
    .vgpr_count:     23
    .vgpr_spill_count: 0
    .wavefront_size: 64
  - .args:
      - .offset:         0
        .size:           48
        .value_kind:     by_value
    .group_segment_fixed_size: 0
    .kernarg_segment_align: 8
    .kernarg_segment_size: 48
    .language:       OpenCL C
    .language_version:
      - 2
      - 0
    .max_flat_workgroup_size: 256
    .name:           _ZN7rocprim17ROCPRIM_400000_NS6detail17trampoline_kernelINS0_14default_configENS1_32segmented_reduce_config_selectorIfEEZNS1_21segmented_reduce_implIS3_PKfPfPKifN6hipcub16HIPCUB_304000_NS6detail27convert_result_type_wrapperIS8_S9_N2at6native12_GLOBAL__N_19CustomSumEEEEE10hipError_tPvRmT0_T1_jT2_SQ_T4_T3_P12ihipStream_tbEUlT_E_NS1_11comp_targetILNS1_3genE9ELNS1_11target_archE1100ELNS1_3gpuE3ELNS1_3repE0EEENS1_30default_config_static_selectorELNS0_4arch9wavefront6targetE1EEEvSP_
    .private_segment_fixed_size: 0
    .sgpr_count:     4
    .sgpr_spill_count: 0
    .symbol:         _ZN7rocprim17ROCPRIM_400000_NS6detail17trampoline_kernelINS0_14default_configENS1_32segmented_reduce_config_selectorIfEEZNS1_21segmented_reduce_implIS3_PKfPfPKifN6hipcub16HIPCUB_304000_NS6detail27convert_result_type_wrapperIS8_S9_N2at6native12_GLOBAL__N_19CustomSumEEEEE10hipError_tPvRmT0_T1_jT2_SQ_T4_T3_P12ihipStream_tbEUlT_E_NS1_11comp_targetILNS1_3genE9ELNS1_11target_archE1100ELNS1_3gpuE3ELNS1_3repE0EEENS1_30default_config_static_selectorELNS0_4arch9wavefront6targetE1EEEvSP_.kd
    .uniform_work_group_size: 1
    .uses_dynamic_stack: false
    .vgpr_count:     0
    .vgpr_spill_count: 0
    .wavefront_size: 64
  - .args:
      - .offset:         0
        .size:           48
        .value_kind:     by_value
    .group_segment_fixed_size: 0
    .kernarg_segment_align: 8
    .kernarg_segment_size: 48
    .language:       OpenCL C
    .language_version:
      - 2
      - 0
    .max_flat_workgroup_size: 256
    .name:           _ZN7rocprim17ROCPRIM_400000_NS6detail17trampoline_kernelINS0_14default_configENS1_32segmented_reduce_config_selectorIfEEZNS1_21segmented_reduce_implIS3_PKfPfPKifN6hipcub16HIPCUB_304000_NS6detail27convert_result_type_wrapperIS8_S9_N2at6native12_GLOBAL__N_19CustomSumEEEEE10hipError_tPvRmT0_T1_jT2_SQ_T4_T3_P12ihipStream_tbEUlT_E_NS1_11comp_targetILNS1_3genE8ELNS1_11target_archE1030ELNS1_3gpuE2ELNS1_3repE0EEENS1_30default_config_static_selectorELNS0_4arch9wavefront6targetE1EEEvSP_
    .private_segment_fixed_size: 0
    .sgpr_count:     4
    .sgpr_spill_count: 0
    .symbol:         _ZN7rocprim17ROCPRIM_400000_NS6detail17trampoline_kernelINS0_14default_configENS1_32segmented_reduce_config_selectorIfEEZNS1_21segmented_reduce_implIS3_PKfPfPKifN6hipcub16HIPCUB_304000_NS6detail27convert_result_type_wrapperIS8_S9_N2at6native12_GLOBAL__N_19CustomSumEEEEE10hipError_tPvRmT0_T1_jT2_SQ_T4_T3_P12ihipStream_tbEUlT_E_NS1_11comp_targetILNS1_3genE8ELNS1_11target_archE1030ELNS1_3gpuE2ELNS1_3repE0EEENS1_30default_config_static_selectorELNS0_4arch9wavefront6targetE1EEEvSP_.kd
    .uniform_work_group_size: 1
    .uses_dynamic_stack: false
    .vgpr_count:     0
    .vgpr_spill_count: 0
    .wavefront_size: 64
  - .args:
      - .address_space:  global
        .offset:         0
        .size:           8
        .value_kind:     global_buffer
      - .address_space:  global
        .offset:         8
        .size:           8
        .value_kind:     global_buffer
      - .offset:         16
        .size:           8
        .value_kind:     by_value
      - .offset:         24
        .size:           1
        .value_kind:     by_value
      - .offset:         28
        .size:           4
        .value_kind:     by_value
      - .offset:         32
        .size:           4
        .value_kind:     hidden_block_count_x
      - .offset:         36
        .size:           4
        .value_kind:     hidden_block_count_y
      - .offset:         40
        .size:           4
        .value_kind:     hidden_block_count_z
      - .offset:         44
        .size:           2
        .value_kind:     hidden_group_size_x
      - .offset:         46
        .size:           2
        .value_kind:     hidden_group_size_y
      - .offset:         48
        .size:           2
        .value_kind:     hidden_group_size_z
      - .offset:         50
        .size:           2
        .value_kind:     hidden_remainder_x
      - .offset:         52
        .size:           2
        .value_kind:     hidden_remainder_y
      - .offset:         54
        .size:           2
        .value_kind:     hidden_remainder_z
      - .offset:         72
        .size:           8
        .value_kind:     hidden_global_offset_x
      - .offset:         80
        .size:           8
        .value_kind:     hidden_global_offset_y
      - .offset:         88
        .size:           8
        .value_kind:     hidden_global_offset_z
      - .offset:         96
        .size:           2
        .value_kind:     hidden_grid_dims
    .group_segment_fixed_size: 0
    .kernarg_segment_align: 8
    .kernarg_segment_size: 288
    .language:       OpenCL C
    .language_version:
      - 2
      - 0
    .max_flat_workgroup_size: 1024
    .name:           _ZN2at6native12_GLOBAL__N_119post_sum_div_kernelIfiEEvPT_PKT0_lbS3_
    .private_segment_fixed_size: 0
    .sgpr_count:     30
    .sgpr_spill_count: 0
    .symbol:         _ZN2at6native12_GLOBAL__N_119post_sum_div_kernelIfiEEvPT_PKT0_lbS3_.kd
    .uniform_work_group_size: 1
    .uses_dynamic_stack: false
    .vgpr_count:     15
    .vgpr_spill_count: 0
    .wavefront_size: 64
  - .args:
      - .offset:         0
        .size:           48
        .value_kind:     by_value
    .group_segment_fixed_size: 0
    .kernarg_segment_align: 8
    .kernarg_segment_size: 48
    .language:       OpenCL C
    .language_version:
      - 2
      - 0
    .max_flat_workgroup_size: 256
    .name:           _ZN7rocprim17ROCPRIM_400000_NS6detail17trampoline_kernelINS0_14default_configENS1_32segmented_reduce_config_selectorIfEEZNS1_21segmented_reduce_implIS3_PKfPfPKifN6hipcub16HIPCUB_304000_NS6detail27convert_result_type_wrapperIS8_S9_N2at6native12_GLOBAL__N_19CustomMinEEEEE10hipError_tPvRmT0_T1_jT2_SQ_T4_T3_P12ihipStream_tbEUlT_E_NS1_11comp_targetILNS1_3genE0ELNS1_11target_archE4294967295ELNS1_3gpuE0ELNS1_3repE0EEENS1_30default_config_static_selectorELNS0_4arch9wavefront6targetE1EEEvSP_
    .private_segment_fixed_size: 0
    .sgpr_count:     4
    .sgpr_spill_count: 0
    .symbol:         _ZN7rocprim17ROCPRIM_400000_NS6detail17trampoline_kernelINS0_14default_configENS1_32segmented_reduce_config_selectorIfEEZNS1_21segmented_reduce_implIS3_PKfPfPKifN6hipcub16HIPCUB_304000_NS6detail27convert_result_type_wrapperIS8_S9_N2at6native12_GLOBAL__N_19CustomMinEEEEE10hipError_tPvRmT0_T1_jT2_SQ_T4_T3_P12ihipStream_tbEUlT_E_NS1_11comp_targetILNS1_3genE0ELNS1_11target_archE4294967295ELNS1_3gpuE0ELNS1_3repE0EEENS1_30default_config_static_selectorELNS0_4arch9wavefront6targetE1EEEvSP_.kd
    .uniform_work_group_size: 1
    .uses_dynamic_stack: false
    .vgpr_count:     0
    .vgpr_spill_count: 0
    .wavefront_size: 64
  - .args:
      - .offset:         0
        .size:           48
        .value_kind:     by_value
    .group_segment_fixed_size: 0
    .kernarg_segment_align: 8
    .kernarg_segment_size: 48
    .language:       OpenCL C
    .language_version:
      - 2
      - 0
    .max_flat_workgroup_size: 256
    .name:           _ZN7rocprim17ROCPRIM_400000_NS6detail17trampoline_kernelINS0_14default_configENS1_32segmented_reduce_config_selectorIfEEZNS1_21segmented_reduce_implIS3_PKfPfPKifN6hipcub16HIPCUB_304000_NS6detail27convert_result_type_wrapperIS8_S9_N2at6native12_GLOBAL__N_19CustomMinEEEEE10hipError_tPvRmT0_T1_jT2_SQ_T4_T3_P12ihipStream_tbEUlT_E_NS1_11comp_targetILNS1_3genE5ELNS1_11target_archE942ELNS1_3gpuE9ELNS1_3repE0EEENS1_30default_config_static_selectorELNS0_4arch9wavefront6targetE1EEEvSP_
    .private_segment_fixed_size: 0
    .sgpr_count:     4
    .sgpr_spill_count: 0
    .symbol:         _ZN7rocprim17ROCPRIM_400000_NS6detail17trampoline_kernelINS0_14default_configENS1_32segmented_reduce_config_selectorIfEEZNS1_21segmented_reduce_implIS3_PKfPfPKifN6hipcub16HIPCUB_304000_NS6detail27convert_result_type_wrapperIS8_S9_N2at6native12_GLOBAL__N_19CustomMinEEEEE10hipError_tPvRmT0_T1_jT2_SQ_T4_T3_P12ihipStream_tbEUlT_E_NS1_11comp_targetILNS1_3genE5ELNS1_11target_archE942ELNS1_3gpuE9ELNS1_3repE0EEENS1_30default_config_static_selectorELNS0_4arch9wavefront6targetE1EEEvSP_.kd
    .uniform_work_group_size: 1
    .uses_dynamic_stack: false
    .vgpr_count:     0
    .vgpr_spill_count: 0
    .wavefront_size: 64
  - .args:
      - .offset:         0
        .size:           48
        .value_kind:     by_value
    .group_segment_fixed_size: 0
    .kernarg_segment_align: 8
    .kernarg_segment_size: 48
    .language:       OpenCL C
    .language_version:
      - 2
      - 0
    .max_flat_workgroup_size: 256
    .name:           _ZN7rocprim17ROCPRIM_400000_NS6detail17trampoline_kernelINS0_14default_configENS1_32segmented_reduce_config_selectorIfEEZNS1_21segmented_reduce_implIS3_PKfPfPKifN6hipcub16HIPCUB_304000_NS6detail27convert_result_type_wrapperIS8_S9_N2at6native12_GLOBAL__N_19CustomMinEEEEE10hipError_tPvRmT0_T1_jT2_SQ_T4_T3_P12ihipStream_tbEUlT_E_NS1_11comp_targetILNS1_3genE10ELNS1_11target_archE1201ELNS1_3gpuE5ELNS1_3repE0EEENS1_30default_config_static_selectorELNS0_4arch9wavefront6targetE1EEEvSP_
    .private_segment_fixed_size: 0
    .sgpr_count:     4
    .sgpr_spill_count: 0
    .symbol:         _ZN7rocprim17ROCPRIM_400000_NS6detail17trampoline_kernelINS0_14default_configENS1_32segmented_reduce_config_selectorIfEEZNS1_21segmented_reduce_implIS3_PKfPfPKifN6hipcub16HIPCUB_304000_NS6detail27convert_result_type_wrapperIS8_S9_N2at6native12_GLOBAL__N_19CustomMinEEEEE10hipError_tPvRmT0_T1_jT2_SQ_T4_T3_P12ihipStream_tbEUlT_E_NS1_11comp_targetILNS1_3genE10ELNS1_11target_archE1201ELNS1_3gpuE5ELNS1_3repE0EEENS1_30default_config_static_selectorELNS0_4arch9wavefront6targetE1EEEvSP_.kd
    .uniform_work_group_size: 1
    .uses_dynamic_stack: false
    .vgpr_count:     0
    .vgpr_spill_count: 0
    .wavefront_size: 64
  - .args:
      - .offset:         0
        .size:           48
        .value_kind:     by_value
    .group_segment_fixed_size: 0
    .kernarg_segment_align: 8
    .kernarg_segment_size: 48
    .language:       OpenCL C
    .language_version:
      - 2
      - 0
    .max_flat_workgroup_size: 256
    .name:           _ZN7rocprim17ROCPRIM_400000_NS6detail17trampoline_kernelINS0_14default_configENS1_32segmented_reduce_config_selectorIfEEZNS1_21segmented_reduce_implIS3_PKfPfPKifN6hipcub16HIPCUB_304000_NS6detail27convert_result_type_wrapperIS8_S9_N2at6native12_GLOBAL__N_19CustomMinEEEEE10hipError_tPvRmT0_T1_jT2_SQ_T4_T3_P12ihipStream_tbEUlT_E_NS1_11comp_targetILNS1_3genE4ELNS1_11target_archE910ELNS1_3gpuE8ELNS1_3repE0EEENS1_30default_config_static_selectorELNS0_4arch9wavefront6targetE1EEEvSP_
    .private_segment_fixed_size: 0
    .sgpr_count:     4
    .sgpr_spill_count: 0
    .symbol:         _ZN7rocprim17ROCPRIM_400000_NS6detail17trampoline_kernelINS0_14default_configENS1_32segmented_reduce_config_selectorIfEEZNS1_21segmented_reduce_implIS3_PKfPfPKifN6hipcub16HIPCUB_304000_NS6detail27convert_result_type_wrapperIS8_S9_N2at6native12_GLOBAL__N_19CustomMinEEEEE10hipError_tPvRmT0_T1_jT2_SQ_T4_T3_P12ihipStream_tbEUlT_E_NS1_11comp_targetILNS1_3genE4ELNS1_11target_archE910ELNS1_3gpuE8ELNS1_3repE0EEENS1_30default_config_static_selectorELNS0_4arch9wavefront6targetE1EEEvSP_.kd
    .uniform_work_group_size: 1
    .uses_dynamic_stack: false
    .vgpr_count:     0
    .vgpr_spill_count: 0
    .wavefront_size: 64
  - .args:
      - .offset:         0
        .size:           48
        .value_kind:     by_value
    .group_segment_fixed_size: 0
    .kernarg_segment_align: 8
    .kernarg_segment_size: 48
    .language:       OpenCL C
    .language_version:
      - 2
      - 0
    .max_flat_workgroup_size: 256
    .name:           _ZN7rocprim17ROCPRIM_400000_NS6detail17trampoline_kernelINS0_14default_configENS1_32segmented_reduce_config_selectorIfEEZNS1_21segmented_reduce_implIS3_PKfPfPKifN6hipcub16HIPCUB_304000_NS6detail27convert_result_type_wrapperIS8_S9_N2at6native12_GLOBAL__N_19CustomMinEEEEE10hipError_tPvRmT0_T1_jT2_SQ_T4_T3_P12ihipStream_tbEUlT_E_NS1_11comp_targetILNS1_3genE3ELNS1_11target_archE908ELNS1_3gpuE7ELNS1_3repE0EEENS1_30default_config_static_selectorELNS0_4arch9wavefront6targetE1EEEvSP_
    .private_segment_fixed_size: 0
    .sgpr_count:     4
    .sgpr_spill_count: 0
    .symbol:         _ZN7rocprim17ROCPRIM_400000_NS6detail17trampoline_kernelINS0_14default_configENS1_32segmented_reduce_config_selectorIfEEZNS1_21segmented_reduce_implIS3_PKfPfPKifN6hipcub16HIPCUB_304000_NS6detail27convert_result_type_wrapperIS8_S9_N2at6native12_GLOBAL__N_19CustomMinEEEEE10hipError_tPvRmT0_T1_jT2_SQ_T4_T3_P12ihipStream_tbEUlT_E_NS1_11comp_targetILNS1_3genE3ELNS1_11target_archE908ELNS1_3gpuE7ELNS1_3repE0EEENS1_30default_config_static_selectorELNS0_4arch9wavefront6targetE1EEEvSP_.kd
    .uniform_work_group_size: 1
    .uses_dynamic_stack: false
    .vgpr_count:     0
    .vgpr_spill_count: 0
    .wavefront_size: 64
  - .args:
      - .offset:         0
        .size:           48
        .value_kind:     by_value
    .group_segment_fixed_size: 16
    .kernarg_segment_align: 8
    .kernarg_segment_size: 48
    .language:       OpenCL C
    .language_version:
      - 2
      - 0
    .max_flat_workgroup_size: 256
    .name:           _ZN7rocprim17ROCPRIM_400000_NS6detail17trampoline_kernelINS0_14default_configENS1_32segmented_reduce_config_selectorIfEEZNS1_21segmented_reduce_implIS3_PKfPfPKifN6hipcub16HIPCUB_304000_NS6detail27convert_result_type_wrapperIS8_S9_N2at6native12_GLOBAL__N_19CustomMinEEEEE10hipError_tPvRmT0_T1_jT2_SQ_T4_T3_P12ihipStream_tbEUlT_E_NS1_11comp_targetILNS1_3genE2ELNS1_11target_archE906ELNS1_3gpuE6ELNS1_3repE0EEENS1_30default_config_static_selectorELNS0_4arch9wavefront6targetE1EEEvSP_
    .private_segment_fixed_size: 0
    .sgpr_count:     27
    .sgpr_spill_count: 0
    .symbol:         _ZN7rocprim17ROCPRIM_400000_NS6detail17trampoline_kernelINS0_14default_configENS1_32segmented_reduce_config_selectorIfEEZNS1_21segmented_reduce_implIS3_PKfPfPKifN6hipcub16HIPCUB_304000_NS6detail27convert_result_type_wrapperIS8_S9_N2at6native12_GLOBAL__N_19CustomMinEEEEE10hipError_tPvRmT0_T1_jT2_SQ_T4_T3_P12ihipStream_tbEUlT_E_NS1_11comp_targetILNS1_3genE2ELNS1_11target_archE906ELNS1_3gpuE6ELNS1_3repE0EEENS1_30default_config_static_selectorELNS0_4arch9wavefront6targetE1EEEvSP_.kd
    .uniform_work_group_size: 1
    .uses_dynamic_stack: false
    .vgpr_count:     33
    .vgpr_spill_count: 0
    .wavefront_size: 64
  - .args:
      - .offset:         0
        .size:           48
        .value_kind:     by_value
    .group_segment_fixed_size: 0
    .kernarg_segment_align: 8
    .kernarg_segment_size: 48
    .language:       OpenCL C
    .language_version:
      - 2
      - 0
    .max_flat_workgroup_size: 256
    .name:           _ZN7rocprim17ROCPRIM_400000_NS6detail17trampoline_kernelINS0_14default_configENS1_32segmented_reduce_config_selectorIfEEZNS1_21segmented_reduce_implIS3_PKfPfPKifN6hipcub16HIPCUB_304000_NS6detail27convert_result_type_wrapperIS8_S9_N2at6native12_GLOBAL__N_19CustomMinEEEEE10hipError_tPvRmT0_T1_jT2_SQ_T4_T3_P12ihipStream_tbEUlT_E_NS1_11comp_targetILNS1_3genE9ELNS1_11target_archE1100ELNS1_3gpuE3ELNS1_3repE0EEENS1_30default_config_static_selectorELNS0_4arch9wavefront6targetE1EEEvSP_
    .private_segment_fixed_size: 0
    .sgpr_count:     4
    .sgpr_spill_count: 0
    .symbol:         _ZN7rocprim17ROCPRIM_400000_NS6detail17trampoline_kernelINS0_14default_configENS1_32segmented_reduce_config_selectorIfEEZNS1_21segmented_reduce_implIS3_PKfPfPKifN6hipcub16HIPCUB_304000_NS6detail27convert_result_type_wrapperIS8_S9_N2at6native12_GLOBAL__N_19CustomMinEEEEE10hipError_tPvRmT0_T1_jT2_SQ_T4_T3_P12ihipStream_tbEUlT_E_NS1_11comp_targetILNS1_3genE9ELNS1_11target_archE1100ELNS1_3gpuE3ELNS1_3repE0EEENS1_30default_config_static_selectorELNS0_4arch9wavefront6targetE1EEEvSP_.kd
    .uniform_work_group_size: 1
    .uses_dynamic_stack: false
    .vgpr_count:     0
    .vgpr_spill_count: 0
    .wavefront_size: 64
  - .args:
      - .offset:         0
        .size:           48
        .value_kind:     by_value
    .group_segment_fixed_size: 0
    .kernarg_segment_align: 8
    .kernarg_segment_size: 48
    .language:       OpenCL C
    .language_version:
      - 2
      - 0
    .max_flat_workgroup_size: 256
    .name:           _ZN7rocprim17ROCPRIM_400000_NS6detail17trampoline_kernelINS0_14default_configENS1_32segmented_reduce_config_selectorIfEEZNS1_21segmented_reduce_implIS3_PKfPfPKifN6hipcub16HIPCUB_304000_NS6detail27convert_result_type_wrapperIS8_S9_N2at6native12_GLOBAL__N_19CustomMinEEEEE10hipError_tPvRmT0_T1_jT2_SQ_T4_T3_P12ihipStream_tbEUlT_E_NS1_11comp_targetILNS1_3genE8ELNS1_11target_archE1030ELNS1_3gpuE2ELNS1_3repE0EEENS1_30default_config_static_selectorELNS0_4arch9wavefront6targetE1EEEvSP_
    .private_segment_fixed_size: 0
    .sgpr_count:     4
    .sgpr_spill_count: 0
    .symbol:         _ZN7rocprim17ROCPRIM_400000_NS6detail17trampoline_kernelINS0_14default_configENS1_32segmented_reduce_config_selectorIfEEZNS1_21segmented_reduce_implIS3_PKfPfPKifN6hipcub16HIPCUB_304000_NS6detail27convert_result_type_wrapperIS8_S9_N2at6native12_GLOBAL__N_19CustomMinEEEEE10hipError_tPvRmT0_T1_jT2_SQ_T4_T3_P12ihipStream_tbEUlT_E_NS1_11comp_targetILNS1_3genE8ELNS1_11target_archE1030ELNS1_3gpuE2ELNS1_3repE0EEENS1_30default_config_static_selectorELNS0_4arch9wavefront6targetE1EEEvSP_.kd
    .uniform_work_group_size: 1
    .uses_dynamic_stack: false
    .vgpr_count:     0
    .vgpr_spill_count: 0
    .wavefront_size: 64
  - .args:
      - .offset:         0
        .size:           48
        .value_kind:     by_value
    .group_segment_fixed_size: 0
    .kernarg_segment_align: 8
    .kernarg_segment_size: 48
    .language:       OpenCL C
    .language_version:
      - 2
      - 0
    .max_flat_workgroup_size: 256
    .name:           _ZN7rocprim17ROCPRIM_400000_NS6detail17trampoline_kernelINS0_14default_configENS1_32segmented_reduce_config_selectorIfEEZNS1_21segmented_reduce_implIS3_PKfPfPKifN6hipcub16HIPCUB_304000_NS6detail27convert_result_type_wrapperIS8_S9_N2at6native12_GLOBAL__N_110CustomProdEEEEE10hipError_tPvRmT0_T1_jT2_SQ_T4_T3_P12ihipStream_tbEUlT_E_NS1_11comp_targetILNS1_3genE0ELNS1_11target_archE4294967295ELNS1_3gpuE0ELNS1_3repE0EEENS1_30default_config_static_selectorELNS0_4arch9wavefront6targetE1EEEvSP_
    .private_segment_fixed_size: 0
    .sgpr_count:     4
    .sgpr_spill_count: 0
    .symbol:         _ZN7rocprim17ROCPRIM_400000_NS6detail17trampoline_kernelINS0_14default_configENS1_32segmented_reduce_config_selectorIfEEZNS1_21segmented_reduce_implIS3_PKfPfPKifN6hipcub16HIPCUB_304000_NS6detail27convert_result_type_wrapperIS8_S9_N2at6native12_GLOBAL__N_110CustomProdEEEEE10hipError_tPvRmT0_T1_jT2_SQ_T4_T3_P12ihipStream_tbEUlT_E_NS1_11comp_targetILNS1_3genE0ELNS1_11target_archE4294967295ELNS1_3gpuE0ELNS1_3repE0EEENS1_30default_config_static_selectorELNS0_4arch9wavefront6targetE1EEEvSP_.kd
    .uniform_work_group_size: 1
    .uses_dynamic_stack: false
    .vgpr_count:     0
    .vgpr_spill_count: 0
    .wavefront_size: 64
  - .args:
      - .offset:         0
        .size:           48
        .value_kind:     by_value
    .group_segment_fixed_size: 0
    .kernarg_segment_align: 8
    .kernarg_segment_size: 48
    .language:       OpenCL C
    .language_version:
      - 2
      - 0
    .max_flat_workgroup_size: 256
    .name:           _ZN7rocprim17ROCPRIM_400000_NS6detail17trampoline_kernelINS0_14default_configENS1_32segmented_reduce_config_selectorIfEEZNS1_21segmented_reduce_implIS3_PKfPfPKifN6hipcub16HIPCUB_304000_NS6detail27convert_result_type_wrapperIS8_S9_N2at6native12_GLOBAL__N_110CustomProdEEEEE10hipError_tPvRmT0_T1_jT2_SQ_T4_T3_P12ihipStream_tbEUlT_E_NS1_11comp_targetILNS1_3genE5ELNS1_11target_archE942ELNS1_3gpuE9ELNS1_3repE0EEENS1_30default_config_static_selectorELNS0_4arch9wavefront6targetE1EEEvSP_
    .private_segment_fixed_size: 0
    .sgpr_count:     4
    .sgpr_spill_count: 0
    .symbol:         _ZN7rocprim17ROCPRIM_400000_NS6detail17trampoline_kernelINS0_14default_configENS1_32segmented_reduce_config_selectorIfEEZNS1_21segmented_reduce_implIS3_PKfPfPKifN6hipcub16HIPCUB_304000_NS6detail27convert_result_type_wrapperIS8_S9_N2at6native12_GLOBAL__N_110CustomProdEEEEE10hipError_tPvRmT0_T1_jT2_SQ_T4_T3_P12ihipStream_tbEUlT_E_NS1_11comp_targetILNS1_3genE5ELNS1_11target_archE942ELNS1_3gpuE9ELNS1_3repE0EEENS1_30default_config_static_selectorELNS0_4arch9wavefront6targetE1EEEvSP_.kd
    .uniform_work_group_size: 1
    .uses_dynamic_stack: false
    .vgpr_count:     0
    .vgpr_spill_count: 0
    .wavefront_size: 64
  - .args:
      - .offset:         0
        .size:           48
        .value_kind:     by_value
    .group_segment_fixed_size: 0
    .kernarg_segment_align: 8
    .kernarg_segment_size: 48
    .language:       OpenCL C
    .language_version:
      - 2
      - 0
    .max_flat_workgroup_size: 256
    .name:           _ZN7rocprim17ROCPRIM_400000_NS6detail17trampoline_kernelINS0_14default_configENS1_32segmented_reduce_config_selectorIfEEZNS1_21segmented_reduce_implIS3_PKfPfPKifN6hipcub16HIPCUB_304000_NS6detail27convert_result_type_wrapperIS8_S9_N2at6native12_GLOBAL__N_110CustomProdEEEEE10hipError_tPvRmT0_T1_jT2_SQ_T4_T3_P12ihipStream_tbEUlT_E_NS1_11comp_targetILNS1_3genE10ELNS1_11target_archE1201ELNS1_3gpuE5ELNS1_3repE0EEENS1_30default_config_static_selectorELNS0_4arch9wavefront6targetE1EEEvSP_
    .private_segment_fixed_size: 0
    .sgpr_count:     4
    .sgpr_spill_count: 0
    .symbol:         _ZN7rocprim17ROCPRIM_400000_NS6detail17trampoline_kernelINS0_14default_configENS1_32segmented_reduce_config_selectorIfEEZNS1_21segmented_reduce_implIS3_PKfPfPKifN6hipcub16HIPCUB_304000_NS6detail27convert_result_type_wrapperIS8_S9_N2at6native12_GLOBAL__N_110CustomProdEEEEE10hipError_tPvRmT0_T1_jT2_SQ_T4_T3_P12ihipStream_tbEUlT_E_NS1_11comp_targetILNS1_3genE10ELNS1_11target_archE1201ELNS1_3gpuE5ELNS1_3repE0EEENS1_30default_config_static_selectorELNS0_4arch9wavefront6targetE1EEEvSP_.kd
    .uniform_work_group_size: 1
    .uses_dynamic_stack: false
    .vgpr_count:     0
    .vgpr_spill_count: 0
    .wavefront_size: 64
  - .args:
      - .offset:         0
        .size:           48
        .value_kind:     by_value
    .group_segment_fixed_size: 0
    .kernarg_segment_align: 8
    .kernarg_segment_size: 48
    .language:       OpenCL C
    .language_version:
      - 2
      - 0
    .max_flat_workgroup_size: 256
    .name:           _ZN7rocprim17ROCPRIM_400000_NS6detail17trampoline_kernelINS0_14default_configENS1_32segmented_reduce_config_selectorIfEEZNS1_21segmented_reduce_implIS3_PKfPfPKifN6hipcub16HIPCUB_304000_NS6detail27convert_result_type_wrapperIS8_S9_N2at6native12_GLOBAL__N_110CustomProdEEEEE10hipError_tPvRmT0_T1_jT2_SQ_T4_T3_P12ihipStream_tbEUlT_E_NS1_11comp_targetILNS1_3genE4ELNS1_11target_archE910ELNS1_3gpuE8ELNS1_3repE0EEENS1_30default_config_static_selectorELNS0_4arch9wavefront6targetE1EEEvSP_
    .private_segment_fixed_size: 0
    .sgpr_count:     4
    .sgpr_spill_count: 0
    .symbol:         _ZN7rocprim17ROCPRIM_400000_NS6detail17trampoline_kernelINS0_14default_configENS1_32segmented_reduce_config_selectorIfEEZNS1_21segmented_reduce_implIS3_PKfPfPKifN6hipcub16HIPCUB_304000_NS6detail27convert_result_type_wrapperIS8_S9_N2at6native12_GLOBAL__N_110CustomProdEEEEE10hipError_tPvRmT0_T1_jT2_SQ_T4_T3_P12ihipStream_tbEUlT_E_NS1_11comp_targetILNS1_3genE4ELNS1_11target_archE910ELNS1_3gpuE8ELNS1_3repE0EEENS1_30default_config_static_selectorELNS0_4arch9wavefront6targetE1EEEvSP_.kd
    .uniform_work_group_size: 1
    .uses_dynamic_stack: false
    .vgpr_count:     0
    .vgpr_spill_count: 0
    .wavefront_size: 64
  - .args:
      - .offset:         0
        .size:           48
        .value_kind:     by_value
    .group_segment_fixed_size: 0
    .kernarg_segment_align: 8
    .kernarg_segment_size: 48
    .language:       OpenCL C
    .language_version:
      - 2
      - 0
    .max_flat_workgroup_size: 256
    .name:           _ZN7rocprim17ROCPRIM_400000_NS6detail17trampoline_kernelINS0_14default_configENS1_32segmented_reduce_config_selectorIfEEZNS1_21segmented_reduce_implIS3_PKfPfPKifN6hipcub16HIPCUB_304000_NS6detail27convert_result_type_wrapperIS8_S9_N2at6native12_GLOBAL__N_110CustomProdEEEEE10hipError_tPvRmT0_T1_jT2_SQ_T4_T3_P12ihipStream_tbEUlT_E_NS1_11comp_targetILNS1_3genE3ELNS1_11target_archE908ELNS1_3gpuE7ELNS1_3repE0EEENS1_30default_config_static_selectorELNS0_4arch9wavefront6targetE1EEEvSP_
    .private_segment_fixed_size: 0
    .sgpr_count:     4
    .sgpr_spill_count: 0
    .symbol:         _ZN7rocprim17ROCPRIM_400000_NS6detail17trampoline_kernelINS0_14default_configENS1_32segmented_reduce_config_selectorIfEEZNS1_21segmented_reduce_implIS3_PKfPfPKifN6hipcub16HIPCUB_304000_NS6detail27convert_result_type_wrapperIS8_S9_N2at6native12_GLOBAL__N_110CustomProdEEEEE10hipError_tPvRmT0_T1_jT2_SQ_T4_T3_P12ihipStream_tbEUlT_E_NS1_11comp_targetILNS1_3genE3ELNS1_11target_archE908ELNS1_3gpuE7ELNS1_3repE0EEENS1_30default_config_static_selectorELNS0_4arch9wavefront6targetE1EEEvSP_.kd
    .uniform_work_group_size: 1
    .uses_dynamic_stack: false
    .vgpr_count:     0
    .vgpr_spill_count: 0
    .wavefront_size: 64
  - .args:
      - .offset:         0
        .size:           48
        .value_kind:     by_value
    .group_segment_fixed_size: 16
    .kernarg_segment_align: 8
    .kernarg_segment_size: 48
    .language:       OpenCL C
    .language_version:
      - 2
      - 0
    .max_flat_workgroup_size: 256
    .name:           _ZN7rocprim17ROCPRIM_400000_NS6detail17trampoline_kernelINS0_14default_configENS1_32segmented_reduce_config_selectorIfEEZNS1_21segmented_reduce_implIS3_PKfPfPKifN6hipcub16HIPCUB_304000_NS6detail27convert_result_type_wrapperIS8_S9_N2at6native12_GLOBAL__N_110CustomProdEEEEE10hipError_tPvRmT0_T1_jT2_SQ_T4_T3_P12ihipStream_tbEUlT_E_NS1_11comp_targetILNS1_3genE2ELNS1_11target_archE906ELNS1_3gpuE6ELNS1_3repE0EEENS1_30default_config_static_selectorELNS0_4arch9wavefront6targetE1EEEvSP_
    .private_segment_fixed_size: 0
    .sgpr_count:     53
    .sgpr_spill_count: 0
    .symbol:         _ZN7rocprim17ROCPRIM_400000_NS6detail17trampoline_kernelINS0_14default_configENS1_32segmented_reduce_config_selectorIfEEZNS1_21segmented_reduce_implIS3_PKfPfPKifN6hipcub16HIPCUB_304000_NS6detail27convert_result_type_wrapperIS8_S9_N2at6native12_GLOBAL__N_110CustomProdEEEEE10hipError_tPvRmT0_T1_jT2_SQ_T4_T3_P12ihipStream_tbEUlT_E_NS1_11comp_targetILNS1_3genE2ELNS1_11target_archE906ELNS1_3gpuE6ELNS1_3repE0EEENS1_30default_config_static_selectorELNS0_4arch9wavefront6targetE1EEEvSP_.kd
    .uniform_work_group_size: 1
    .uses_dynamic_stack: false
    .vgpr_count:     23
    .vgpr_spill_count: 0
    .wavefront_size: 64
  - .args:
      - .offset:         0
        .size:           48
        .value_kind:     by_value
    .group_segment_fixed_size: 0
    .kernarg_segment_align: 8
    .kernarg_segment_size: 48
    .language:       OpenCL C
    .language_version:
      - 2
      - 0
    .max_flat_workgroup_size: 256
    .name:           _ZN7rocprim17ROCPRIM_400000_NS6detail17trampoline_kernelINS0_14default_configENS1_32segmented_reduce_config_selectorIfEEZNS1_21segmented_reduce_implIS3_PKfPfPKifN6hipcub16HIPCUB_304000_NS6detail27convert_result_type_wrapperIS8_S9_N2at6native12_GLOBAL__N_110CustomProdEEEEE10hipError_tPvRmT0_T1_jT2_SQ_T4_T3_P12ihipStream_tbEUlT_E_NS1_11comp_targetILNS1_3genE9ELNS1_11target_archE1100ELNS1_3gpuE3ELNS1_3repE0EEENS1_30default_config_static_selectorELNS0_4arch9wavefront6targetE1EEEvSP_
    .private_segment_fixed_size: 0
    .sgpr_count:     4
    .sgpr_spill_count: 0
    .symbol:         _ZN7rocprim17ROCPRIM_400000_NS6detail17trampoline_kernelINS0_14default_configENS1_32segmented_reduce_config_selectorIfEEZNS1_21segmented_reduce_implIS3_PKfPfPKifN6hipcub16HIPCUB_304000_NS6detail27convert_result_type_wrapperIS8_S9_N2at6native12_GLOBAL__N_110CustomProdEEEEE10hipError_tPvRmT0_T1_jT2_SQ_T4_T3_P12ihipStream_tbEUlT_E_NS1_11comp_targetILNS1_3genE9ELNS1_11target_archE1100ELNS1_3gpuE3ELNS1_3repE0EEENS1_30default_config_static_selectorELNS0_4arch9wavefront6targetE1EEEvSP_.kd
    .uniform_work_group_size: 1
    .uses_dynamic_stack: false
    .vgpr_count:     0
    .vgpr_spill_count: 0
    .wavefront_size: 64
  - .args:
      - .offset:         0
        .size:           48
        .value_kind:     by_value
    .group_segment_fixed_size: 0
    .kernarg_segment_align: 8
    .kernarg_segment_size: 48
    .language:       OpenCL C
    .language_version:
      - 2
      - 0
    .max_flat_workgroup_size: 256
    .name:           _ZN7rocprim17ROCPRIM_400000_NS6detail17trampoline_kernelINS0_14default_configENS1_32segmented_reduce_config_selectorIfEEZNS1_21segmented_reduce_implIS3_PKfPfPKifN6hipcub16HIPCUB_304000_NS6detail27convert_result_type_wrapperIS8_S9_N2at6native12_GLOBAL__N_110CustomProdEEEEE10hipError_tPvRmT0_T1_jT2_SQ_T4_T3_P12ihipStream_tbEUlT_E_NS1_11comp_targetILNS1_3genE8ELNS1_11target_archE1030ELNS1_3gpuE2ELNS1_3repE0EEENS1_30default_config_static_selectorELNS0_4arch9wavefront6targetE1EEEvSP_
    .private_segment_fixed_size: 0
    .sgpr_count:     4
    .sgpr_spill_count: 0
    .symbol:         _ZN7rocprim17ROCPRIM_400000_NS6detail17trampoline_kernelINS0_14default_configENS1_32segmented_reduce_config_selectorIfEEZNS1_21segmented_reduce_implIS3_PKfPfPKifN6hipcub16HIPCUB_304000_NS6detail27convert_result_type_wrapperIS8_S9_N2at6native12_GLOBAL__N_110CustomProdEEEEE10hipError_tPvRmT0_T1_jT2_SQ_T4_T3_P12ihipStream_tbEUlT_E_NS1_11comp_targetILNS1_3genE8ELNS1_11target_archE1030ELNS1_3gpuE2ELNS1_3repE0EEENS1_30default_config_static_selectorELNS0_4arch9wavefront6targetE1EEEvSP_.kd
    .uniform_work_group_size: 1
    .uses_dynamic_stack: false
    .vgpr_count:     0
    .vgpr_spill_count: 0
    .wavefront_size: 64
  - .args:
      - .offset:         0
        .size:           4
        .value_kind:     by_value
      - .address_space:  global
        .offset:         8
        .size:           8
        .value_kind:     global_buffer
      - .address_space:  global
        .offset:         16
        .size:           8
        .value_kind:     global_buffer
      - .address_space:  global
        .offset:         24
        .size:           8
        .value_kind:     global_buffer
      - .address_space:  global
        .offset:         32
        .size:           8
        .value_kind:     global_buffer
      - .offset:         40
        .size:           8
        .value_kind:     by_value
      - .offset:         48
        .size:           8
        .value_kind:     by_value
      - .offset:         56
        .size:           1
        .value_kind:     by_value
      - .offset:         58
        .size:           2
        .value_kind:     by_value
      - .offset:         64
        .size:           8
        .value_kind:     by_value
      - .offset:         72
        .size:           8
        .value_kind:     by_value
      - .offset:         80
        .size:           8
        .value_kind:     by_value
      - .offset:         88
        .size:           8
        .value_kind:     by_value
      - .offset:         96
        .size:           8
        .value_kind:     by_value
      - .offset:         104
        .size:           8
        .value_kind:     by_value
      - .offset:         112
        .size:           8
        .value_kind:     by_value
      - .offset:         120
        .size:           4
        .value_kind:     hidden_block_count_x
      - .offset:         124
        .size:           4
        .value_kind:     hidden_block_count_y
      - .offset:         128
        .size:           4
        .value_kind:     hidden_block_count_z
      - .offset:         132
        .size:           2
        .value_kind:     hidden_group_size_x
      - .offset:         134
        .size:           2
        .value_kind:     hidden_group_size_y
      - .offset:         136
        .size:           2
        .value_kind:     hidden_group_size_z
      - .offset:         138
        .size:           2
        .value_kind:     hidden_remainder_x
      - .offset:         140
        .size:           2
        .value_kind:     hidden_remainder_y
      - .offset:         142
        .size:           2
        .value_kind:     hidden_remainder_z
      - .offset:         160
        .size:           8
        .value_kind:     hidden_global_offset_x
      - .offset:         168
        .size:           8
        .value_kind:     hidden_global_offset_y
      - .offset:         176
        .size:           8
        .value_kind:     hidden_global_offset_z
      - .offset:         184
        .size:           2
        .value_kind:     hidden_grid_dims
    .group_segment_fixed_size: 0
    .kernarg_segment_align: 8
    .kernarg_segment_size: 376
    .language:       OpenCL C
    .language_version:
      - 2
      - 0
    .max_flat_workgroup_size: 1024
    .name:           _ZN2at6native12_GLOBAL__N_129segment_reduce_forward_kernelIN3c104HalfEiEEvNS0_13ReductionTypeEPT_PKS6_PKT0_SC_llbS6_lllllll
    .private_segment_fixed_size: 0
    .sgpr_count:     46
    .sgpr_spill_count: 0
    .symbol:         _ZN2at6native12_GLOBAL__N_129segment_reduce_forward_kernelIN3c104HalfEiEEvNS0_13ReductionTypeEPT_PKS6_PKT0_SC_llbS6_lllllll.kd
    .uniform_work_group_size: 1
    .uses_dynamic_stack: false
    .vgpr_count:     19
    .vgpr_spill_count: 0
    .wavefront_size: 64
  - .args:
      - .offset:         0
        .size:           48
        .value_kind:     by_value
    .group_segment_fixed_size: 0
    .kernarg_segment_align: 8
    .kernarg_segment_size: 48
    .language:       OpenCL C
    .language_version:
      - 2
      - 0
    .max_flat_workgroup_size: 256
    .name:           _ZN7rocprim17ROCPRIM_400000_NS6detail17trampoline_kernelINS0_14default_configENS1_32segmented_reduce_config_selectorIN3c104HalfEEEZNS1_21segmented_reduce_implIS3_PKS6_PS6_PKiS6_N6hipcub16HIPCUB_304000_NS6detail27convert_result_type_wrapperISA_SB_N2at6native12_GLOBAL__N_19CustomMaxEEEEE10hipError_tPvRmT0_T1_jT2_SS_T4_T3_P12ihipStream_tbEUlT_E_NS1_11comp_targetILNS1_3genE0ELNS1_11target_archE4294967295ELNS1_3gpuE0ELNS1_3repE0EEENS1_30default_config_static_selectorELNS0_4arch9wavefront6targetE1EEEvSR_
    .private_segment_fixed_size: 0
    .sgpr_count:     4
    .sgpr_spill_count: 0
    .symbol:         _ZN7rocprim17ROCPRIM_400000_NS6detail17trampoline_kernelINS0_14default_configENS1_32segmented_reduce_config_selectorIN3c104HalfEEEZNS1_21segmented_reduce_implIS3_PKS6_PS6_PKiS6_N6hipcub16HIPCUB_304000_NS6detail27convert_result_type_wrapperISA_SB_N2at6native12_GLOBAL__N_19CustomMaxEEEEE10hipError_tPvRmT0_T1_jT2_SS_T4_T3_P12ihipStream_tbEUlT_E_NS1_11comp_targetILNS1_3genE0ELNS1_11target_archE4294967295ELNS1_3gpuE0ELNS1_3repE0EEENS1_30default_config_static_selectorELNS0_4arch9wavefront6targetE1EEEvSR_.kd
    .uniform_work_group_size: 1
    .uses_dynamic_stack: false
    .vgpr_count:     0
    .vgpr_spill_count: 0
    .wavefront_size: 64
  - .args:
      - .offset:         0
        .size:           48
        .value_kind:     by_value
    .group_segment_fixed_size: 0
    .kernarg_segment_align: 8
    .kernarg_segment_size: 48
    .language:       OpenCL C
    .language_version:
      - 2
      - 0
    .max_flat_workgroup_size: 256
    .name:           _ZN7rocprim17ROCPRIM_400000_NS6detail17trampoline_kernelINS0_14default_configENS1_32segmented_reduce_config_selectorIN3c104HalfEEEZNS1_21segmented_reduce_implIS3_PKS6_PS6_PKiS6_N6hipcub16HIPCUB_304000_NS6detail27convert_result_type_wrapperISA_SB_N2at6native12_GLOBAL__N_19CustomMaxEEEEE10hipError_tPvRmT0_T1_jT2_SS_T4_T3_P12ihipStream_tbEUlT_E_NS1_11comp_targetILNS1_3genE5ELNS1_11target_archE942ELNS1_3gpuE9ELNS1_3repE0EEENS1_30default_config_static_selectorELNS0_4arch9wavefront6targetE1EEEvSR_
    .private_segment_fixed_size: 0
    .sgpr_count:     4
    .sgpr_spill_count: 0
    .symbol:         _ZN7rocprim17ROCPRIM_400000_NS6detail17trampoline_kernelINS0_14default_configENS1_32segmented_reduce_config_selectorIN3c104HalfEEEZNS1_21segmented_reduce_implIS3_PKS6_PS6_PKiS6_N6hipcub16HIPCUB_304000_NS6detail27convert_result_type_wrapperISA_SB_N2at6native12_GLOBAL__N_19CustomMaxEEEEE10hipError_tPvRmT0_T1_jT2_SS_T4_T3_P12ihipStream_tbEUlT_E_NS1_11comp_targetILNS1_3genE5ELNS1_11target_archE942ELNS1_3gpuE9ELNS1_3repE0EEENS1_30default_config_static_selectorELNS0_4arch9wavefront6targetE1EEEvSR_.kd
    .uniform_work_group_size: 1
    .uses_dynamic_stack: false
    .vgpr_count:     0
    .vgpr_spill_count: 0
    .wavefront_size: 64
  - .args:
      - .offset:         0
        .size:           48
        .value_kind:     by_value
    .group_segment_fixed_size: 0
    .kernarg_segment_align: 8
    .kernarg_segment_size: 48
    .language:       OpenCL C
    .language_version:
      - 2
      - 0
    .max_flat_workgroup_size: 256
    .name:           _ZN7rocprim17ROCPRIM_400000_NS6detail17trampoline_kernelINS0_14default_configENS1_32segmented_reduce_config_selectorIN3c104HalfEEEZNS1_21segmented_reduce_implIS3_PKS6_PS6_PKiS6_N6hipcub16HIPCUB_304000_NS6detail27convert_result_type_wrapperISA_SB_N2at6native12_GLOBAL__N_19CustomMaxEEEEE10hipError_tPvRmT0_T1_jT2_SS_T4_T3_P12ihipStream_tbEUlT_E_NS1_11comp_targetILNS1_3genE10ELNS1_11target_archE1201ELNS1_3gpuE5ELNS1_3repE0EEENS1_30default_config_static_selectorELNS0_4arch9wavefront6targetE1EEEvSR_
    .private_segment_fixed_size: 0
    .sgpr_count:     4
    .sgpr_spill_count: 0
    .symbol:         _ZN7rocprim17ROCPRIM_400000_NS6detail17trampoline_kernelINS0_14default_configENS1_32segmented_reduce_config_selectorIN3c104HalfEEEZNS1_21segmented_reduce_implIS3_PKS6_PS6_PKiS6_N6hipcub16HIPCUB_304000_NS6detail27convert_result_type_wrapperISA_SB_N2at6native12_GLOBAL__N_19CustomMaxEEEEE10hipError_tPvRmT0_T1_jT2_SS_T4_T3_P12ihipStream_tbEUlT_E_NS1_11comp_targetILNS1_3genE10ELNS1_11target_archE1201ELNS1_3gpuE5ELNS1_3repE0EEENS1_30default_config_static_selectorELNS0_4arch9wavefront6targetE1EEEvSR_.kd
    .uniform_work_group_size: 1
    .uses_dynamic_stack: false
    .vgpr_count:     0
    .vgpr_spill_count: 0
    .wavefront_size: 64
  - .args:
      - .offset:         0
        .size:           48
        .value_kind:     by_value
    .group_segment_fixed_size: 0
    .kernarg_segment_align: 8
    .kernarg_segment_size: 48
    .language:       OpenCL C
    .language_version:
      - 2
      - 0
    .max_flat_workgroup_size: 256
    .name:           _ZN7rocprim17ROCPRIM_400000_NS6detail17trampoline_kernelINS0_14default_configENS1_32segmented_reduce_config_selectorIN3c104HalfEEEZNS1_21segmented_reduce_implIS3_PKS6_PS6_PKiS6_N6hipcub16HIPCUB_304000_NS6detail27convert_result_type_wrapperISA_SB_N2at6native12_GLOBAL__N_19CustomMaxEEEEE10hipError_tPvRmT0_T1_jT2_SS_T4_T3_P12ihipStream_tbEUlT_E_NS1_11comp_targetILNS1_3genE4ELNS1_11target_archE910ELNS1_3gpuE8ELNS1_3repE0EEENS1_30default_config_static_selectorELNS0_4arch9wavefront6targetE1EEEvSR_
    .private_segment_fixed_size: 0
    .sgpr_count:     4
    .sgpr_spill_count: 0
    .symbol:         _ZN7rocprim17ROCPRIM_400000_NS6detail17trampoline_kernelINS0_14default_configENS1_32segmented_reduce_config_selectorIN3c104HalfEEEZNS1_21segmented_reduce_implIS3_PKS6_PS6_PKiS6_N6hipcub16HIPCUB_304000_NS6detail27convert_result_type_wrapperISA_SB_N2at6native12_GLOBAL__N_19CustomMaxEEEEE10hipError_tPvRmT0_T1_jT2_SS_T4_T3_P12ihipStream_tbEUlT_E_NS1_11comp_targetILNS1_3genE4ELNS1_11target_archE910ELNS1_3gpuE8ELNS1_3repE0EEENS1_30default_config_static_selectorELNS0_4arch9wavefront6targetE1EEEvSR_.kd
    .uniform_work_group_size: 1
    .uses_dynamic_stack: false
    .vgpr_count:     0
    .vgpr_spill_count: 0
    .wavefront_size: 64
  - .args:
      - .offset:         0
        .size:           48
        .value_kind:     by_value
    .group_segment_fixed_size: 0
    .kernarg_segment_align: 8
    .kernarg_segment_size: 48
    .language:       OpenCL C
    .language_version:
      - 2
      - 0
    .max_flat_workgroup_size: 256
    .name:           _ZN7rocprim17ROCPRIM_400000_NS6detail17trampoline_kernelINS0_14default_configENS1_32segmented_reduce_config_selectorIN3c104HalfEEEZNS1_21segmented_reduce_implIS3_PKS6_PS6_PKiS6_N6hipcub16HIPCUB_304000_NS6detail27convert_result_type_wrapperISA_SB_N2at6native12_GLOBAL__N_19CustomMaxEEEEE10hipError_tPvRmT0_T1_jT2_SS_T4_T3_P12ihipStream_tbEUlT_E_NS1_11comp_targetILNS1_3genE3ELNS1_11target_archE908ELNS1_3gpuE7ELNS1_3repE0EEENS1_30default_config_static_selectorELNS0_4arch9wavefront6targetE1EEEvSR_
    .private_segment_fixed_size: 0
    .sgpr_count:     4
    .sgpr_spill_count: 0
    .symbol:         _ZN7rocprim17ROCPRIM_400000_NS6detail17trampoline_kernelINS0_14default_configENS1_32segmented_reduce_config_selectorIN3c104HalfEEEZNS1_21segmented_reduce_implIS3_PKS6_PS6_PKiS6_N6hipcub16HIPCUB_304000_NS6detail27convert_result_type_wrapperISA_SB_N2at6native12_GLOBAL__N_19CustomMaxEEEEE10hipError_tPvRmT0_T1_jT2_SS_T4_T3_P12ihipStream_tbEUlT_E_NS1_11comp_targetILNS1_3genE3ELNS1_11target_archE908ELNS1_3gpuE7ELNS1_3repE0EEENS1_30default_config_static_selectorELNS0_4arch9wavefront6targetE1EEEvSR_.kd
    .uniform_work_group_size: 1
    .uses_dynamic_stack: false
    .vgpr_count:     0
    .vgpr_spill_count: 0
    .wavefront_size: 64
  - .args:
      - .offset:         0
        .size:           48
        .value_kind:     by_value
    .group_segment_fixed_size: 8
    .kernarg_segment_align: 8
    .kernarg_segment_size: 48
    .language:       OpenCL C
    .language_version:
      - 2
      - 0
    .max_flat_workgroup_size: 256
    .name:           _ZN7rocprim17ROCPRIM_400000_NS6detail17trampoline_kernelINS0_14default_configENS1_32segmented_reduce_config_selectorIN3c104HalfEEEZNS1_21segmented_reduce_implIS3_PKS6_PS6_PKiS6_N6hipcub16HIPCUB_304000_NS6detail27convert_result_type_wrapperISA_SB_N2at6native12_GLOBAL__N_19CustomMaxEEEEE10hipError_tPvRmT0_T1_jT2_SS_T4_T3_P12ihipStream_tbEUlT_E_NS1_11comp_targetILNS1_3genE2ELNS1_11target_archE906ELNS1_3gpuE6ELNS1_3repE0EEENS1_30default_config_static_selectorELNS0_4arch9wavefront6targetE1EEEvSR_
    .private_segment_fixed_size: 0
    .sgpr_count:     55
    .sgpr_spill_count: 0
    .symbol:         _ZN7rocprim17ROCPRIM_400000_NS6detail17trampoline_kernelINS0_14default_configENS1_32segmented_reduce_config_selectorIN3c104HalfEEEZNS1_21segmented_reduce_implIS3_PKS6_PS6_PKiS6_N6hipcub16HIPCUB_304000_NS6detail27convert_result_type_wrapperISA_SB_N2at6native12_GLOBAL__N_19CustomMaxEEEEE10hipError_tPvRmT0_T1_jT2_SS_T4_T3_P12ihipStream_tbEUlT_E_NS1_11comp_targetILNS1_3genE2ELNS1_11target_archE906ELNS1_3gpuE6ELNS1_3repE0EEENS1_30default_config_static_selectorELNS0_4arch9wavefront6targetE1EEEvSR_.kd
    .uniform_work_group_size: 1
    .uses_dynamic_stack: false
    .vgpr_count:     23
    .vgpr_spill_count: 0
    .wavefront_size: 64
  - .args:
      - .offset:         0
        .size:           48
        .value_kind:     by_value
    .group_segment_fixed_size: 0
    .kernarg_segment_align: 8
    .kernarg_segment_size: 48
    .language:       OpenCL C
    .language_version:
      - 2
      - 0
    .max_flat_workgroup_size: 256
    .name:           _ZN7rocprim17ROCPRIM_400000_NS6detail17trampoline_kernelINS0_14default_configENS1_32segmented_reduce_config_selectorIN3c104HalfEEEZNS1_21segmented_reduce_implIS3_PKS6_PS6_PKiS6_N6hipcub16HIPCUB_304000_NS6detail27convert_result_type_wrapperISA_SB_N2at6native12_GLOBAL__N_19CustomMaxEEEEE10hipError_tPvRmT0_T1_jT2_SS_T4_T3_P12ihipStream_tbEUlT_E_NS1_11comp_targetILNS1_3genE9ELNS1_11target_archE1100ELNS1_3gpuE3ELNS1_3repE0EEENS1_30default_config_static_selectorELNS0_4arch9wavefront6targetE1EEEvSR_
    .private_segment_fixed_size: 0
    .sgpr_count:     4
    .sgpr_spill_count: 0
    .symbol:         _ZN7rocprim17ROCPRIM_400000_NS6detail17trampoline_kernelINS0_14default_configENS1_32segmented_reduce_config_selectorIN3c104HalfEEEZNS1_21segmented_reduce_implIS3_PKS6_PS6_PKiS6_N6hipcub16HIPCUB_304000_NS6detail27convert_result_type_wrapperISA_SB_N2at6native12_GLOBAL__N_19CustomMaxEEEEE10hipError_tPvRmT0_T1_jT2_SS_T4_T3_P12ihipStream_tbEUlT_E_NS1_11comp_targetILNS1_3genE9ELNS1_11target_archE1100ELNS1_3gpuE3ELNS1_3repE0EEENS1_30default_config_static_selectorELNS0_4arch9wavefront6targetE1EEEvSR_.kd
    .uniform_work_group_size: 1
    .uses_dynamic_stack: false
    .vgpr_count:     0
    .vgpr_spill_count: 0
    .wavefront_size: 64
  - .args:
      - .offset:         0
        .size:           48
        .value_kind:     by_value
    .group_segment_fixed_size: 0
    .kernarg_segment_align: 8
    .kernarg_segment_size: 48
    .language:       OpenCL C
    .language_version:
      - 2
      - 0
    .max_flat_workgroup_size: 256
    .name:           _ZN7rocprim17ROCPRIM_400000_NS6detail17trampoline_kernelINS0_14default_configENS1_32segmented_reduce_config_selectorIN3c104HalfEEEZNS1_21segmented_reduce_implIS3_PKS6_PS6_PKiS6_N6hipcub16HIPCUB_304000_NS6detail27convert_result_type_wrapperISA_SB_N2at6native12_GLOBAL__N_19CustomMaxEEEEE10hipError_tPvRmT0_T1_jT2_SS_T4_T3_P12ihipStream_tbEUlT_E_NS1_11comp_targetILNS1_3genE8ELNS1_11target_archE1030ELNS1_3gpuE2ELNS1_3repE0EEENS1_30default_config_static_selectorELNS0_4arch9wavefront6targetE1EEEvSR_
    .private_segment_fixed_size: 0
    .sgpr_count:     4
    .sgpr_spill_count: 0
    .symbol:         _ZN7rocprim17ROCPRIM_400000_NS6detail17trampoline_kernelINS0_14default_configENS1_32segmented_reduce_config_selectorIN3c104HalfEEEZNS1_21segmented_reduce_implIS3_PKS6_PS6_PKiS6_N6hipcub16HIPCUB_304000_NS6detail27convert_result_type_wrapperISA_SB_N2at6native12_GLOBAL__N_19CustomMaxEEEEE10hipError_tPvRmT0_T1_jT2_SS_T4_T3_P12ihipStream_tbEUlT_E_NS1_11comp_targetILNS1_3genE8ELNS1_11target_archE1030ELNS1_3gpuE2ELNS1_3repE0EEENS1_30default_config_static_selectorELNS0_4arch9wavefront6targetE1EEEvSR_.kd
    .uniform_work_group_size: 1
    .uses_dynamic_stack: false
    .vgpr_count:     0
    .vgpr_spill_count: 0
    .wavefront_size: 64
  - .args:
      - .offset:         0
        .size:           48
        .value_kind:     by_value
    .group_segment_fixed_size: 0
    .kernarg_segment_align: 8
    .kernarg_segment_size: 48
    .language:       OpenCL C
    .language_version:
      - 2
      - 0
    .max_flat_workgroup_size: 256
    .name:           _ZN7rocprim17ROCPRIM_400000_NS6detail17trampoline_kernelINS0_14default_configENS1_32segmented_reduce_config_selectorIN3c104HalfEEEZNS1_21segmented_reduce_implIS3_PKS6_PS6_PKiS6_N6hipcub16HIPCUB_304000_NS6detail27convert_result_type_wrapperISA_SB_N2at6native12_GLOBAL__N_19CustomSumEEEEE10hipError_tPvRmT0_T1_jT2_SS_T4_T3_P12ihipStream_tbEUlT_E_NS1_11comp_targetILNS1_3genE0ELNS1_11target_archE4294967295ELNS1_3gpuE0ELNS1_3repE0EEENS1_30default_config_static_selectorELNS0_4arch9wavefront6targetE1EEEvSR_
    .private_segment_fixed_size: 0
    .sgpr_count:     4
    .sgpr_spill_count: 0
    .symbol:         _ZN7rocprim17ROCPRIM_400000_NS6detail17trampoline_kernelINS0_14default_configENS1_32segmented_reduce_config_selectorIN3c104HalfEEEZNS1_21segmented_reduce_implIS3_PKS6_PS6_PKiS6_N6hipcub16HIPCUB_304000_NS6detail27convert_result_type_wrapperISA_SB_N2at6native12_GLOBAL__N_19CustomSumEEEEE10hipError_tPvRmT0_T1_jT2_SS_T4_T3_P12ihipStream_tbEUlT_E_NS1_11comp_targetILNS1_3genE0ELNS1_11target_archE4294967295ELNS1_3gpuE0ELNS1_3repE0EEENS1_30default_config_static_selectorELNS0_4arch9wavefront6targetE1EEEvSR_.kd
    .uniform_work_group_size: 1
    .uses_dynamic_stack: false
    .vgpr_count:     0
    .vgpr_spill_count: 0
    .wavefront_size: 64
  - .args:
      - .offset:         0
        .size:           48
        .value_kind:     by_value
    .group_segment_fixed_size: 0
    .kernarg_segment_align: 8
    .kernarg_segment_size: 48
    .language:       OpenCL C
    .language_version:
      - 2
      - 0
    .max_flat_workgroup_size: 256
    .name:           _ZN7rocprim17ROCPRIM_400000_NS6detail17trampoline_kernelINS0_14default_configENS1_32segmented_reduce_config_selectorIN3c104HalfEEEZNS1_21segmented_reduce_implIS3_PKS6_PS6_PKiS6_N6hipcub16HIPCUB_304000_NS6detail27convert_result_type_wrapperISA_SB_N2at6native12_GLOBAL__N_19CustomSumEEEEE10hipError_tPvRmT0_T1_jT2_SS_T4_T3_P12ihipStream_tbEUlT_E_NS1_11comp_targetILNS1_3genE5ELNS1_11target_archE942ELNS1_3gpuE9ELNS1_3repE0EEENS1_30default_config_static_selectorELNS0_4arch9wavefront6targetE1EEEvSR_
    .private_segment_fixed_size: 0
    .sgpr_count:     4
    .sgpr_spill_count: 0
    .symbol:         _ZN7rocprim17ROCPRIM_400000_NS6detail17trampoline_kernelINS0_14default_configENS1_32segmented_reduce_config_selectorIN3c104HalfEEEZNS1_21segmented_reduce_implIS3_PKS6_PS6_PKiS6_N6hipcub16HIPCUB_304000_NS6detail27convert_result_type_wrapperISA_SB_N2at6native12_GLOBAL__N_19CustomSumEEEEE10hipError_tPvRmT0_T1_jT2_SS_T4_T3_P12ihipStream_tbEUlT_E_NS1_11comp_targetILNS1_3genE5ELNS1_11target_archE942ELNS1_3gpuE9ELNS1_3repE0EEENS1_30default_config_static_selectorELNS0_4arch9wavefront6targetE1EEEvSR_.kd
    .uniform_work_group_size: 1
    .uses_dynamic_stack: false
    .vgpr_count:     0
    .vgpr_spill_count: 0
    .wavefront_size: 64
  - .args:
      - .offset:         0
        .size:           48
        .value_kind:     by_value
    .group_segment_fixed_size: 0
    .kernarg_segment_align: 8
    .kernarg_segment_size: 48
    .language:       OpenCL C
    .language_version:
      - 2
      - 0
    .max_flat_workgroup_size: 256
    .name:           _ZN7rocprim17ROCPRIM_400000_NS6detail17trampoline_kernelINS0_14default_configENS1_32segmented_reduce_config_selectorIN3c104HalfEEEZNS1_21segmented_reduce_implIS3_PKS6_PS6_PKiS6_N6hipcub16HIPCUB_304000_NS6detail27convert_result_type_wrapperISA_SB_N2at6native12_GLOBAL__N_19CustomSumEEEEE10hipError_tPvRmT0_T1_jT2_SS_T4_T3_P12ihipStream_tbEUlT_E_NS1_11comp_targetILNS1_3genE10ELNS1_11target_archE1201ELNS1_3gpuE5ELNS1_3repE0EEENS1_30default_config_static_selectorELNS0_4arch9wavefront6targetE1EEEvSR_
    .private_segment_fixed_size: 0
    .sgpr_count:     4
    .sgpr_spill_count: 0
    .symbol:         _ZN7rocprim17ROCPRIM_400000_NS6detail17trampoline_kernelINS0_14default_configENS1_32segmented_reduce_config_selectorIN3c104HalfEEEZNS1_21segmented_reduce_implIS3_PKS6_PS6_PKiS6_N6hipcub16HIPCUB_304000_NS6detail27convert_result_type_wrapperISA_SB_N2at6native12_GLOBAL__N_19CustomSumEEEEE10hipError_tPvRmT0_T1_jT2_SS_T4_T3_P12ihipStream_tbEUlT_E_NS1_11comp_targetILNS1_3genE10ELNS1_11target_archE1201ELNS1_3gpuE5ELNS1_3repE0EEENS1_30default_config_static_selectorELNS0_4arch9wavefront6targetE1EEEvSR_.kd
    .uniform_work_group_size: 1
    .uses_dynamic_stack: false
    .vgpr_count:     0
    .vgpr_spill_count: 0
    .wavefront_size: 64
  - .args:
      - .offset:         0
        .size:           48
        .value_kind:     by_value
    .group_segment_fixed_size: 0
    .kernarg_segment_align: 8
    .kernarg_segment_size: 48
    .language:       OpenCL C
    .language_version:
      - 2
      - 0
    .max_flat_workgroup_size: 256
    .name:           _ZN7rocprim17ROCPRIM_400000_NS6detail17trampoline_kernelINS0_14default_configENS1_32segmented_reduce_config_selectorIN3c104HalfEEEZNS1_21segmented_reduce_implIS3_PKS6_PS6_PKiS6_N6hipcub16HIPCUB_304000_NS6detail27convert_result_type_wrapperISA_SB_N2at6native12_GLOBAL__N_19CustomSumEEEEE10hipError_tPvRmT0_T1_jT2_SS_T4_T3_P12ihipStream_tbEUlT_E_NS1_11comp_targetILNS1_3genE4ELNS1_11target_archE910ELNS1_3gpuE8ELNS1_3repE0EEENS1_30default_config_static_selectorELNS0_4arch9wavefront6targetE1EEEvSR_
    .private_segment_fixed_size: 0
    .sgpr_count:     4
    .sgpr_spill_count: 0
    .symbol:         _ZN7rocprim17ROCPRIM_400000_NS6detail17trampoline_kernelINS0_14default_configENS1_32segmented_reduce_config_selectorIN3c104HalfEEEZNS1_21segmented_reduce_implIS3_PKS6_PS6_PKiS6_N6hipcub16HIPCUB_304000_NS6detail27convert_result_type_wrapperISA_SB_N2at6native12_GLOBAL__N_19CustomSumEEEEE10hipError_tPvRmT0_T1_jT2_SS_T4_T3_P12ihipStream_tbEUlT_E_NS1_11comp_targetILNS1_3genE4ELNS1_11target_archE910ELNS1_3gpuE8ELNS1_3repE0EEENS1_30default_config_static_selectorELNS0_4arch9wavefront6targetE1EEEvSR_.kd
    .uniform_work_group_size: 1
    .uses_dynamic_stack: false
    .vgpr_count:     0
    .vgpr_spill_count: 0
    .wavefront_size: 64
  - .args:
      - .offset:         0
        .size:           48
        .value_kind:     by_value
    .group_segment_fixed_size: 0
    .kernarg_segment_align: 8
    .kernarg_segment_size: 48
    .language:       OpenCL C
    .language_version:
      - 2
      - 0
    .max_flat_workgroup_size: 256
    .name:           _ZN7rocprim17ROCPRIM_400000_NS6detail17trampoline_kernelINS0_14default_configENS1_32segmented_reduce_config_selectorIN3c104HalfEEEZNS1_21segmented_reduce_implIS3_PKS6_PS6_PKiS6_N6hipcub16HIPCUB_304000_NS6detail27convert_result_type_wrapperISA_SB_N2at6native12_GLOBAL__N_19CustomSumEEEEE10hipError_tPvRmT0_T1_jT2_SS_T4_T3_P12ihipStream_tbEUlT_E_NS1_11comp_targetILNS1_3genE3ELNS1_11target_archE908ELNS1_3gpuE7ELNS1_3repE0EEENS1_30default_config_static_selectorELNS0_4arch9wavefront6targetE1EEEvSR_
    .private_segment_fixed_size: 0
    .sgpr_count:     4
    .sgpr_spill_count: 0
    .symbol:         _ZN7rocprim17ROCPRIM_400000_NS6detail17trampoline_kernelINS0_14default_configENS1_32segmented_reduce_config_selectorIN3c104HalfEEEZNS1_21segmented_reduce_implIS3_PKS6_PS6_PKiS6_N6hipcub16HIPCUB_304000_NS6detail27convert_result_type_wrapperISA_SB_N2at6native12_GLOBAL__N_19CustomSumEEEEE10hipError_tPvRmT0_T1_jT2_SS_T4_T3_P12ihipStream_tbEUlT_E_NS1_11comp_targetILNS1_3genE3ELNS1_11target_archE908ELNS1_3gpuE7ELNS1_3repE0EEENS1_30default_config_static_selectorELNS0_4arch9wavefront6targetE1EEEvSR_.kd
    .uniform_work_group_size: 1
    .uses_dynamic_stack: false
    .vgpr_count:     0
    .vgpr_spill_count: 0
    .wavefront_size: 64
  - .args:
      - .offset:         0
        .size:           48
        .value_kind:     by_value
    .group_segment_fixed_size: 8
    .kernarg_segment_align: 8
    .kernarg_segment_size: 48
    .language:       OpenCL C
    .language_version:
      - 2
      - 0
    .max_flat_workgroup_size: 256
    .name:           _ZN7rocprim17ROCPRIM_400000_NS6detail17trampoline_kernelINS0_14default_configENS1_32segmented_reduce_config_selectorIN3c104HalfEEEZNS1_21segmented_reduce_implIS3_PKS6_PS6_PKiS6_N6hipcub16HIPCUB_304000_NS6detail27convert_result_type_wrapperISA_SB_N2at6native12_GLOBAL__N_19CustomSumEEEEE10hipError_tPvRmT0_T1_jT2_SS_T4_T3_P12ihipStream_tbEUlT_E_NS1_11comp_targetILNS1_3genE2ELNS1_11target_archE906ELNS1_3gpuE6ELNS1_3repE0EEENS1_30default_config_static_selectorELNS0_4arch9wavefront6targetE1EEEvSR_
    .private_segment_fixed_size: 0
    .sgpr_count:     50
    .sgpr_spill_count: 0
    .symbol:         _ZN7rocprim17ROCPRIM_400000_NS6detail17trampoline_kernelINS0_14default_configENS1_32segmented_reduce_config_selectorIN3c104HalfEEEZNS1_21segmented_reduce_implIS3_PKS6_PS6_PKiS6_N6hipcub16HIPCUB_304000_NS6detail27convert_result_type_wrapperISA_SB_N2at6native12_GLOBAL__N_19CustomSumEEEEE10hipError_tPvRmT0_T1_jT2_SS_T4_T3_P12ihipStream_tbEUlT_E_NS1_11comp_targetILNS1_3genE2ELNS1_11target_archE906ELNS1_3gpuE6ELNS1_3repE0EEENS1_30default_config_static_selectorELNS0_4arch9wavefront6targetE1EEEvSR_.kd
    .uniform_work_group_size: 1
    .uses_dynamic_stack: false
    .vgpr_count:     23
    .vgpr_spill_count: 0
    .wavefront_size: 64
  - .args:
      - .offset:         0
        .size:           48
        .value_kind:     by_value
    .group_segment_fixed_size: 0
    .kernarg_segment_align: 8
    .kernarg_segment_size: 48
    .language:       OpenCL C
    .language_version:
      - 2
      - 0
    .max_flat_workgroup_size: 256
    .name:           _ZN7rocprim17ROCPRIM_400000_NS6detail17trampoline_kernelINS0_14default_configENS1_32segmented_reduce_config_selectorIN3c104HalfEEEZNS1_21segmented_reduce_implIS3_PKS6_PS6_PKiS6_N6hipcub16HIPCUB_304000_NS6detail27convert_result_type_wrapperISA_SB_N2at6native12_GLOBAL__N_19CustomSumEEEEE10hipError_tPvRmT0_T1_jT2_SS_T4_T3_P12ihipStream_tbEUlT_E_NS1_11comp_targetILNS1_3genE9ELNS1_11target_archE1100ELNS1_3gpuE3ELNS1_3repE0EEENS1_30default_config_static_selectorELNS0_4arch9wavefront6targetE1EEEvSR_
    .private_segment_fixed_size: 0
    .sgpr_count:     4
    .sgpr_spill_count: 0
    .symbol:         _ZN7rocprim17ROCPRIM_400000_NS6detail17trampoline_kernelINS0_14default_configENS1_32segmented_reduce_config_selectorIN3c104HalfEEEZNS1_21segmented_reduce_implIS3_PKS6_PS6_PKiS6_N6hipcub16HIPCUB_304000_NS6detail27convert_result_type_wrapperISA_SB_N2at6native12_GLOBAL__N_19CustomSumEEEEE10hipError_tPvRmT0_T1_jT2_SS_T4_T3_P12ihipStream_tbEUlT_E_NS1_11comp_targetILNS1_3genE9ELNS1_11target_archE1100ELNS1_3gpuE3ELNS1_3repE0EEENS1_30default_config_static_selectorELNS0_4arch9wavefront6targetE1EEEvSR_.kd
    .uniform_work_group_size: 1
    .uses_dynamic_stack: false
    .vgpr_count:     0
    .vgpr_spill_count: 0
    .wavefront_size: 64
  - .args:
      - .offset:         0
        .size:           48
        .value_kind:     by_value
    .group_segment_fixed_size: 0
    .kernarg_segment_align: 8
    .kernarg_segment_size: 48
    .language:       OpenCL C
    .language_version:
      - 2
      - 0
    .max_flat_workgroup_size: 256
    .name:           _ZN7rocprim17ROCPRIM_400000_NS6detail17trampoline_kernelINS0_14default_configENS1_32segmented_reduce_config_selectorIN3c104HalfEEEZNS1_21segmented_reduce_implIS3_PKS6_PS6_PKiS6_N6hipcub16HIPCUB_304000_NS6detail27convert_result_type_wrapperISA_SB_N2at6native12_GLOBAL__N_19CustomSumEEEEE10hipError_tPvRmT0_T1_jT2_SS_T4_T3_P12ihipStream_tbEUlT_E_NS1_11comp_targetILNS1_3genE8ELNS1_11target_archE1030ELNS1_3gpuE2ELNS1_3repE0EEENS1_30default_config_static_selectorELNS0_4arch9wavefront6targetE1EEEvSR_
    .private_segment_fixed_size: 0
    .sgpr_count:     4
    .sgpr_spill_count: 0
    .symbol:         _ZN7rocprim17ROCPRIM_400000_NS6detail17trampoline_kernelINS0_14default_configENS1_32segmented_reduce_config_selectorIN3c104HalfEEEZNS1_21segmented_reduce_implIS3_PKS6_PS6_PKiS6_N6hipcub16HIPCUB_304000_NS6detail27convert_result_type_wrapperISA_SB_N2at6native12_GLOBAL__N_19CustomSumEEEEE10hipError_tPvRmT0_T1_jT2_SS_T4_T3_P12ihipStream_tbEUlT_E_NS1_11comp_targetILNS1_3genE8ELNS1_11target_archE1030ELNS1_3gpuE2ELNS1_3repE0EEENS1_30default_config_static_selectorELNS0_4arch9wavefront6targetE1EEEvSR_.kd
    .uniform_work_group_size: 1
    .uses_dynamic_stack: false
    .vgpr_count:     0
    .vgpr_spill_count: 0
    .wavefront_size: 64
  - .args:
      - .address_space:  global
        .offset:         0
        .size:           8
        .value_kind:     global_buffer
      - .address_space:  global
        .offset:         8
        .size:           8
        .value_kind:     global_buffer
      - .offset:         16
        .size:           8
        .value_kind:     by_value
      - .offset:         24
        .size:           1
        .value_kind:     by_value
      - .offset:         26
        .size:           2
        .value_kind:     by_value
      - .offset:         32
        .size:           4
        .value_kind:     hidden_block_count_x
      - .offset:         36
        .size:           4
        .value_kind:     hidden_block_count_y
      - .offset:         40
        .size:           4
        .value_kind:     hidden_block_count_z
      - .offset:         44
        .size:           2
        .value_kind:     hidden_group_size_x
      - .offset:         46
        .size:           2
        .value_kind:     hidden_group_size_y
      - .offset:         48
        .size:           2
        .value_kind:     hidden_group_size_z
      - .offset:         50
        .size:           2
        .value_kind:     hidden_remainder_x
      - .offset:         52
        .size:           2
        .value_kind:     hidden_remainder_y
      - .offset:         54
        .size:           2
        .value_kind:     hidden_remainder_z
      - .offset:         72
        .size:           8
        .value_kind:     hidden_global_offset_x
      - .offset:         80
        .size:           8
        .value_kind:     hidden_global_offset_y
      - .offset:         88
        .size:           8
        .value_kind:     hidden_global_offset_z
      - .offset:         96
        .size:           2
        .value_kind:     hidden_grid_dims
    .group_segment_fixed_size: 0
    .kernarg_segment_align: 8
    .kernarg_segment_size: 288
    .language:       OpenCL C
    .language_version:
      - 2
      - 0
    .max_flat_workgroup_size: 1024
    .name:           _ZN2at6native12_GLOBAL__N_119post_sum_div_kernelIN3c104HalfEiEEvPT_PKT0_lbS5_
    .private_segment_fixed_size: 0
    .sgpr_count:     29
    .sgpr_spill_count: 0
    .symbol:         _ZN2at6native12_GLOBAL__N_119post_sum_div_kernelIN3c104HalfEiEEvPT_PKT0_lbS5_.kd
    .uniform_work_group_size: 1
    .uses_dynamic_stack: false
    .vgpr_count:     15
    .vgpr_spill_count: 0
    .wavefront_size: 64
  - .args:
      - .offset:         0
        .size:           48
        .value_kind:     by_value
    .group_segment_fixed_size: 0
    .kernarg_segment_align: 8
    .kernarg_segment_size: 48
    .language:       OpenCL C
    .language_version:
      - 2
      - 0
    .max_flat_workgroup_size: 256
    .name:           _ZN7rocprim17ROCPRIM_400000_NS6detail17trampoline_kernelINS0_14default_configENS1_32segmented_reduce_config_selectorIN3c104HalfEEEZNS1_21segmented_reduce_implIS3_PKS6_PS6_PKiS6_N6hipcub16HIPCUB_304000_NS6detail27convert_result_type_wrapperISA_SB_N2at6native12_GLOBAL__N_19CustomMinEEEEE10hipError_tPvRmT0_T1_jT2_SS_T4_T3_P12ihipStream_tbEUlT_E_NS1_11comp_targetILNS1_3genE0ELNS1_11target_archE4294967295ELNS1_3gpuE0ELNS1_3repE0EEENS1_30default_config_static_selectorELNS0_4arch9wavefront6targetE1EEEvSR_
    .private_segment_fixed_size: 0
    .sgpr_count:     4
    .sgpr_spill_count: 0
    .symbol:         _ZN7rocprim17ROCPRIM_400000_NS6detail17trampoline_kernelINS0_14default_configENS1_32segmented_reduce_config_selectorIN3c104HalfEEEZNS1_21segmented_reduce_implIS3_PKS6_PS6_PKiS6_N6hipcub16HIPCUB_304000_NS6detail27convert_result_type_wrapperISA_SB_N2at6native12_GLOBAL__N_19CustomMinEEEEE10hipError_tPvRmT0_T1_jT2_SS_T4_T3_P12ihipStream_tbEUlT_E_NS1_11comp_targetILNS1_3genE0ELNS1_11target_archE4294967295ELNS1_3gpuE0ELNS1_3repE0EEENS1_30default_config_static_selectorELNS0_4arch9wavefront6targetE1EEEvSR_.kd
    .uniform_work_group_size: 1
    .uses_dynamic_stack: false
    .vgpr_count:     0
    .vgpr_spill_count: 0
    .wavefront_size: 64
  - .args:
      - .offset:         0
        .size:           48
        .value_kind:     by_value
    .group_segment_fixed_size: 0
    .kernarg_segment_align: 8
    .kernarg_segment_size: 48
    .language:       OpenCL C
    .language_version:
      - 2
      - 0
    .max_flat_workgroup_size: 256
    .name:           _ZN7rocprim17ROCPRIM_400000_NS6detail17trampoline_kernelINS0_14default_configENS1_32segmented_reduce_config_selectorIN3c104HalfEEEZNS1_21segmented_reduce_implIS3_PKS6_PS6_PKiS6_N6hipcub16HIPCUB_304000_NS6detail27convert_result_type_wrapperISA_SB_N2at6native12_GLOBAL__N_19CustomMinEEEEE10hipError_tPvRmT0_T1_jT2_SS_T4_T3_P12ihipStream_tbEUlT_E_NS1_11comp_targetILNS1_3genE5ELNS1_11target_archE942ELNS1_3gpuE9ELNS1_3repE0EEENS1_30default_config_static_selectorELNS0_4arch9wavefront6targetE1EEEvSR_
    .private_segment_fixed_size: 0
    .sgpr_count:     4
    .sgpr_spill_count: 0
    .symbol:         _ZN7rocprim17ROCPRIM_400000_NS6detail17trampoline_kernelINS0_14default_configENS1_32segmented_reduce_config_selectorIN3c104HalfEEEZNS1_21segmented_reduce_implIS3_PKS6_PS6_PKiS6_N6hipcub16HIPCUB_304000_NS6detail27convert_result_type_wrapperISA_SB_N2at6native12_GLOBAL__N_19CustomMinEEEEE10hipError_tPvRmT0_T1_jT2_SS_T4_T3_P12ihipStream_tbEUlT_E_NS1_11comp_targetILNS1_3genE5ELNS1_11target_archE942ELNS1_3gpuE9ELNS1_3repE0EEENS1_30default_config_static_selectorELNS0_4arch9wavefront6targetE1EEEvSR_.kd
    .uniform_work_group_size: 1
    .uses_dynamic_stack: false
    .vgpr_count:     0
    .vgpr_spill_count: 0
    .wavefront_size: 64
  - .args:
      - .offset:         0
        .size:           48
        .value_kind:     by_value
    .group_segment_fixed_size: 0
    .kernarg_segment_align: 8
    .kernarg_segment_size: 48
    .language:       OpenCL C
    .language_version:
      - 2
      - 0
    .max_flat_workgroup_size: 256
    .name:           _ZN7rocprim17ROCPRIM_400000_NS6detail17trampoline_kernelINS0_14default_configENS1_32segmented_reduce_config_selectorIN3c104HalfEEEZNS1_21segmented_reduce_implIS3_PKS6_PS6_PKiS6_N6hipcub16HIPCUB_304000_NS6detail27convert_result_type_wrapperISA_SB_N2at6native12_GLOBAL__N_19CustomMinEEEEE10hipError_tPvRmT0_T1_jT2_SS_T4_T3_P12ihipStream_tbEUlT_E_NS1_11comp_targetILNS1_3genE10ELNS1_11target_archE1201ELNS1_3gpuE5ELNS1_3repE0EEENS1_30default_config_static_selectorELNS0_4arch9wavefront6targetE1EEEvSR_
    .private_segment_fixed_size: 0
    .sgpr_count:     4
    .sgpr_spill_count: 0
    .symbol:         _ZN7rocprim17ROCPRIM_400000_NS6detail17trampoline_kernelINS0_14default_configENS1_32segmented_reduce_config_selectorIN3c104HalfEEEZNS1_21segmented_reduce_implIS3_PKS6_PS6_PKiS6_N6hipcub16HIPCUB_304000_NS6detail27convert_result_type_wrapperISA_SB_N2at6native12_GLOBAL__N_19CustomMinEEEEE10hipError_tPvRmT0_T1_jT2_SS_T4_T3_P12ihipStream_tbEUlT_E_NS1_11comp_targetILNS1_3genE10ELNS1_11target_archE1201ELNS1_3gpuE5ELNS1_3repE0EEENS1_30default_config_static_selectorELNS0_4arch9wavefront6targetE1EEEvSR_.kd
    .uniform_work_group_size: 1
    .uses_dynamic_stack: false
    .vgpr_count:     0
    .vgpr_spill_count: 0
    .wavefront_size: 64
  - .args:
      - .offset:         0
        .size:           48
        .value_kind:     by_value
    .group_segment_fixed_size: 0
    .kernarg_segment_align: 8
    .kernarg_segment_size: 48
    .language:       OpenCL C
    .language_version:
      - 2
      - 0
    .max_flat_workgroup_size: 256
    .name:           _ZN7rocprim17ROCPRIM_400000_NS6detail17trampoline_kernelINS0_14default_configENS1_32segmented_reduce_config_selectorIN3c104HalfEEEZNS1_21segmented_reduce_implIS3_PKS6_PS6_PKiS6_N6hipcub16HIPCUB_304000_NS6detail27convert_result_type_wrapperISA_SB_N2at6native12_GLOBAL__N_19CustomMinEEEEE10hipError_tPvRmT0_T1_jT2_SS_T4_T3_P12ihipStream_tbEUlT_E_NS1_11comp_targetILNS1_3genE4ELNS1_11target_archE910ELNS1_3gpuE8ELNS1_3repE0EEENS1_30default_config_static_selectorELNS0_4arch9wavefront6targetE1EEEvSR_
    .private_segment_fixed_size: 0
    .sgpr_count:     4
    .sgpr_spill_count: 0
    .symbol:         _ZN7rocprim17ROCPRIM_400000_NS6detail17trampoline_kernelINS0_14default_configENS1_32segmented_reduce_config_selectorIN3c104HalfEEEZNS1_21segmented_reduce_implIS3_PKS6_PS6_PKiS6_N6hipcub16HIPCUB_304000_NS6detail27convert_result_type_wrapperISA_SB_N2at6native12_GLOBAL__N_19CustomMinEEEEE10hipError_tPvRmT0_T1_jT2_SS_T4_T3_P12ihipStream_tbEUlT_E_NS1_11comp_targetILNS1_3genE4ELNS1_11target_archE910ELNS1_3gpuE8ELNS1_3repE0EEENS1_30default_config_static_selectorELNS0_4arch9wavefront6targetE1EEEvSR_.kd
    .uniform_work_group_size: 1
    .uses_dynamic_stack: false
    .vgpr_count:     0
    .vgpr_spill_count: 0
    .wavefront_size: 64
  - .args:
      - .offset:         0
        .size:           48
        .value_kind:     by_value
    .group_segment_fixed_size: 0
    .kernarg_segment_align: 8
    .kernarg_segment_size: 48
    .language:       OpenCL C
    .language_version:
      - 2
      - 0
    .max_flat_workgroup_size: 256
    .name:           _ZN7rocprim17ROCPRIM_400000_NS6detail17trampoline_kernelINS0_14default_configENS1_32segmented_reduce_config_selectorIN3c104HalfEEEZNS1_21segmented_reduce_implIS3_PKS6_PS6_PKiS6_N6hipcub16HIPCUB_304000_NS6detail27convert_result_type_wrapperISA_SB_N2at6native12_GLOBAL__N_19CustomMinEEEEE10hipError_tPvRmT0_T1_jT2_SS_T4_T3_P12ihipStream_tbEUlT_E_NS1_11comp_targetILNS1_3genE3ELNS1_11target_archE908ELNS1_3gpuE7ELNS1_3repE0EEENS1_30default_config_static_selectorELNS0_4arch9wavefront6targetE1EEEvSR_
    .private_segment_fixed_size: 0
    .sgpr_count:     4
    .sgpr_spill_count: 0
    .symbol:         _ZN7rocprim17ROCPRIM_400000_NS6detail17trampoline_kernelINS0_14default_configENS1_32segmented_reduce_config_selectorIN3c104HalfEEEZNS1_21segmented_reduce_implIS3_PKS6_PS6_PKiS6_N6hipcub16HIPCUB_304000_NS6detail27convert_result_type_wrapperISA_SB_N2at6native12_GLOBAL__N_19CustomMinEEEEE10hipError_tPvRmT0_T1_jT2_SS_T4_T3_P12ihipStream_tbEUlT_E_NS1_11comp_targetILNS1_3genE3ELNS1_11target_archE908ELNS1_3gpuE7ELNS1_3repE0EEENS1_30default_config_static_selectorELNS0_4arch9wavefront6targetE1EEEvSR_.kd
    .uniform_work_group_size: 1
    .uses_dynamic_stack: false
    .vgpr_count:     0
    .vgpr_spill_count: 0
    .wavefront_size: 64
  - .args:
      - .offset:         0
        .size:           48
        .value_kind:     by_value
    .group_segment_fixed_size: 8
    .kernarg_segment_align: 8
    .kernarg_segment_size: 48
    .language:       OpenCL C
    .language_version:
      - 2
      - 0
    .max_flat_workgroup_size: 256
    .name:           _ZN7rocprim17ROCPRIM_400000_NS6detail17trampoline_kernelINS0_14default_configENS1_32segmented_reduce_config_selectorIN3c104HalfEEEZNS1_21segmented_reduce_implIS3_PKS6_PS6_PKiS6_N6hipcub16HIPCUB_304000_NS6detail27convert_result_type_wrapperISA_SB_N2at6native12_GLOBAL__N_19CustomMinEEEEE10hipError_tPvRmT0_T1_jT2_SS_T4_T3_P12ihipStream_tbEUlT_E_NS1_11comp_targetILNS1_3genE2ELNS1_11target_archE906ELNS1_3gpuE6ELNS1_3repE0EEENS1_30default_config_static_selectorELNS0_4arch9wavefront6targetE1EEEvSR_
    .private_segment_fixed_size: 0
    .sgpr_count:     55
    .sgpr_spill_count: 0
    .symbol:         _ZN7rocprim17ROCPRIM_400000_NS6detail17trampoline_kernelINS0_14default_configENS1_32segmented_reduce_config_selectorIN3c104HalfEEEZNS1_21segmented_reduce_implIS3_PKS6_PS6_PKiS6_N6hipcub16HIPCUB_304000_NS6detail27convert_result_type_wrapperISA_SB_N2at6native12_GLOBAL__N_19CustomMinEEEEE10hipError_tPvRmT0_T1_jT2_SS_T4_T3_P12ihipStream_tbEUlT_E_NS1_11comp_targetILNS1_3genE2ELNS1_11target_archE906ELNS1_3gpuE6ELNS1_3repE0EEENS1_30default_config_static_selectorELNS0_4arch9wavefront6targetE1EEEvSR_.kd
    .uniform_work_group_size: 1
    .uses_dynamic_stack: false
    .vgpr_count:     23
    .vgpr_spill_count: 0
    .wavefront_size: 64
  - .args:
      - .offset:         0
        .size:           48
        .value_kind:     by_value
    .group_segment_fixed_size: 0
    .kernarg_segment_align: 8
    .kernarg_segment_size: 48
    .language:       OpenCL C
    .language_version:
      - 2
      - 0
    .max_flat_workgroup_size: 256
    .name:           _ZN7rocprim17ROCPRIM_400000_NS6detail17trampoline_kernelINS0_14default_configENS1_32segmented_reduce_config_selectorIN3c104HalfEEEZNS1_21segmented_reduce_implIS3_PKS6_PS6_PKiS6_N6hipcub16HIPCUB_304000_NS6detail27convert_result_type_wrapperISA_SB_N2at6native12_GLOBAL__N_19CustomMinEEEEE10hipError_tPvRmT0_T1_jT2_SS_T4_T3_P12ihipStream_tbEUlT_E_NS1_11comp_targetILNS1_3genE9ELNS1_11target_archE1100ELNS1_3gpuE3ELNS1_3repE0EEENS1_30default_config_static_selectorELNS0_4arch9wavefront6targetE1EEEvSR_
    .private_segment_fixed_size: 0
    .sgpr_count:     4
    .sgpr_spill_count: 0
    .symbol:         _ZN7rocprim17ROCPRIM_400000_NS6detail17trampoline_kernelINS0_14default_configENS1_32segmented_reduce_config_selectorIN3c104HalfEEEZNS1_21segmented_reduce_implIS3_PKS6_PS6_PKiS6_N6hipcub16HIPCUB_304000_NS6detail27convert_result_type_wrapperISA_SB_N2at6native12_GLOBAL__N_19CustomMinEEEEE10hipError_tPvRmT0_T1_jT2_SS_T4_T3_P12ihipStream_tbEUlT_E_NS1_11comp_targetILNS1_3genE9ELNS1_11target_archE1100ELNS1_3gpuE3ELNS1_3repE0EEENS1_30default_config_static_selectorELNS0_4arch9wavefront6targetE1EEEvSR_.kd
    .uniform_work_group_size: 1
    .uses_dynamic_stack: false
    .vgpr_count:     0
    .vgpr_spill_count: 0
    .wavefront_size: 64
  - .args:
      - .offset:         0
        .size:           48
        .value_kind:     by_value
    .group_segment_fixed_size: 0
    .kernarg_segment_align: 8
    .kernarg_segment_size: 48
    .language:       OpenCL C
    .language_version:
      - 2
      - 0
    .max_flat_workgroup_size: 256
    .name:           _ZN7rocprim17ROCPRIM_400000_NS6detail17trampoline_kernelINS0_14default_configENS1_32segmented_reduce_config_selectorIN3c104HalfEEEZNS1_21segmented_reduce_implIS3_PKS6_PS6_PKiS6_N6hipcub16HIPCUB_304000_NS6detail27convert_result_type_wrapperISA_SB_N2at6native12_GLOBAL__N_19CustomMinEEEEE10hipError_tPvRmT0_T1_jT2_SS_T4_T3_P12ihipStream_tbEUlT_E_NS1_11comp_targetILNS1_3genE8ELNS1_11target_archE1030ELNS1_3gpuE2ELNS1_3repE0EEENS1_30default_config_static_selectorELNS0_4arch9wavefront6targetE1EEEvSR_
    .private_segment_fixed_size: 0
    .sgpr_count:     4
    .sgpr_spill_count: 0
    .symbol:         _ZN7rocprim17ROCPRIM_400000_NS6detail17trampoline_kernelINS0_14default_configENS1_32segmented_reduce_config_selectorIN3c104HalfEEEZNS1_21segmented_reduce_implIS3_PKS6_PS6_PKiS6_N6hipcub16HIPCUB_304000_NS6detail27convert_result_type_wrapperISA_SB_N2at6native12_GLOBAL__N_19CustomMinEEEEE10hipError_tPvRmT0_T1_jT2_SS_T4_T3_P12ihipStream_tbEUlT_E_NS1_11comp_targetILNS1_3genE8ELNS1_11target_archE1030ELNS1_3gpuE2ELNS1_3repE0EEENS1_30default_config_static_selectorELNS0_4arch9wavefront6targetE1EEEvSR_.kd
    .uniform_work_group_size: 1
    .uses_dynamic_stack: false
    .vgpr_count:     0
    .vgpr_spill_count: 0
    .wavefront_size: 64
  - .args:
      - .offset:         0
        .size:           48
        .value_kind:     by_value
    .group_segment_fixed_size: 0
    .kernarg_segment_align: 8
    .kernarg_segment_size: 48
    .language:       OpenCL C
    .language_version:
      - 2
      - 0
    .max_flat_workgroup_size: 256
    .name:           _ZN7rocprim17ROCPRIM_400000_NS6detail17trampoline_kernelINS0_14default_configENS1_32segmented_reduce_config_selectorIN3c104HalfEEEZNS1_21segmented_reduce_implIS3_PKS6_PS6_PKiS6_N6hipcub16HIPCUB_304000_NS6detail27convert_result_type_wrapperISA_SB_N2at6native12_GLOBAL__N_110CustomProdEEEEE10hipError_tPvRmT0_T1_jT2_SS_T4_T3_P12ihipStream_tbEUlT_E_NS1_11comp_targetILNS1_3genE0ELNS1_11target_archE4294967295ELNS1_3gpuE0ELNS1_3repE0EEENS1_30default_config_static_selectorELNS0_4arch9wavefront6targetE1EEEvSR_
    .private_segment_fixed_size: 0
    .sgpr_count:     4
    .sgpr_spill_count: 0
    .symbol:         _ZN7rocprim17ROCPRIM_400000_NS6detail17trampoline_kernelINS0_14default_configENS1_32segmented_reduce_config_selectorIN3c104HalfEEEZNS1_21segmented_reduce_implIS3_PKS6_PS6_PKiS6_N6hipcub16HIPCUB_304000_NS6detail27convert_result_type_wrapperISA_SB_N2at6native12_GLOBAL__N_110CustomProdEEEEE10hipError_tPvRmT0_T1_jT2_SS_T4_T3_P12ihipStream_tbEUlT_E_NS1_11comp_targetILNS1_3genE0ELNS1_11target_archE4294967295ELNS1_3gpuE0ELNS1_3repE0EEENS1_30default_config_static_selectorELNS0_4arch9wavefront6targetE1EEEvSR_.kd
    .uniform_work_group_size: 1
    .uses_dynamic_stack: false
    .vgpr_count:     0
    .vgpr_spill_count: 0
    .wavefront_size: 64
  - .args:
      - .offset:         0
        .size:           48
        .value_kind:     by_value
    .group_segment_fixed_size: 0
    .kernarg_segment_align: 8
    .kernarg_segment_size: 48
    .language:       OpenCL C
    .language_version:
      - 2
      - 0
    .max_flat_workgroup_size: 256
    .name:           _ZN7rocprim17ROCPRIM_400000_NS6detail17trampoline_kernelINS0_14default_configENS1_32segmented_reduce_config_selectorIN3c104HalfEEEZNS1_21segmented_reduce_implIS3_PKS6_PS6_PKiS6_N6hipcub16HIPCUB_304000_NS6detail27convert_result_type_wrapperISA_SB_N2at6native12_GLOBAL__N_110CustomProdEEEEE10hipError_tPvRmT0_T1_jT2_SS_T4_T3_P12ihipStream_tbEUlT_E_NS1_11comp_targetILNS1_3genE5ELNS1_11target_archE942ELNS1_3gpuE9ELNS1_3repE0EEENS1_30default_config_static_selectorELNS0_4arch9wavefront6targetE1EEEvSR_
    .private_segment_fixed_size: 0
    .sgpr_count:     4
    .sgpr_spill_count: 0
    .symbol:         _ZN7rocprim17ROCPRIM_400000_NS6detail17trampoline_kernelINS0_14default_configENS1_32segmented_reduce_config_selectorIN3c104HalfEEEZNS1_21segmented_reduce_implIS3_PKS6_PS6_PKiS6_N6hipcub16HIPCUB_304000_NS6detail27convert_result_type_wrapperISA_SB_N2at6native12_GLOBAL__N_110CustomProdEEEEE10hipError_tPvRmT0_T1_jT2_SS_T4_T3_P12ihipStream_tbEUlT_E_NS1_11comp_targetILNS1_3genE5ELNS1_11target_archE942ELNS1_3gpuE9ELNS1_3repE0EEENS1_30default_config_static_selectorELNS0_4arch9wavefront6targetE1EEEvSR_.kd
    .uniform_work_group_size: 1
    .uses_dynamic_stack: false
    .vgpr_count:     0
    .vgpr_spill_count: 0
    .wavefront_size: 64
  - .args:
      - .offset:         0
        .size:           48
        .value_kind:     by_value
    .group_segment_fixed_size: 0
    .kernarg_segment_align: 8
    .kernarg_segment_size: 48
    .language:       OpenCL C
    .language_version:
      - 2
      - 0
    .max_flat_workgroup_size: 256
    .name:           _ZN7rocprim17ROCPRIM_400000_NS6detail17trampoline_kernelINS0_14default_configENS1_32segmented_reduce_config_selectorIN3c104HalfEEEZNS1_21segmented_reduce_implIS3_PKS6_PS6_PKiS6_N6hipcub16HIPCUB_304000_NS6detail27convert_result_type_wrapperISA_SB_N2at6native12_GLOBAL__N_110CustomProdEEEEE10hipError_tPvRmT0_T1_jT2_SS_T4_T3_P12ihipStream_tbEUlT_E_NS1_11comp_targetILNS1_3genE10ELNS1_11target_archE1201ELNS1_3gpuE5ELNS1_3repE0EEENS1_30default_config_static_selectorELNS0_4arch9wavefront6targetE1EEEvSR_
    .private_segment_fixed_size: 0
    .sgpr_count:     4
    .sgpr_spill_count: 0
    .symbol:         _ZN7rocprim17ROCPRIM_400000_NS6detail17trampoline_kernelINS0_14default_configENS1_32segmented_reduce_config_selectorIN3c104HalfEEEZNS1_21segmented_reduce_implIS3_PKS6_PS6_PKiS6_N6hipcub16HIPCUB_304000_NS6detail27convert_result_type_wrapperISA_SB_N2at6native12_GLOBAL__N_110CustomProdEEEEE10hipError_tPvRmT0_T1_jT2_SS_T4_T3_P12ihipStream_tbEUlT_E_NS1_11comp_targetILNS1_3genE10ELNS1_11target_archE1201ELNS1_3gpuE5ELNS1_3repE0EEENS1_30default_config_static_selectorELNS0_4arch9wavefront6targetE1EEEvSR_.kd
    .uniform_work_group_size: 1
    .uses_dynamic_stack: false
    .vgpr_count:     0
    .vgpr_spill_count: 0
    .wavefront_size: 64
  - .args:
      - .offset:         0
        .size:           48
        .value_kind:     by_value
    .group_segment_fixed_size: 0
    .kernarg_segment_align: 8
    .kernarg_segment_size: 48
    .language:       OpenCL C
    .language_version:
      - 2
      - 0
    .max_flat_workgroup_size: 256
    .name:           _ZN7rocprim17ROCPRIM_400000_NS6detail17trampoline_kernelINS0_14default_configENS1_32segmented_reduce_config_selectorIN3c104HalfEEEZNS1_21segmented_reduce_implIS3_PKS6_PS6_PKiS6_N6hipcub16HIPCUB_304000_NS6detail27convert_result_type_wrapperISA_SB_N2at6native12_GLOBAL__N_110CustomProdEEEEE10hipError_tPvRmT0_T1_jT2_SS_T4_T3_P12ihipStream_tbEUlT_E_NS1_11comp_targetILNS1_3genE4ELNS1_11target_archE910ELNS1_3gpuE8ELNS1_3repE0EEENS1_30default_config_static_selectorELNS0_4arch9wavefront6targetE1EEEvSR_
    .private_segment_fixed_size: 0
    .sgpr_count:     4
    .sgpr_spill_count: 0
    .symbol:         _ZN7rocprim17ROCPRIM_400000_NS6detail17trampoline_kernelINS0_14default_configENS1_32segmented_reduce_config_selectorIN3c104HalfEEEZNS1_21segmented_reduce_implIS3_PKS6_PS6_PKiS6_N6hipcub16HIPCUB_304000_NS6detail27convert_result_type_wrapperISA_SB_N2at6native12_GLOBAL__N_110CustomProdEEEEE10hipError_tPvRmT0_T1_jT2_SS_T4_T3_P12ihipStream_tbEUlT_E_NS1_11comp_targetILNS1_3genE4ELNS1_11target_archE910ELNS1_3gpuE8ELNS1_3repE0EEENS1_30default_config_static_selectorELNS0_4arch9wavefront6targetE1EEEvSR_.kd
    .uniform_work_group_size: 1
    .uses_dynamic_stack: false
    .vgpr_count:     0
    .vgpr_spill_count: 0
    .wavefront_size: 64
  - .args:
      - .offset:         0
        .size:           48
        .value_kind:     by_value
    .group_segment_fixed_size: 0
    .kernarg_segment_align: 8
    .kernarg_segment_size: 48
    .language:       OpenCL C
    .language_version:
      - 2
      - 0
    .max_flat_workgroup_size: 256
    .name:           _ZN7rocprim17ROCPRIM_400000_NS6detail17trampoline_kernelINS0_14default_configENS1_32segmented_reduce_config_selectorIN3c104HalfEEEZNS1_21segmented_reduce_implIS3_PKS6_PS6_PKiS6_N6hipcub16HIPCUB_304000_NS6detail27convert_result_type_wrapperISA_SB_N2at6native12_GLOBAL__N_110CustomProdEEEEE10hipError_tPvRmT0_T1_jT2_SS_T4_T3_P12ihipStream_tbEUlT_E_NS1_11comp_targetILNS1_3genE3ELNS1_11target_archE908ELNS1_3gpuE7ELNS1_3repE0EEENS1_30default_config_static_selectorELNS0_4arch9wavefront6targetE1EEEvSR_
    .private_segment_fixed_size: 0
    .sgpr_count:     4
    .sgpr_spill_count: 0
    .symbol:         _ZN7rocprim17ROCPRIM_400000_NS6detail17trampoline_kernelINS0_14default_configENS1_32segmented_reduce_config_selectorIN3c104HalfEEEZNS1_21segmented_reduce_implIS3_PKS6_PS6_PKiS6_N6hipcub16HIPCUB_304000_NS6detail27convert_result_type_wrapperISA_SB_N2at6native12_GLOBAL__N_110CustomProdEEEEE10hipError_tPvRmT0_T1_jT2_SS_T4_T3_P12ihipStream_tbEUlT_E_NS1_11comp_targetILNS1_3genE3ELNS1_11target_archE908ELNS1_3gpuE7ELNS1_3repE0EEENS1_30default_config_static_selectorELNS0_4arch9wavefront6targetE1EEEvSR_.kd
    .uniform_work_group_size: 1
    .uses_dynamic_stack: false
    .vgpr_count:     0
    .vgpr_spill_count: 0
    .wavefront_size: 64
  - .args:
      - .offset:         0
        .size:           48
        .value_kind:     by_value
    .group_segment_fixed_size: 8
    .kernarg_segment_align: 8
    .kernarg_segment_size: 48
    .language:       OpenCL C
    .language_version:
      - 2
      - 0
    .max_flat_workgroup_size: 256
    .name:           _ZN7rocprim17ROCPRIM_400000_NS6detail17trampoline_kernelINS0_14default_configENS1_32segmented_reduce_config_selectorIN3c104HalfEEEZNS1_21segmented_reduce_implIS3_PKS6_PS6_PKiS6_N6hipcub16HIPCUB_304000_NS6detail27convert_result_type_wrapperISA_SB_N2at6native12_GLOBAL__N_110CustomProdEEEEE10hipError_tPvRmT0_T1_jT2_SS_T4_T3_P12ihipStream_tbEUlT_E_NS1_11comp_targetILNS1_3genE2ELNS1_11target_archE906ELNS1_3gpuE6ELNS1_3repE0EEENS1_30default_config_static_selectorELNS0_4arch9wavefront6targetE1EEEvSR_
    .private_segment_fixed_size: 0
    .sgpr_count:     50
    .sgpr_spill_count: 0
    .symbol:         _ZN7rocprim17ROCPRIM_400000_NS6detail17trampoline_kernelINS0_14default_configENS1_32segmented_reduce_config_selectorIN3c104HalfEEEZNS1_21segmented_reduce_implIS3_PKS6_PS6_PKiS6_N6hipcub16HIPCUB_304000_NS6detail27convert_result_type_wrapperISA_SB_N2at6native12_GLOBAL__N_110CustomProdEEEEE10hipError_tPvRmT0_T1_jT2_SS_T4_T3_P12ihipStream_tbEUlT_E_NS1_11comp_targetILNS1_3genE2ELNS1_11target_archE906ELNS1_3gpuE6ELNS1_3repE0EEENS1_30default_config_static_selectorELNS0_4arch9wavefront6targetE1EEEvSR_.kd
    .uniform_work_group_size: 1
    .uses_dynamic_stack: false
    .vgpr_count:     23
    .vgpr_spill_count: 0
    .wavefront_size: 64
  - .args:
      - .offset:         0
        .size:           48
        .value_kind:     by_value
    .group_segment_fixed_size: 0
    .kernarg_segment_align: 8
    .kernarg_segment_size: 48
    .language:       OpenCL C
    .language_version:
      - 2
      - 0
    .max_flat_workgroup_size: 256
    .name:           _ZN7rocprim17ROCPRIM_400000_NS6detail17trampoline_kernelINS0_14default_configENS1_32segmented_reduce_config_selectorIN3c104HalfEEEZNS1_21segmented_reduce_implIS3_PKS6_PS6_PKiS6_N6hipcub16HIPCUB_304000_NS6detail27convert_result_type_wrapperISA_SB_N2at6native12_GLOBAL__N_110CustomProdEEEEE10hipError_tPvRmT0_T1_jT2_SS_T4_T3_P12ihipStream_tbEUlT_E_NS1_11comp_targetILNS1_3genE9ELNS1_11target_archE1100ELNS1_3gpuE3ELNS1_3repE0EEENS1_30default_config_static_selectorELNS0_4arch9wavefront6targetE1EEEvSR_
    .private_segment_fixed_size: 0
    .sgpr_count:     4
    .sgpr_spill_count: 0
    .symbol:         _ZN7rocprim17ROCPRIM_400000_NS6detail17trampoline_kernelINS0_14default_configENS1_32segmented_reduce_config_selectorIN3c104HalfEEEZNS1_21segmented_reduce_implIS3_PKS6_PS6_PKiS6_N6hipcub16HIPCUB_304000_NS6detail27convert_result_type_wrapperISA_SB_N2at6native12_GLOBAL__N_110CustomProdEEEEE10hipError_tPvRmT0_T1_jT2_SS_T4_T3_P12ihipStream_tbEUlT_E_NS1_11comp_targetILNS1_3genE9ELNS1_11target_archE1100ELNS1_3gpuE3ELNS1_3repE0EEENS1_30default_config_static_selectorELNS0_4arch9wavefront6targetE1EEEvSR_.kd
    .uniform_work_group_size: 1
    .uses_dynamic_stack: false
    .vgpr_count:     0
    .vgpr_spill_count: 0
    .wavefront_size: 64
  - .args:
      - .offset:         0
        .size:           48
        .value_kind:     by_value
    .group_segment_fixed_size: 0
    .kernarg_segment_align: 8
    .kernarg_segment_size: 48
    .language:       OpenCL C
    .language_version:
      - 2
      - 0
    .max_flat_workgroup_size: 256
    .name:           _ZN7rocprim17ROCPRIM_400000_NS6detail17trampoline_kernelINS0_14default_configENS1_32segmented_reduce_config_selectorIN3c104HalfEEEZNS1_21segmented_reduce_implIS3_PKS6_PS6_PKiS6_N6hipcub16HIPCUB_304000_NS6detail27convert_result_type_wrapperISA_SB_N2at6native12_GLOBAL__N_110CustomProdEEEEE10hipError_tPvRmT0_T1_jT2_SS_T4_T3_P12ihipStream_tbEUlT_E_NS1_11comp_targetILNS1_3genE8ELNS1_11target_archE1030ELNS1_3gpuE2ELNS1_3repE0EEENS1_30default_config_static_selectorELNS0_4arch9wavefront6targetE1EEEvSR_
    .private_segment_fixed_size: 0
    .sgpr_count:     4
    .sgpr_spill_count: 0
    .symbol:         _ZN7rocprim17ROCPRIM_400000_NS6detail17trampoline_kernelINS0_14default_configENS1_32segmented_reduce_config_selectorIN3c104HalfEEEZNS1_21segmented_reduce_implIS3_PKS6_PS6_PKiS6_N6hipcub16HIPCUB_304000_NS6detail27convert_result_type_wrapperISA_SB_N2at6native12_GLOBAL__N_110CustomProdEEEEE10hipError_tPvRmT0_T1_jT2_SS_T4_T3_P12ihipStream_tbEUlT_E_NS1_11comp_targetILNS1_3genE8ELNS1_11target_archE1030ELNS1_3gpuE2ELNS1_3repE0EEENS1_30default_config_static_selectorELNS0_4arch9wavefront6targetE1EEEvSR_.kd
    .uniform_work_group_size: 1
    .uses_dynamic_stack: false
    .vgpr_count:     0
    .vgpr_spill_count: 0
    .wavefront_size: 64
  - .args:
      - .offset:         0
        .size:           4
        .value_kind:     by_value
      - .address_space:  global
        .offset:         8
        .size:           8
        .value_kind:     global_buffer
      - .address_space:  global
        .offset:         16
        .size:           8
        .value_kind:     global_buffer
      - .address_space:  global
        .offset:         24
        .size:           8
        .value_kind:     global_buffer
      - .address_space:  global
        .offset:         32
        .size:           8
        .value_kind:     global_buffer
      - .offset:         40
        .size:           8
        .value_kind:     by_value
      - .offset:         48
        .size:           8
        .value_kind:     by_value
      - .offset:         56
        .size:           1
        .value_kind:     by_value
      - .offset:         58
        .size:           2
        .value_kind:     by_value
      - .offset:         64
        .size:           8
        .value_kind:     by_value
      - .offset:         72
        .size:           8
        .value_kind:     by_value
      - .offset:         80
        .size:           8
        .value_kind:     by_value
      - .offset:         88
        .size:           8
        .value_kind:     by_value
      - .offset:         96
        .size:           8
        .value_kind:     by_value
      - .offset:         104
        .size:           8
        .value_kind:     by_value
      - .offset:         112
        .size:           8
        .value_kind:     by_value
      - .offset:         120
        .size:           4
        .value_kind:     hidden_block_count_x
      - .offset:         124
        .size:           4
        .value_kind:     hidden_block_count_y
      - .offset:         128
        .size:           4
        .value_kind:     hidden_block_count_z
      - .offset:         132
        .size:           2
        .value_kind:     hidden_group_size_x
      - .offset:         134
        .size:           2
        .value_kind:     hidden_group_size_y
      - .offset:         136
        .size:           2
        .value_kind:     hidden_group_size_z
      - .offset:         138
        .size:           2
        .value_kind:     hidden_remainder_x
      - .offset:         140
        .size:           2
        .value_kind:     hidden_remainder_y
      - .offset:         142
        .size:           2
        .value_kind:     hidden_remainder_z
      - .offset:         160
        .size:           8
        .value_kind:     hidden_global_offset_x
      - .offset:         168
        .size:           8
        .value_kind:     hidden_global_offset_y
      - .offset:         176
        .size:           8
        .value_kind:     hidden_global_offset_z
      - .offset:         184
        .size:           2
        .value_kind:     hidden_grid_dims
    .group_segment_fixed_size: 0
    .kernarg_segment_align: 8
    .kernarg_segment_size: 376
    .language:       OpenCL C
    .language_version:
      - 2
      - 0
    .max_flat_workgroup_size: 1024
    .name:           _ZN2at6native12_GLOBAL__N_129segment_reduce_forward_kernelIN3c108BFloat16EiEEvNS0_13ReductionTypeEPT_PKS6_PKT0_SC_llbS6_lllllll
    .private_segment_fixed_size: 0
    .sgpr_count:     46
    .sgpr_spill_count: 0
    .symbol:         _ZN2at6native12_GLOBAL__N_129segment_reduce_forward_kernelIN3c108BFloat16EiEEvNS0_13ReductionTypeEPT_PKS6_PKT0_SC_llbS6_lllllll.kd
    .uniform_work_group_size: 1
    .uses_dynamic_stack: false
    .vgpr_count:     22
    .vgpr_spill_count: 0
    .wavefront_size: 64
  - .args:
      - .offset:         0
        .size:           48
        .value_kind:     by_value
    .group_segment_fixed_size: 0
    .kernarg_segment_align: 8
    .kernarg_segment_size: 48
    .language:       OpenCL C
    .language_version:
      - 2
      - 0
    .max_flat_workgroup_size: 256
    .name:           _ZN7rocprim17ROCPRIM_400000_NS6detail17trampoline_kernelINS0_14default_configENS1_32segmented_reduce_config_selectorIN3c108BFloat16EEEZNS1_21segmented_reduce_implIS3_PKS6_PS6_PKiS6_N6hipcub16HIPCUB_304000_NS6detail27convert_result_type_wrapperISA_SB_N2at6native12_GLOBAL__N_19CustomMaxEEEEE10hipError_tPvRmT0_T1_jT2_SS_T4_T3_P12ihipStream_tbEUlT_E_NS1_11comp_targetILNS1_3genE0ELNS1_11target_archE4294967295ELNS1_3gpuE0ELNS1_3repE0EEENS1_30default_config_static_selectorELNS0_4arch9wavefront6targetE1EEEvSR_
    .private_segment_fixed_size: 0
    .sgpr_count:     4
    .sgpr_spill_count: 0
    .symbol:         _ZN7rocprim17ROCPRIM_400000_NS6detail17trampoline_kernelINS0_14default_configENS1_32segmented_reduce_config_selectorIN3c108BFloat16EEEZNS1_21segmented_reduce_implIS3_PKS6_PS6_PKiS6_N6hipcub16HIPCUB_304000_NS6detail27convert_result_type_wrapperISA_SB_N2at6native12_GLOBAL__N_19CustomMaxEEEEE10hipError_tPvRmT0_T1_jT2_SS_T4_T3_P12ihipStream_tbEUlT_E_NS1_11comp_targetILNS1_3genE0ELNS1_11target_archE4294967295ELNS1_3gpuE0ELNS1_3repE0EEENS1_30default_config_static_selectorELNS0_4arch9wavefront6targetE1EEEvSR_.kd
    .uniform_work_group_size: 1
    .uses_dynamic_stack: false
    .vgpr_count:     0
    .vgpr_spill_count: 0
    .wavefront_size: 64
  - .args:
      - .offset:         0
        .size:           48
        .value_kind:     by_value
    .group_segment_fixed_size: 0
    .kernarg_segment_align: 8
    .kernarg_segment_size: 48
    .language:       OpenCL C
    .language_version:
      - 2
      - 0
    .max_flat_workgroup_size: 256
    .name:           _ZN7rocprim17ROCPRIM_400000_NS6detail17trampoline_kernelINS0_14default_configENS1_32segmented_reduce_config_selectorIN3c108BFloat16EEEZNS1_21segmented_reduce_implIS3_PKS6_PS6_PKiS6_N6hipcub16HIPCUB_304000_NS6detail27convert_result_type_wrapperISA_SB_N2at6native12_GLOBAL__N_19CustomMaxEEEEE10hipError_tPvRmT0_T1_jT2_SS_T4_T3_P12ihipStream_tbEUlT_E_NS1_11comp_targetILNS1_3genE5ELNS1_11target_archE942ELNS1_3gpuE9ELNS1_3repE0EEENS1_30default_config_static_selectorELNS0_4arch9wavefront6targetE1EEEvSR_
    .private_segment_fixed_size: 0
    .sgpr_count:     4
    .sgpr_spill_count: 0
    .symbol:         _ZN7rocprim17ROCPRIM_400000_NS6detail17trampoline_kernelINS0_14default_configENS1_32segmented_reduce_config_selectorIN3c108BFloat16EEEZNS1_21segmented_reduce_implIS3_PKS6_PS6_PKiS6_N6hipcub16HIPCUB_304000_NS6detail27convert_result_type_wrapperISA_SB_N2at6native12_GLOBAL__N_19CustomMaxEEEEE10hipError_tPvRmT0_T1_jT2_SS_T4_T3_P12ihipStream_tbEUlT_E_NS1_11comp_targetILNS1_3genE5ELNS1_11target_archE942ELNS1_3gpuE9ELNS1_3repE0EEENS1_30default_config_static_selectorELNS0_4arch9wavefront6targetE1EEEvSR_.kd
    .uniform_work_group_size: 1
    .uses_dynamic_stack: false
    .vgpr_count:     0
    .vgpr_spill_count: 0
    .wavefront_size: 64
  - .args:
      - .offset:         0
        .size:           48
        .value_kind:     by_value
    .group_segment_fixed_size: 0
    .kernarg_segment_align: 8
    .kernarg_segment_size: 48
    .language:       OpenCL C
    .language_version:
      - 2
      - 0
    .max_flat_workgroup_size: 256
    .name:           _ZN7rocprim17ROCPRIM_400000_NS6detail17trampoline_kernelINS0_14default_configENS1_32segmented_reduce_config_selectorIN3c108BFloat16EEEZNS1_21segmented_reduce_implIS3_PKS6_PS6_PKiS6_N6hipcub16HIPCUB_304000_NS6detail27convert_result_type_wrapperISA_SB_N2at6native12_GLOBAL__N_19CustomMaxEEEEE10hipError_tPvRmT0_T1_jT2_SS_T4_T3_P12ihipStream_tbEUlT_E_NS1_11comp_targetILNS1_3genE10ELNS1_11target_archE1201ELNS1_3gpuE5ELNS1_3repE0EEENS1_30default_config_static_selectorELNS0_4arch9wavefront6targetE1EEEvSR_
    .private_segment_fixed_size: 0
    .sgpr_count:     4
    .sgpr_spill_count: 0
    .symbol:         _ZN7rocprim17ROCPRIM_400000_NS6detail17trampoline_kernelINS0_14default_configENS1_32segmented_reduce_config_selectorIN3c108BFloat16EEEZNS1_21segmented_reduce_implIS3_PKS6_PS6_PKiS6_N6hipcub16HIPCUB_304000_NS6detail27convert_result_type_wrapperISA_SB_N2at6native12_GLOBAL__N_19CustomMaxEEEEE10hipError_tPvRmT0_T1_jT2_SS_T4_T3_P12ihipStream_tbEUlT_E_NS1_11comp_targetILNS1_3genE10ELNS1_11target_archE1201ELNS1_3gpuE5ELNS1_3repE0EEENS1_30default_config_static_selectorELNS0_4arch9wavefront6targetE1EEEvSR_.kd
    .uniform_work_group_size: 1
    .uses_dynamic_stack: false
    .vgpr_count:     0
    .vgpr_spill_count: 0
    .wavefront_size: 64
  - .args:
      - .offset:         0
        .size:           48
        .value_kind:     by_value
    .group_segment_fixed_size: 0
    .kernarg_segment_align: 8
    .kernarg_segment_size: 48
    .language:       OpenCL C
    .language_version:
      - 2
      - 0
    .max_flat_workgroup_size: 256
    .name:           _ZN7rocprim17ROCPRIM_400000_NS6detail17trampoline_kernelINS0_14default_configENS1_32segmented_reduce_config_selectorIN3c108BFloat16EEEZNS1_21segmented_reduce_implIS3_PKS6_PS6_PKiS6_N6hipcub16HIPCUB_304000_NS6detail27convert_result_type_wrapperISA_SB_N2at6native12_GLOBAL__N_19CustomMaxEEEEE10hipError_tPvRmT0_T1_jT2_SS_T4_T3_P12ihipStream_tbEUlT_E_NS1_11comp_targetILNS1_3genE4ELNS1_11target_archE910ELNS1_3gpuE8ELNS1_3repE0EEENS1_30default_config_static_selectorELNS0_4arch9wavefront6targetE1EEEvSR_
    .private_segment_fixed_size: 0
    .sgpr_count:     4
    .sgpr_spill_count: 0
    .symbol:         _ZN7rocprim17ROCPRIM_400000_NS6detail17trampoline_kernelINS0_14default_configENS1_32segmented_reduce_config_selectorIN3c108BFloat16EEEZNS1_21segmented_reduce_implIS3_PKS6_PS6_PKiS6_N6hipcub16HIPCUB_304000_NS6detail27convert_result_type_wrapperISA_SB_N2at6native12_GLOBAL__N_19CustomMaxEEEEE10hipError_tPvRmT0_T1_jT2_SS_T4_T3_P12ihipStream_tbEUlT_E_NS1_11comp_targetILNS1_3genE4ELNS1_11target_archE910ELNS1_3gpuE8ELNS1_3repE0EEENS1_30default_config_static_selectorELNS0_4arch9wavefront6targetE1EEEvSR_.kd
    .uniform_work_group_size: 1
    .uses_dynamic_stack: false
    .vgpr_count:     0
    .vgpr_spill_count: 0
    .wavefront_size: 64
  - .args:
      - .offset:         0
        .size:           48
        .value_kind:     by_value
    .group_segment_fixed_size: 0
    .kernarg_segment_align: 8
    .kernarg_segment_size: 48
    .language:       OpenCL C
    .language_version:
      - 2
      - 0
    .max_flat_workgroup_size: 256
    .name:           _ZN7rocprim17ROCPRIM_400000_NS6detail17trampoline_kernelINS0_14default_configENS1_32segmented_reduce_config_selectorIN3c108BFloat16EEEZNS1_21segmented_reduce_implIS3_PKS6_PS6_PKiS6_N6hipcub16HIPCUB_304000_NS6detail27convert_result_type_wrapperISA_SB_N2at6native12_GLOBAL__N_19CustomMaxEEEEE10hipError_tPvRmT0_T1_jT2_SS_T4_T3_P12ihipStream_tbEUlT_E_NS1_11comp_targetILNS1_3genE3ELNS1_11target_archE908ELNS1_3gpuE7ELNS1_3repE0EEENS1_30default_config_static_selectorELNS0_4arch9wavefront6targetE1EEEvSR_
    .private_segment_fixed_size: 0
    .sgpr_count:     4
    .sgpr_spill_count: 0
    .symbol:         _ZN7rocprim17ROCPRIM_400000_NS6detail17trampoline_kernelINS0_14default_configENS1_32segmented_reduce_config_selectorIN3c108BFloat16EEEZNS1_21segmented_reduce_implIS3_PKS6_PS6_PKiS6_N6hipcub16HIPCUB_304000_NS6detail27convert_result_type_wrapperISA_SB_N2at6native12_GLOBAL__N_19CustomMaxEEEEE10hipError_tPvRmT0_T1_jT2_SS_T4_T3_P12ihipStream_tbEUlT_E_NS1_11comp_targetILNS1_3genE3ELNS1_11target_archE908ELNS1_3gpuE7ELNS1_3repE0EEENS1_30default_config_static_selectorELNS0_4arch9wavefront6targetE1EEEvSR_.kd
    .uniform_work_group_size: 1
    .uses_dynamic_stack: false
    .vgpr_count:     0
    .vgpr_spill_count: 0
    .wavefront_size: 64
  - .args:
      - .offset:         0
        .size:           48
        .value_kind:     by_value
    .group_segment_fixed_size: 8
    .kernarg_segment_align: 8
    .kernarg_segment_size: 48
    .language:       OpenCL C
    .language_version:
      - 2
      - 0
    .max_flat_workgroup_size: 256
    .name:           _ZN7rocprim17ROCPRIM_400000_NS6detail17trampoline_kernelINS0_14default_configENS1_32segmented_reduce_config_selectorIN3c108BFloat16EEEZNS1_21segmented_reduce_implIS3_PKS6_PS6_PKiS6_N6hipcub16HIPCUB_304000_NS6detail27convert_result_type_wrapperISA_SB_N2at6native12_GLOBAL__N_19CustomMaxEEEEE10hipError_tPvRmT0_T1_jT2_SS_T4_T3_P12ihipStream_tbEUlT_E_NS1_11comp_targetILNS1_3genE2ELNS1_11target_archE906ELNS1_3gpuE6ELNS1_3repE0EEENS1_30default_config_static_selectorELNS0_4arch9wavefront6targetE1EEEvSR_
    .private_segment_fixed_size: 0
    .sgpr_count:     55
    .sgpr_spill_count: 0
    .symbol:         _ZN7rocprim17ROCPRIM_400000_NS6detail17trampoline_kernelINS0_14default_configENS1_32segmented_reduce_config_selectorIN3c108BFloat16EEEZNS1_21segmented_reduce_implIS3_PKS6_PS6_PKiS6_N6hipcub16HIPCUB_304000_NS6detail27convert_result_type_wrapperISA_SB_N2at6native12_GLOBAL__N_19CustomMaxEEEEE10hipError_tPvRmT0_T1_jT2_SS_T4_T3_P12ihipStream_tbEUlT_E_NS1_11comp_targetILNS1_3genE2ELNS1_11target_archE906ELNS1_3gpuE6ELNS1_3repE0EEENS1_30default_config_static_selectorELNS0_4arch9wavefront6targetE1EEEvSR_.kd
    .uniform_work_group_size: 1
    .uses_dynamic_stack: false
    .vgpr_count:     24
    .vgpr_spill_count: 0
    .wavefront_size: 64
  - .args:
      - .offset:         0
        .size:           48
        .value_kind:     by_value
    .group_segment_fixed_size: 0
    .kernarg_segment_align: 8
    .kernarg_segment_size: 48
    .language:       OpenCL C
    .language_version:
      - 2
      - 0
    .max_flat_workgroup_size: 256
    .name:           _ZN7rocprim17ROCPRIM_400000_NS6detail17trampoline_kernelINS0_14default_configENS1_32segmented_reduce_config_selectorIN3c108BFloat16EEEZNS1_21segmented_reduce_implIS3_PKS6_PS6_PKiS6_N6hipcub16HIPCUB_304000_NS6detail27convert_result_type_wrapperISA_SB_N2at6native12_GLOBAL__N_19CustomMaxEEEEE10hipError_tPvRmT0_T1_jT2_SS_T4_T3_P12ihipStream_tbEUlT_E_NS1_11comp_targetILNS1_3genE9ELNS1_11target_archE1100ELNS1_3gpuE3ELNS1_3repE0EEENS1_30default_config_static_selectorELNS0_4arch9wavefront6targetE1EEEvSR_
    .private_segment_fixed_size: 0
    .sgpr_count:     4
    .sgpr_spill_count: 0
    .symbol:         _ZN7rocprim17ROCPRIM_400000_NS6detail17trampoline_kernelINS0_14default_configENS1_32segmented_reduce_config_selectorIN3c108BFloat16EEEZNS1_21segmented_reduce_implIS3_PKS6_PS6_PKiS6_N6hipcub16HIPCUB_304000_NS6detail27convert_result_type_wrapperISA_SB_N2at6native12_GLOBAL__N_19CustomMaxEEEEE10hipError_tPvRmT0_T1_jT2_SS_T4_T3_P12ihipStream_tbEUlT_E_NS1_11comp_targetILNS1_3genE9ELNS1_11target_archE1100ELNS1_3gpuE3ELNS1_3repE0EEENS1_30default_config_static_selectorELNS0_4arch9wavefront6targetE1EEEvSR_.kd
    .uniform_work_group_size: 1
    .uses_dynamic_stack: false
    .vgpr_count:     0
    .vgpr_spill_count: 0
    .wavefront_size: 64
  - .args:
      - .offset:         0
        .size:           48
        .value_kind:     by_value
    .group_segment_fixed_size: 0
    .kernarg_segment_align: 8
    .kernarg_segment_size: 48
    .language:       OpenCL C
    .language_version:
      - 2
      - 0
    .max_flat_workgroup_size: 256
    .name:           _ZN7rocprim17ROCPRIM_400000_NS6detail17trampoline_kernelINS0_14default_configENS1_32segmented_reduce_config_selectorIN3c108BFloat16EEEZNS1_21segmented_reduce_implIS3_PKS6_PS6_PKiS6_N6hipcub16HIPCUB_304000_NS6detail27convert_result_type_wrapperISA_SB_N2at6native12_GLOBAL__N_19CustomMaxEEEEE10hipError_tPvRmT0_T1_jT2_SS_T4_T3_P12ihipStream_tbEUlT_E_NS1_11comp_targetILNS1_3genE8ELNS1_11target_archE1030ELNS1_3gpuE2ELNS1_3repE0EEENS1_30default_config_static_selectorELNS0_4arch9wavefront6targetE1EEEvSR_
    .private_segment_fixed_size: 0
    .sgpr_count:     4
    .sgpr_spill_count: 0
    .symbol:         _ZN7rocprim17ROCPRIM_400000_NS6detail17trampoline_kernelINS0_14default_configENS1_32segmented_reduce_config_selectorIN3c108BFloat16EEEZNS1_21segmented_reduce_implIS3_PKS6_PS6_PKiS6_N6hipcub16HIPCUB_304000_NS6detail27convert_result_type_wrapperISA_SB_N2at6native12_GLOBAL__N_19CustomMaxEEEEE10hipError_tPvRmT0_T1_jT2_SS_T4_T3_P12ihipStream_tbEUlT_E_NS1_11comp_targetILNS1_3genE8ELNS1_11target_archE1030ELNS1_3gpuE2ELNS1_3repE0EEENS1_30default_config_static_selectorELNS0_4arch9wavefront6targetE1EEEvSR_.kd
    .uniform_work_group_size: 1
    .uses_dynamic_stack: false
    .vgpr_count:     0
    .vgpr_spill_count: 0
    .wavefront_size: 64
  - .args:
      - .offset:         0
        .size:           48
        .value_kind:     by_value
    .group_segment_fixed_size: 0
    .kernarg_segment_align: 8
    .kernarg_segment_size: 48
    .language:       OpenCL C
    .language_version:
      - 2
      - 0
    .max_flat_workgroup_size: 256
    .name:           _ZN7rocprim17ROCPRIM_400000_NS6detail17trampoline_kernelINS0_14default_configENS1_32segmented_reduce_config_selectorIN3c108BFloat16EEEZNS1_21segmented_reduce_implIS3_PKS6_PS6_PKiS6_N6hipcub16HIPCUB_304000_NS6detail27convert_result_type_wrapperISA_SB_N2at6native12_GLOBAL__N_19CustomSumEEEEE10hipError_tPvRmT0_T1_jT2_SS_T4_T3_P12ihipStream_tbEUlT_E_NS1_11comp_targetILNS1_3genE0ELNS1_11target_archE4294967295ELNS1_3gpuE0ELNS1_3repE0EEENS1_30default_config_static_selectorELNS0_4arch9wavefront6targetE1EEEvSR_
    .private_segment_fixed_size: 0
    .sgpr_count:     4
    .sgpr_spill_count: 0
    .symbol:         _ZN7rocprim17ROCPRIM_400000_NS6detail17trampoline_kernelINS0_14default_configENS1_32segmented_reduce_config_selectorIN3c108BFloat16EEEZNS1_21segmented_reduce_implIS3_PKS6_PS6_PKiS6_N6hipcub16HIPCUB_304000_NS6detail27convert_result_type_wrapperISA_SB_N2at6native12_GLOBAL__N_19CustomSumEEEEE10hipError_tPvRmT0_T1_jT2_SS_T4_T3_P12ihipStream_tbEUlT_E_NS1_11comp_targetILNS1_3genE0ELNS1_11target_archE4294967295ELNS1_3gpuE0ELNS1_3repE0EEENS1_30default_config_static_selectorELNS0_4arch9wavefront6targetE1EEEvSR_.kd
    .uniform_work_group_size: 1
    .uses_dynamic_stack: false
    .vgpr_count:     0
    .vgpr_spill_count: 0
    .wavefront_size: 64
  - .args:
      - .offset:         0
        .size:           48
        .value_kind:     by_value
    .group_segment_fixed_size: 0
    .kernarg_segment_align: 8
    .kernarg_segment_size: 48
    .language:       OpenCL C
    .language_version:
      - 2
      - 0
    .max_flat_workgroup_size: 256
    .name:           _ZN7rocprim17ROCPRIM_400000_NS6detail17trampoline_kernelINS0_14default_configENS1_32segmented_reduce_config_selectorIN3c108BFloat16EEEZNS1_21segmented_reduce_implIS3_PKS6_PS6_PKiS6_N6hipcub16HIPCUB_304000_NS6detail27convert_result_type_wrapperISA_SB_N2at6native12_GLOBAL__N_19CustomSumEEEEE10hipError_tPvRmT0_T1_jT2_SS_T4_T3_P12ihipStream_tbEUlT_E_NS1_11comp_targetILNS1_3genE5ELNS1_11target_archE942ELNS1_3gpuE9ELNS1_3repE0EEENS1_30default_config_static_selectorELNS0_4arch9wavefront6targetE1EEEvSR_
    .private_segment_fixed_size: 0
    .sgpr_count:     4
    .sgpr_spill_count: 0
    .symbol:         _ZN7rocprim17ROCPRIM_400000_NS6detail17trampoline_kernelINS0_14default_configENS1_32segmented_reduce_config_selectorIN3c108BFloat16EEEZNS1_21segmented_reduce_implIS3_PKS6_PS6_PKiS6_N6hipcub16HIPCUB_304000_NS6detail27convert_result_type_wrapperISA_SB_N2at6native12_GLOBAL__N_19CustomSumEEEEE10hipError_tPvRmT0_T1_jT2_SS_T4_T3_P12ihipStream_tbEUlT_E_NS1_11comp_targetILNS1_3genE5ELNS1_11target_archE942ELNS1_3gpuE9ELNS1_3repE0EEENS1_30default_config_static_selectorELNS0_4arch9wavefront6targetE1EEEvSR_.kd
    .uniform_work_group_size: 1
    .uses_dynamic_stack: false
    .vgpr_count:     0
    .vgpr_spill_count: 0
    .wavefront_size: 64
  - .args:
      - .offset:         0
        .size:           48
        .value_kind:     by_value
    .group_segment_fixed_size: 0
    .kernarg_segment_align: 8
    .kernarg_segment_size: 48
    .language:       OpenCL C
    .language_version:
      - 2
      - 0
    .max_flat_workgroup_size: 256
    .name:           _ZN7rocprim17ROCPRIM_400000_NS6detail17trampoline_kernelINS0_14default_configENS1_32segmented_reduce_config_selectorIN3c108BFloat16EEEZNS1_21segmented_reduce_implIS3_PKS6_PS6_PKiS6_N6hipcub16HIPCUB_304000_NS6detail27convert_result_type_wrapperISA_SB_N2at6native12_GLOBAL__N_19CustomSumEEEEE10hipError_tPvRmT0_T1_jT2_SS_T4_T3_P12ihipStream_tbEUlT_E_NS1_11comp_targetILNS1_3genE10ELNS1_11target_archE1201ELNS1_3gpuE5ELNS1_3repE0EEENS1_30default_config_static_selectorELNS0_4arch9wavefront6targetE1EEEvSR_
    .private_segment_fixed_size: 0
    .sgpr_count:     4
    .sgpr_spill_count: 0
    .symbol:         _ZN7rocprim17ROCPRIM_400000_NS6detail17trampoline_kernelINS0_14default_configENS1_32segmented_reduce_config_selectorIN3c108BFloat16EEEZNS1_21segmented_reduce_implIS3_PKS6_PS6_PKiS6_N6hipcub16HIPCUB_304000_NS6detail27convert_result_type_wrapperISA_SB_N2at6native12_GLOBAL__N_19CustomSumEEEEE10hipError_tPvRmT0_T1_jT2_SS_T4_T3_P12ihipStream_tbEUlT_E_NS1_11comp_targetILNS1_3genE10ELNS1_11target_archE1201ELNS1_3gpuE5ELNS1_3repE0EEENS1_30default_config_static_selectorELNS0_4arch9wavefront6targetE1EEEvSR_.kd
    .uniform_work_group_size: 1
    .uses_dynamic_stack: false
    .vgpr_count:     0
    .vgpr_spill_count: 0
    .wavefront_size: 64
  - .args:
      - .offset:         0
        .size:           48
        .value_kind:     by_value
    .group_segment_fixed_size: 0
    .kernarg_segment_align: 8
    .kernarg_segment_size: 48
    .language:       OpenCL C
    .language_version:
      - 2
      - 0
    .max_flat_workgroup_size: 256
    .name:           _ZN7rocprim17ROCPRIM_400000_NS6detail17trampoline_kernelINS0_14default_configENS1_32segmented_reduce_config_selectorIN3c108BFloat16EEEZNS1_21segmented_reduce_implIS3_PKS6_PS6_PKiS6_N6hipcub16HIPCUB_304000_NS6detail27convert_result_type_wrapperISA_SB_N2at6native12_GLOBAL__N_19CustomSumEEEEE10hipError_tPvRmT0_T1_jT2_SS_T4_T3_P12ihipStream_tbEUlT_E_NS1_11comp_targetILNS1_3genE4ELNS1_11target_archE910ELNS1_3gpuE8ELNS1_3repE0EEENS1_30default_config_static_selectorELNS0_4arch9wavefront6targetE1EEEvSR_
    .private_segment_fixed_size: 0
    .sgpr_count:     4
    .sgpr_spill_count: 0
    .symbol:         _ZN7rocprim17ROCPRIM_400000_NS6detail17trampoline_kernelINS0_14default_configENS1_32segmented_reduce_config_selectorIN3c108BFloat16EEEZNS1_21segmented_reduce_implIS3_PKS6_PS6_PKiS6_N6hipcub16HIPCUB_304000_NS6detail27convert_result_type_wrapperISA_SB_N2at6native12_GLOBAL__N_19CustomSumEEEEE10hipError_tPvRmT0_T1_jT2_SS_T4_T3_P12ihipStream_tbEUlT_E_NS1_11comp_targetILNS1_3genE4ELNS1_11target_archE910ELNS1_3gpuE8ELNS1_3repE0EEENS1_30default_config_static_selectorELNS0_4arch9wavefront6targetE1EEEvSR_.kd
    .uniform_work_group_size: 1
    .uses_dynamic_stack: false
    .vgpr_count:     0
    .vgpr_spill_count: 0
    .wavefront_size: 64
  - .args:
      - .offset:         0
        .size:           48
        .value_kind:     by_value
    .group_segment_fixed_size: 0
    .kernarg_segment_align: 8
    .kernarg_segment_size: 48
    .language:       OpenCL C
    .language_version:
      - 2
      - 0
    .max_flat_workgroup_size: 256
    .name:           _ZN7rocprim17ROCPRIM_400000_NS6detail17trampoline_kernelINS0_14default_configENS1_32segmented_reduce_config_selectorIN3c108BFloat16EEEZNS1_21segmented_reduce_implIS3_PKS6_PS6_PKiS6_N6hipcub16HIPCUB_304000_NS6detail27convert_result_type_wrapperISA_SB_N2at6native12_GLOBAL__N_19CustomSumEEEEE10hipError_tPvRmT0_T1_jT2_SS_T4_T3_P12ihipStream_tbEUlT_E_NS1_11comp_targetILNS1_3genE3ELNS1_11target_archE908ELNS1_3gpuE7ELNS1_3repE0EEENS1_30default_config_static_selectorELNS0_4arch9wavefront6targetE1EEEvSR_
    .private_segment_fixed_size: 0
    .sgpr_count:     4
    .sgpr_spill_count: 0
    .symbol:         _ZN7rocprim17ROCPRIM_400000_NS6detail17trampoline_kernelINS0_14default_configENS1_32segmented_reduce_config_selectorIN3c108BFloat16EEEZNS1_21segmented_reduce_implIS3_PKS6_PS6_PKiS6_N6hipcub16HIPCUB_304000_NS6detail27convert_result_type_wrapperISA_SB_N2at6native12_GLOBAL__N_19CustomSumEEEEE10hipError_tPvRmT0_T1_jT2_SS_T4_T3_P12ihipStream_tbEUlT_E_NS1_11comp_targetILNS1_3genE3ELNS1_11target_archE908ELNS1_3gpuE7ELNS1_3repE0EEENS1_30default_config_static_selectorELNS0_4arch9wavefront6targetE1EEEvSR_.kd
    .uniform_work_group_size: 1
    .uses_dynamic_stack: false
    .vgpr_count:     0
    .vgpr_spill_count: 0
    .wavefront_size: 64
  - .args:
      - .offset:         0
        .size:           48
        .value_kind:     by_value
    .group_segment_fixed_size: 8
    .kernarg_segment_align: 8
    .kernarg_segment_size: 48
    .language:       OpenCL C
    .language_version:
      - 2
      - 0
    .max_flat_workgroup_size: 256
    .name:           _ZN7rocprim17ROCPRIM_400000_NS6detail17trampoline_kernelINS0_14default_configENS1_32segmented_reduce_config_selectorIN3c108BFloat16EEEZNS1_21segmented_reduce_implIS3_PKS6_PS6_PKiS6_N6hipcub16HIPCUB_304000_NS6detail27convert_result_type_wrapperISA_SB_N2at6native12_GLOBAL__N_19CustomSumEEEEE10hipError_tPvRmT0_T1_jT2_SS_T4_T3_P12ihipStream_tbEUlT_E_NS1_11comp_targetILNS1_3genE2ELNS1_11target_archE906ELNS1_3gpuE6ELNS1_3repE0EEENS1_30default_config_static_selectorELNS0_4arch9wavefront6targetE1EEEvSR_
    .private_segment_fixed_size: 0
    .sgpr_count:     53
    .sgpr_spill_count: 0
    .symbol:         _ZN7rocprim17ROCPRIM_400000_NS6detail17trampoline_kernelINS0_14default_configENS1_32segmented_reduce_config_selectorIN3c108BFloat16EEEZNS1_21segmented_reduce_implIS3_PKS6_PS6_PKiS6_N6hipcub16HIPCUB_304000_NS6detail27convert_result_type_wrapperISA_SB_N2at6native12_GLOBAL__N_19CustomSumEEEEE10hipError_tPvRmT0_T1_jT2_SS_T4_T3_P12ihipStream_tbEUlT_E_NS1_11comp_targetILNS1_3genE2ELNS1_11target_archE906ELNS1_3gpuE6ELNS1_3repE0EEENS1_30default_config_static_selectorELNS0_4arch9wavefront6targetE1EEEvSR_.kd
    .uniform_work_group_size: 1
    .uses_dynamic_stack: false
    .vgpr_count:     26
    .vgpr_spill_count: 0
    .wavefront_size: 64
  - .args:
      - .offset:         0
        .size:           48
        .value_kind:     by_value
    .group_segment_fixed_size: 0
    .kernarg_segment_align: 8
    .kernarg_segment_size: 48
    .language:       OpenCL C
    .language_version:
      - 2
      - 0
    .max_flat_workgroup_size: 256
    .name:           _ZN7rocprim17ROCPRIM_400000_NS6detail17trampoline_kernelINS0_14default_configENS1_32segmented_reduce_config_selectorIN3c108BFloat16EEEZNS1_21segmented_reduce_implIS3_PKS6_PS6_PKiS6_N6hipcub16HIPCUB_304000_NS6detail27convert_result_type_wrapperISA_SB_N2at6native12_GLOBAL__N_19CustomSumEEEEE10hipError_tPvRmT0_T1_jT2_SS_T4_T3_P12ihipStream_tbEUlT_E_NS1_11comp_targetILNS1_3genE9ELNS1_11target_archE1100ELNS1_3gpuE3ELNS1_3repE0EEENS1_30default_config_static_selectorELNS0_4arch9wavefront6targetE1EEEvSR_
    .private_segment_fixed_size: 0
    .sgpr_count:     4
    .sgpr_spill_count: 0
    .symbol:         _ZN7rocprim17ROCPRIM_400000_NS6detail17trampoline_kernelINS0_14default_configENS1_32segmented_reduce_config_selectorIN3c108BFloat16EEEZNS1_21segmented_reduce_implIS3_PKS6_PS6_PKiS6_N6hipcub16HIPCUB_304000_NS6detail27convert_result_type_wrapperISA_SB_N2at6native12_GLOBAL__N_19CustomSumEEEEE10hipError_tPvRmT0_T1_jT2_SS_T4_T3_P12ihipStream_tbEUlT_E_NS1_11comp_targetILNS1_3genE9ELNS1_11target_archE1100ELNS1_3gpuE3ELNS1_3repE0EEENS1_30default_config_static_selectorELNS0_4arch9wavefront6targetE1EEEvSR_.kd
    .uniform_work_group_size: 1
    .uses_dynamic_stack: false
    .vgpr_count:     0
    .vgpr_spill_count: 0
    .wavefront_size: 64
  - .args:
      - .offset:         0
        .size:           48
        .value_kind:     by_value
    .group_segment_fixed_size: 0
    .kernarg_segment_align: 8
    .kernarg_segment_size: 48
    .language:       OpenCL C
    .language_version:
      - 2
      - 0
    .max_flat_workgroup_size: 256
    .name:           _ZN7rocprim17ROCPRIM_400000_NS6detail17trampoline_kernelINS0_14default_configENS1_32segmented_reduce_config_selectorIN3c108BFloat16EEEZNS1_21segmented_reduce_implIS3_PKS6_PS6_PKiS6_N6hipcub16HIPCUB_304000_NS6detail27convert_result_type_wrapperISA_SB_N2at6native12_GLOBAL__N_19CustomSumEEEEE10hipError_tPvRmT0_T1_jT2_SS_T4_T3_P12ihipStream_tbEUlT_E_NS1_11comp_targetILNS1_3genE8ELNS1_11target_archE1030ELNS1_3gpuE2ELNS1_3repE0EEENS1_30default_config_static_selectorELNS0_4arch9wavefront6targetE1EEEvSR_
    .private_segment_fixed_size: 0
    .sgpr_count:     4
    .sgpr_spill_count: 0
    .symbol:         _ZN7rocprim17ROCPRIM_400000_NS6detail17trampoline_kernelINS0_14default_configENS1_32segmented_reduce_config_selectorIN3c108BFloat16EEEZNS1_21segmented_reduce_implIS3_PKS6_PS6_PKiS6_N6hipcub16HIPCUB_304000_NS6detail27convert_result_type_wrapperISA_SB_N2at6native12_GLOBAL__N_19CustomSumEEEEE10hipError_tPvRmT0_T1_jT2_SS_T4_T3_P12ihipStream_tbEUlT_E_NS1_11comp_targetILNS1_3genE8ELNS1_11target_archE1030ELNS1_3gpuE2ELNS1_3repE0EEENS1_30default_config_static_selectorELNS0_4arch9wavefront6targetE1EEEvSR_.kd
    .uniform_work_group_size: 1
    .uses_dynamic_stack: false
    .vgpr_count:     0
    .vgpr_spill_count: 0
    .wavefront_size: 64
  - .args:
      - .address_space:  global
        .offset:         0
        .size:           8
        .value_kind:     global_buffer
      - .address_space:  global
        .offset:         8
        .size:           8
        .value_kind:     global_buffer
      - .offset:         16
        .size:           8
        .value_kind:     by_value
      - .offset:         24
        .size:           1
        .value_kind:     by_value
      - .offset:         26
        .size:           2
        .value_kind:     by_value
      - .offset:         32
        .size:           4
        .value_kind:     hidden_block_count_x
      - .offset:         36
        .size:           4
        .value_kind:     hidden_block_count_y
      - .offset:         40
        .size:           4
        .value_kind:     hidden_block_count_z
      - .offset:         44
        .size:           2
        .value_kind:     hidden_group_size_x
      - .offset:         46
        .size:           2
        .value_kind:     hidden_group_size_y
      - .offset:         48
        .size:           2
        .value_kind:     hidden_group_size_z
      - .offset:         50
        .size:           2
        .value_kind:     hidden_remainder_x
      - .offset:         52
        .size:           2
        .value_kind:     hidden_remainder_y
      - .offset:         54
        .size:           2
        .value_kind:     hidden_remainder_z
      - .offset:         72
        .size:           8
        .value_kind:     hidden_global_offset_x
      - .offset:         80
        .size:           8
        .value_kind:     hidden_global_offset_y
      - .offset:         88
        .size:           8
        .value_kind:     hidden_global_offset_z
      - .offset:         96
        .size:           2
        .value_kind:     hidden_grid_dims
    .group_segment_fixed_size: 0
    .kernarg_segment_align: 8
    .kernarg_segment_size: 288
    .language:       OpenCL C
    .language_version:
      - 2
      - 0
    .max_flat_workgroup_size: 1024
    .name:           _ZN2at6native12_GLOBAL__N_119post_sum_div_kernelIN3c108BFloat16EiEEvPT_PKT0_lbS5_
    .private_segment_fixed_size: 0
    .sgpr_count:     32
    .sgpr_spill_count: 0
    .symbol:         _ZN2at6native12_GLOBAL__N_119post_sum_div_kernelIN3c108BFloat16EiEEvPT_PKT0_lbS5_.kd
    .uniform_work_group_size: 1
    .uses_dynamic_stack: false
    .vgpr_count:     15
    .vgpr_spill_count: 0
    .wavefront_size: 64
  - .args:
      - .offset:         0
        .size:           48
        .value_kind:     by_value
    .group_segment_fixed_size: 0
    .kernarg_segment_align: 8
    .kernarg_segment_size: 48
    .language:       OpenCL C
    .language_version:
      - 2
      - 0
    .max_flat_workgroup_size: 256
    .name:           _ZN7rocprim17ROCPRIM_400000_NS6detail17trampoline_kernelINS0_14default_configENS1_32segmented_reduce_config_selectorIN3c108BFloat16EEEZNS1_21segmented_reduce_implIS3_PKS6_PS6_PKiS6_N6hipcub16HIPCUB_304000_NS6detail27convert_result_type_wrapperISA_SB_N2at6native12_GLOBAL__N_19CustomMinEEEEE10hipError_tPvRmT0_T1_jT2_SS_T4_T3_P12ihipStream_tbEUlT_E_NS1_11comp_targetILNS1_3genE0ELNS1_11target_archE4294967295ELNS1_3gpuE0ELNS1_3repE0EEENS1_30default_config_static_selectorELNS0_4arch9wavefront6targetE1EEEvSR_
    .private_segment_fixed_size: 0
    .sgpr_count:     4
    .sgpr_spill_count: 0
    .symbol:         _ZN7rocprim17ROCPRIM_400000_NS6detail17trampoline_kernelINS0_14default_configENS1_32segmented_reduce_config_selectorIN3c108BFloat16EEEZNS1_21segmented_reduce_implIS3_PKS6_PS6_PKiS6_N6hipcub16HIPCUB_304000_NS6detail27convert_result_type_wrapperISA_SB_N2at6native12_GLOBAL__N_19CustomMinEEEEE10hipError_tPvRmT0_T1_jT2_SS_T4_T3_P12ihipStream_tbEUlT_E_NS1_11comp_targetILNS1_3genE0ELNS1_11target_archE4294967295ELNS1_3gpuE0ELNS1_3repE0EEENS1_30default_config_static_selectorELNS0_4arch9wavefront6targetE1EEEvSR_.kd
    .uniform_work_group_size: 1
    .uses_dynamic_stack: false
    .vgpr_count:     0
    .vgpr_spill_count: 0
    .wavefront_size: 64
  - .args:
      - .offset:         0
        .size:           48
        .value_kind:     by_value
    .group_segment_fixed_size: 0
    .kernarg_segment_align: 8
    .kernarg_segment_size: 48
    .language:       OpenCL C
    .language_version:
      - 2
      - 0
    .max_flat_workgroup_size: 256
    .name:           _ZN7rocprim17ROCPRIM_400000_NS6detail17trampoline_kernelINS0_14default_configENS1_32segmented_reduce_config_selectorIN3c108BFloat16EEEZNS1_21segmented_reduce_implIS3_PKS6_PS6_PKiS6_N6hipcub16HIPCUB_304000_NS6detail27convert_result_type_wrapperISA_SB_N2at6native12_GLOBAL__N_19CustomMinEEEEE10hipError_tPvRmT0_T1_jT2_SS_T4_T3_P12ihipStream_tbEUlT_E_NS1_11comp_targetILNS1_3genE5ELNS1_11target_archE942ELNS1_3gpuE9ELNS1_3repE0EEENS1_30default_config_static_selectorELNS0_4arch9wavefront6targetE1EEEvSR_
    .private_segment_fixed_size: 0
    .sgpr_count:     4
    .sgpr_spill_count: 0
    .symbol:         _ZN7rocprim17ROCPRIM_400000_NS6detail17trampoline_kernelINS0_14default_configENS1_32segmented_reduce_config_selectorIN3c108BFloat16EEEZNS1_21segmented_reduce_implIS3_PKS6_PS6_PKiS6_N6hipcub16HIPCUB_304000_NS6detail27convert_result_type_wrapperISA_SB_N2at6native12_GLOBAL__N_19CustomMinEEEEE10hipError_tPvRmT0_T1_jT2_SS_T4_T3_P12ihipStream_tbEUlT_E_NS1_11comp_targetILNS1_3genE5ELNS1_11target_archE942ELNS1_3gpuE9ELNS1_3repE0EEENS1_30default_config_static_selectorELNS0_4arch9wavefront6targetE1EEEvSR_.kd
    .uniform_work_group_size: 1
    .uses_dynamic_stack: false
    .vgpr_count:     0
    .vgpr_spill_count: 0
    .wavefront_size: 64
  - .args:
      - .offset:         0
        .size:           48
        .value_kind:     by_value
    .group_segment_fixed_size: 0
    .kernarg_segment_align: 8
    .kernarg_segment_size: 48
    .language:       OpenCL C
    .language_version:
      - 2
      - 0
    .max_flat_workgroup_size: 256
    .name:           _ZN7rocprim17ROCPRIM_400000_NS6detail17trampoline_kernelINS0_14default_configENS1_32segmented_reduce_config_selectorIN3c108BFloat16EEEZNS1_21segmented_reduce_implIS3_PKS6_PS6_PKiS6_N6hipcub16HIPCUB_304000_NS6detail27convert_result_type_wrapperISA_SB_N2at6native12_GLOBAL__N_19CustomMinEEEEE10hipError_tPvRmT0_T1_jT2_SS_T4_T3_P12ihipStream_tbEUlT_E_NS1_11comp_targetILNS1_3genE10ELNS1_11target_archE1201ELNS1_3gpuE5ELNS1_3repE0EEENS1_30default_config_static_selectorELNS0_4arch9wavefront6targetE1EEEvSR_
    .private_segment_fixed_size: 0
    .sgpr_count:     4
    .sgpr_spill_count: 0
    .symbol:         _ZN7rocprim17ROCPRIM_400000_NS6detail17trampoline_kernelINS0_14default_configENS1_32segmented_reduce_config_selectorIN3c108BFloat16EEEZNS1_21segmented_reduce_implIS3_PKS6_PS6_PKiS6_N6hipcub16HIPCUB_304000_NS6detail27convert_result_type_wrapperISA_SB_N2at6native12_GLOBAL__N_19CustomMinEEEEE10hipError_tPvRmT0_T1_jT2_SS_T4_T3_P12ihipStream_tbEUlT_E_NS1_11comp_targetILNS1_3genE10ELNS1_11target_archE1201ELNS1_3gpuE5ELNS1_3repE0EEENS1_30default_config_static_selectorELNS0_4arch9wavefront6targetE1EEEvSR_.kd
    .uniform_work_group_size: 1
    .uses_dynamic_stack: false
    .vgpr_count:     0
    .vgpr_spill_count: 0
    .wavefront_size: 64
  - .args:
      - .offset:         0
        .size:           48
        .value_kind:     by_value
    .group_segment_fixed_size: 0
    .kernarg_segment_align: 8
    .kernarg_segment_size: 48
    .language:       OpenCL C
    .language_version:
      - 2
      - 0
    .max_flat_workgroup_size: 256
    .name:           _ZN7rocprim17ROCPRIM_400000_NS6detail17trampoline_kernelINS0_14default_configENS1_32segmented_reduce_config_selectorIN3c108BFloat16EEEZNS1_21segmented_reduce_implIS3_PKS6_PS6_PKiS6_N6hipcub16HIPCUB_304000_NS6detail27convert_result_type_wrapperISA_SB_N2at6native12_GLOBAL__N_19CustomMinEEEEE10hipError_tPvRmT0_T1_jT2_SS_T4_T3_P12ihipStream_tbEUlT_E_NS1_11comp_targetILNS1_3genE4ELNS1_11target_archE910ELNS1_3gpuE8ELNS1_3repE0EEENS1_30default_config_static_selectorELNS0_4arch9wavefront6targetE1EEEvSR_
    .private_segment_fixed_size: 0
    .sgpr_count:     4
    .sgpr_spill_count: 0
    .symbol:         _ZN7rocprim17ROCPRIM_400000_NS6detail17trampoline_kernelINS0_14default_configENS1_32segmented_reduce_config_selectorIN3c108BFloat16EEEZNS1_21segmented_reduce_implIS3_PKS6_PS6_PKiS6_N6hipcub16HIPCUB_304000_NS6detail27convert_result_type_wrapperISA_SB_N2at6native12_GLOBAL__N_19CustomMinEEEEE10hipError_tPvRmT0_T1_jT2_SS_T4_T3_P12ihipStream_tbEUlT_E_NS1_11comp_targetILNS1_3genE4ELNS1_11target_archE910ELNS1_3gpuE8ELNS1_3repE0EEENS1_30default_config_static_selectorELNS0_4arch9wavefront6targetE1EEEvSR_.kd
    .uniform_work_group_size: 1
    .uses_dynamic_stack: false
    .vgpr_count:     0
    .vgpr_spill_count: 0
    .wavefront_size: 64
  - .args:
      - .offset:         0
        .size:           48
        .value_kind:     by_value
    .group_segment_fixed_size: 0
    .kernarg_segment_align: 8
    .kernarg_segment_size: 48
    .language:       OpenCL C
    .language_version:
      - 2
      - 0
    .max_flat_workgroup_size: 256
    .name:           _ZN7rocprim17ROCPRIM_400000_NS6detail17trampoline_kernelINS0_14default_configENS1_32segmented_reduce_config_selectorIN3c108BFloat16EEEZNS1_21segmented_reduce_implIS3_PKS6_PS6_PKiS6_N6hipcub16HIPCUB_304000_NS6detail27convert_result_type_wrapperISA_SB_N2at6native12_GLOBAL__N_19CustomMinEEEEE10hipError_tPvRmT0_T1_jT2_SS_T4_T3_P12ihipStream_tbEUlT_E_NS1_11comp_targetILNS1_3genE3ELNS1_11target_archE908ELNS1_3gpuE7ELNS1_3repE0EEENS1_30default_config_static_selectorELNS0_4arch9wavefront6targetE1EEEvSR_
    .private_segment_fixed_size: 0
    .sgpr_count:     4
    .sgpr_spill_count: 0
    .symbol:         _ZN7rocprim17ROCPRIM_400000_NS6detail17trampoline_kernelINS0_14default_configENS1_32segmented_reduce_config_selectorIN3c108BFloat16EEEZNS1_21segmented_reduce_implIS3_PKS6_PS6_PKiS6_N6hipcub16HIPCUB_304000_NS6detail27convert_result_type_wrapperISA_SB_N2at6native12_GLOBAL__N_19CustomMinEEEEE10hipError_tPvRmT0_T1_jT2_SS_T4_T3_P12ihipStream_tbEUlT_E_NS1_11comp_targetILNS1_3genE3ELNS1_11target_archE908ELNS1_3gpuE7ELNS1_3repE0EEENS1_30default_config_static_selectorELNS0_4arch9wavefront6targetE1EEEvSR_.kd
    .uniform_work_group_size: 1
    .uses_dynamic_stack: false
    .vgpr_count:     0
    .vgpr_spill_count: 0
    .wavefront_size: 64
  - .args:
      - .offset:         0
        .size:           48
        .value_kind:     by_value
    .group_segment_fixed_size: 8
    .kernarg_segment_align: 8
    .kernarg_segment_size: 48
    .language:       OpenCL C
    .language_version:
      - 2
      - 0
    .max_flat_workgroup_size: 256
    .name:           _ZN7rocprim17ROCPRIM_400000_NS6detail17trampoline_kernelINS0_14default_configENS1_32segmented_reduce_config_selectorIN3c108BFloat16EEEZNS1_21segmented_reduce_implIS3_PKS6_PS6_PKiS6_N6hipcub16HIPCUB_304000_NS6detail27convert_result_type_wrapperISA_SB_N2at6native12_GLOBAL__N_19CustomMinEEEEE10hipError_tPvRmT0_T1_jT2_SS_T4_T3_P12ihipStream_tbEUlT_E_NS1_11comp_targetILNS1_3genE2ELNS1_11target_archE906ELNS1_3gpuE6ELNS1_3repE0EEENS1_30default_config_static_selectorELNS0_4arch9wavefront6targetE1EEEvSR_
    .private_segment_fixed_size: 0
    .sgpr_count:     55
    .sgpr_spill_count: 0
    .symbol:         _ZN7rocprim17ROCPRIM_400000_NS6detail17trampoline_kernelINS0_14default_configENS1_32segmented_reduce_config_selectorIN3c108BFloat16EEEZNS1_21segmented_reduce_implIS3_PKS6_PS6_PKiS6_N6hipcub16HIPCUB_304000_NS6detail27convert_result_type_wrapperISA_SB_N2at6native12_GLOBAL__N_19CustomMinEEEEE10hipError_tPvRmT0_T1_jT2_SS_T4_T3_P12ihipStream_tbEUlT_E_NS1_11comp_targetILNS1_3genE2ELNS1_11target_archE906ELNS1_3gpuE6ELNS1_3repE0EEENS1_30default_config_static_selectorELNS0_4arch9wavefront6targetE1EEEvSR_.kd
    .uniform_work_group_size: 1
    .uses_dynamic_stack: false
    .vgpr_count:     24
    .vgpr_spill_count: 0
    .wavefront_size: 64
  - .args:
      - .offset:         0
        .size:           48
        .value_kind:     by_value
    .group_segment_fixed_size: 0
    .kernarg_segment_align: 8
    .kernarg_segment_size: 48
    .language:       OpenCL C
    .language_version:
      - 2
      - 0
    .max_flat_workgroup_size: 256
    .name:           _ZN7rocprim17ROCPRIM_400000_NS6detail17trampoline_kernelINS0_14default_configENS1_32segmented_reduce_config_selectorIN3c108BFloat16EEEZNS1_21segmented_reduce_implIS3_PKS6_PS6_PKiS6_N6hipcub16HIPCUB_304000_NS6detail27convert_result_type_wrapperISA_SB_N2at6native12_GLOBAL__N_19CustomMinEEEEE10hipError_tPvRmT0_T1_jT2_SS_T4_T3_P12ihipStream_tbEUlT_E_NS1_11comp_targetILNS1_3genE9ELNS1_11target_archE1100ELNS1_3gpuE3ELNS1_3repE0EEENS1_30default_config_static_selectorELNS0_4arch9wavefront6targetE1EEEvSR_
    .private_segment_fixed_size: 0
    .sgpr_count:     4
    .sgpr_spill_count: 0
    .symbol:         _ZN7rocprim17ROCPRIM_400000_NS6detail17trampoline_kernelINS0_14default_configENS1_32segmented_reduce_config_selectorIN3c108BFloat16EEEZNS1_21segmented_reduce_implIS3_PKS6_PS6_PKiS6_N6hipcub16HIPCUB_304000_NS6detail27convert_result_type_wrapperISA_SB_N2at6native12_GLOBAL__N_19CustomMinEEEEE10hipError_tPvRmT0_T1_jT2_SS_T4_T3_P12ihipStream_tbEUlT_E_NS1_11comp_targetILNS1_3genE9ELNS1_11target_archE1100ELNS1_3gpuE3ELNS1_3repE0EEENS1_30default_config_static_selectorELNS0_4arch9wavefront6targetE1EEEvSR_.kd
    .uniform_work_group_size: 1
    .uses_dynamic_stack: false
    .vgpr_count:     0
    .vgpr_spill_count: 0
    .wavefront_size: 64
  - .args:
      - .offset:         0
        .size:           48
        .value_kind:     by_value
    .group_segment_fixed_size: 0
    .kernarg_segment_align: 8
    .kernarg_segment_size: 48
    .language:       OpenCL C
    .language_version:
      - 2
      - 0
    .max_flat_workgroup_size: 256
    .name:           _ZN7rocprim17ROCPRIM_400000_NS6detail17trampoline_kernelINS0_14default_configENS1_32segmented_reduce_config_selectorIN3c108BFloat16EEEZNS1_21segmented_reduce_implIS3_PKS6_PS6_PKiS6_N6hipcub16HIPCUB_304000_NS6detail27convert_result_type_wrapperISA_SB_N2at6native12_GLOBAL__N_19CustomMinEEEEE10hipError_tPvRmT0_T1_jT2_SS_T4_T3_P12ihipStream_tbEUlT_E_NS1_11comp_targetILNS1_3genE8ELNS1_11target_archE1030ELNS1_3gpuE2ELNS1_3repE0EEENS1_30default_config_static_selectorELNS0_4arch9wavefront6targetE1EEEvSR_
    .private_segment_fixed_size: 0
    .sgpr_count:     4
    .sgpr_spill_count: 0
    .symbol:         _ZN7rocprim17ROCPRIM_400000_NS6detail17trampoline_kernelINS0_14default_configENS1_32segmented_reduce_config_selectorIN3c108BFloat16EEEZNS1_21segmented_reduce_implIS3_PKS6_PS6_PKiS6_N6hipcub16HIPCUB_304000_NS6detail27convert_result_type_wrapperISA_SB_N2at6native12_GLOBAL__N_19CustomMinEEEEE10hipError_tPvRmT0_T1_jT2_SS_T4_T3_P12ihipStream_tbEUlT_E_NS1_11comp_targetILNS1_3genE8ELNS1_11target_archE1030ELNS1_3gpuE2ELNS1_3repE0EEENS1_30default_config_static_selectorELNS0_4arch9wavefront6targetE1EEEvSR_.kd
    .uniform_work_group_size: 1
    .uses_dynamic_stack: false
    .vgpr_count:     0
    .vgpr_spill_count: 0
    .wavefront_size: 64
  - .args:
      - .offset:         0
        .size:           48
        .value_kind:     by_value
    .group_segment_fixed_size: 0
    .kernarg_segment_align: 8
    .kernarg_segment_size: 48
    .language:       OpenCL C
    .language_version:
      - 2
      - 0
    .max_flat_workgroup_size: 256
    .name:           _ZN7rocprim17ROCPRIM_400000_NS6detail17trampoline_kernelINS0_14default_configENS1_32segmented_reduce_config_selectorIN3c108BFloat16EEEZNS1_21segmented_reduce_implIS3_PKS6_PS6_PKiS6_N6hipcub16HIPCUB_304000_NS6detail27convert_result_type_wrapperISA_SB_N2at6native12_GLOBAL__N_110CustomProdEEEEE10hipError_tPvRmT0_T1_jT2_SS_T4_T3_P12ihipStream_tbEUlT_E_NS1_11comp_targetILNS1_3genE0ELNS1_11target_archE4294967295ELNS1_3gpuE0ELNS1_3repE0EEENS1_30default_config_static_selectorELNS0_4arch9wavefront6targetE1EEEvSR_
    .private_segment_fixed_size: 0
    .sgpr_count:     4
    .sgpr_spill_count: 0
    .symbol:         _ZN7rocprim17ROCPRIM_400000_NS6detail17trampoline_kernelINS0_14default_configENS1_32segmented_reduce_config_selectorIN3c108BFloat16EEEZNS1_21segmented_reduce_implIS3_PKS6_PS6_PKiS6_N6hipcub16HIPCUB_304000_NS6detail27convert_result_type_wrapperISA_SB_N2at6native12_GLOBAL__N_110CustomProdEEEEE10hipError_tPvRmT0_T1_jT2_SS_T4_T3_P12ihipStream_tbEUlT_E_NS1_11comp_targetILNS1_3genE0ELNS1_11target_archE4294967295ELNS1_3gpuE0ELNS1_3repE0EEENS1_30default_config_static_selectorELNS0_4arch9wavefront6targetE1EEEvSR_.kd
    .uniform_work_group_size: 1
    .uses_dynamic_stack: false
    .vgpr_count:     0
    .vgpr_spill_count: 0
    .wavefront_size: 64
  - .args:
      - .offset:         0
        .size:           48
        .value_kind:     by_value
    .group_segment_fixed_size: 0
    .kernarg_segment_align: 8
    .kernarg_segment_size: 48
    .language:       OpenCL C
    .language_version:
      - 2
      - 0
    .max_flat_workgroup_size: 256
    .name:           _ZN7rocprim17ROCPRIM_400000_NS6detail17trampoline_kernelINS0_14default_configENS1_32segmented_reduce_config_selectorIN3c108BFloat16EEEZNS1_21segmented_reduce_implIS3_PKS6_PS6_PKiS6_N6hipcub16HIPCUB_304000_NS6detail27convert_result_type_wrapperISA_SB_N2at6native12_GLOBAL__N_110CustomProdEEEEE10hipError_tPvRmT0_T1_jT2_SS_T4_T3_P12ihipStream_tbEUlT_E_NS1_11comp_targetILNS1_3genE5ELNS1_11target_archE942ELNS1_3gpuE9ELNS1_3repE0EEENS1_30default_config_static_selectorELNS0_4arch9wavefront6targetE1EEEvSR_
    .private_segment_fixed_size: 0
    .sgpr_count:     4
    .sgpr_spill_count: 0
    .symbol:         _ZN7rocprim17ROCPRIM_400000_NS6detail17trampoline_kernelINS0_14default_configENS1_32segmented_reduce_config_selectorIN3c108BFloat16EEEZNS1_21segmented_reduce_implIS3_PKS6_PS6_PKiS6_N6hipcub16HIPCUB_304000_NS6detail27convert_result_type_wrapperISA_SB_N2at6native12_GLOBAL__N_110CustomProdEEEEE10hipError_tPvRmT0_T1_jT2_SS_T4_T3_P12ihipStream_tbEUlT_E_NS1_11comp_targetILNS1_3genE5ELNS1_11target_archE942ELNS1_3gpuE9ELNS1_3repE0EEENS1_30default_config_static_selectorELNS0_4arch9wavefront6targetE1EEEvSR_.kd
    .uniform_work_group_size: 1
    .uses_dynamic_stack: false
    .vgpr_count:     0
    .vgpr_spill_count: 0
    .wavefront_size: 64
  - .args:
      - .offset:         0
        .size:           48
        .value_kind:     by_value
    .group_segment_fixed_size: 0
    .kernarg_segment_align: 8
    .kernarg_segment_size: 48
    .language:       OpenCL C
    .language_version:
      - 2
      - 0
    .max_flat_workgroup_size: 256
    .name:           _ZN7rocprim17ROCPRIM_400000_NS6detail17trampoline_kernelINS0_14default_configENS1_32segmented_reduce_config_selectorIN3c108BFloat16EEEZNS1_21segmented_reduce_implIS3_PKS6_PS6_PKiS6_N6hipcub16HIPCUB_304000_NS6detail27convert_result_type_wrapperISA_SB_N2at6native12_GLOBAL__N_110CustomProdEEEEE10hipError_tPvRmT0_T1_jT2_SS_T4_T3_P12ihipStream_tbEUlT_E_NS1_11comp_targetILNS1_3genE10ELNS1_11target_archE1201ELNS1_3gpuE5ELNS1_3repE0EEENS1_30default_config_static_selectorELNS0_4arch9wavefront6targetE1EEEvSR_
    .private_segment_fixed_size: 0
    .sgpr_count:     4
    .sgpr_spill_count: 0
    .symbol:         _ZN7rocprim17ROCPRIM_400000_NS6detail17trampoline_kernelINS0_14default_configENS1_32segmented_reduce_config_selectorIN3c108BFloat16EEEZNS1_21segmented_reduce_implIS3_PKS6_PS6_PKiS6_N6hipcub16HIPCUB_304000_NS6detail27convert_result_type_wrapperISA_SB_N2at6native12_GLOBAL__N_110CustomProdEEEEE10hipError_tPvRmT0_T1_jT2_SS_T4_T3_P12ihipStream_tbEUlT_E_NS1_11comp_targetILNS1_3genE10ELNS1_11target_archE1201ELNS1_3gpuE5ELNS1_3repE0EEENS1_30default_config_static_selectorELNS0_4arch9wavefront6targetE1EEEvSR_.kd
    .uniform_work_group_size: 1
    .uses_dynamic_stack: false
    .vgpr_count:     0
    .vgpr_spill_count: 0
    .wavefront_size: 64
  - .args:
      - .offset:         0
        .size:           48
        .value_kind:     by_value
    .group_segment_fixed_size: 0
    .kernarg_segment_align: 8
    .kernarg_segment_size: 48
    .language:       OpenCL C
    .language_version:
      - 2
      - 0
    .max_flat_workgroup_size: 256
    .name:           _ZN7rocprim17ROCPRIM_400000_NS6detail17trampoline_kernelINS0_14default_configENS1_32segmented_reduce_config_selectorIN3c108BFloat16EEEZNS1_21segmented_reduce_implIS3_PKS6_PS6_PKiS6_N6hipcub16HIPCUB_304000_NS6detail27convert_result_type_wrapperISA_SB_N2at6native12_GLOBAL__N_110CustomProdEEEEE10hipError_tPvRmT0_T1_jT2_SS_T4_T3_P12ihipStream_tbEUlT_E_NS1_11comp_targetILNS1_3genE4ELNS1_11target_archE910ELNS1_3gpuE8ELNS1_3repE0EEENS1_30default_config_static_selectorELNS0_4arch9wavefront6targetE1EEEvSR_
    .private_segment_fixed_size: 0
    .sgpr_count:     4
    .sgpr_spill_count: 0
    .symbol:         _ZN7rocprim17ROCPRIM_400000_NS6detail17trampoline_kernelINS0_14default_configENS1_32segmented_reduce_config_selectorIN3c108BFloat16EEEZNS1_21segmented_reduce_implIS3_PKS6_PS6_PKiS6_N6hipcub16HIPCUB_304000_NS6detail27convert_result_type_wrapperISA_SB_N2at6native12_GLOBAL__N_110CustomProdEEEEE10hipError_tPvRmT0_T1_jT2_SS_T4_T3_P12ihipStream_tbEUlT_E_NS1_11comp_targetILNS1_3genE4ELNS1_11target_archE910ELNS1_3gpuE8ELNS1_3repE0EEENS1_30default_config_static_selectorELNS0_4arch9wavefront6targetE1EEEvSR_.kd
    .uniform_work_group_size: 1
    .uses_dynamic_stack: false
    .vgpr_count:     0
    .vgpr_spill_count: 0
    .wavefront_size: 64
  - .args:
      - .offset:         0
        .size:           48
        .value_kind:     by_value
    .group_segment_fixed_size: 0
    .kernarg_segment_align: 8
    .kernarg_segment_size: 48
    .language:       OpenCL C
    .language_version:
      - 2
      - 0
    .max_flat_workgroup_size: 256
    .name:           _ZN7rocprim17ROCPRIM_400000_NS6detail17trampoline_kernelINS0_14default_configENS1_32segmented_reduce_config_selectorIN3c108BFloat16EEEZNS1_21segmented_reduce_implIS3_PKS6_PS6_PKiS6_N6hipcub16HIPCUB_304000_NS6detail27convert_result_type_wrapperISA_SB_N2at6native12_GLOBAL__N_110CustomProdEEEEE10hipError_tPvRmT0_T1_jT2_SS_T4_T3_P12ihipStream_tbEUlT_E_NS1_11comp_targetILNS1_3genE3ELNS1_11target_archE908ELNS1_3gpuE7ELNS1_3repE0EEENS1_30default_config_static_selectorELNS0_4arch9wavefront6targetE1EEEvSR_
    .private_segment_fixed_size: 0
    .sgpr_count:     4
    .sgpr_spill_count: 0
    .symbol:         _ZN7rocprim17ROCPRIM_400000_NS6detail17trampoline_kernelINS0_14default_configENS1_32segmented_reduce_config_selectorIN3c108BFloat16EEEZNS1_21segmented_reduce_implIS3_PKS6_PS6_PKiS6_N6hipcub16HIPCUB_304000_NS6detail27convert_result_type_wrapperISA_SB_N2at6native12_GLOBAL__N_110CustomProdEEEEE10hipError_tPvRmT0_T1_jT2_SS_T4_T3_P12ihipStream_tbEUlT_E_NS1_11comp_targetILNS1_3genE3ELNS1_11target_archE908ELNS1_3gpuE7ELNS1_3repE0EEENS1_30default_config_static_selectorELNS0_4arch9wavefront6targetE1EEEvSR_.kd
    .uniform_work_group_size: 1
    .uses_dynamic_stack: false
    .vgpr_count:     0
    .vgpr_spill_count: 0
    .wavefront_size: 64
  - .args:
      - .offset:         0
        .size:           48
        .value_kind:     by_value
    .group_segment_fixed_size: 8
    .kernarg_segment_align: 8
    .kernarg_segment_size: 48
    .language:       OpenCL C
    .language_version:
      - 2
      - 0
    .max_flat_workgroup_size: 256
    .name:           _ZN7rocprim17ROCPRIM_400000_NS6detail17trampoline_kernelINS0_14default_configENS1_32segmented_reduce_config_selectorIN3c108BFloat16EEEZNS1_21segmented_reduce_implIS3_PKS6_PS6_PKiS6_N6hipcub16HIPCUB_304000_NS6detail27convert_result_type_wrapperISA_SB_N2at6native12_GLOBAL__N_110CustomProdEEEEE10hipError_tPvRmT0_T1_jT2_SS_T4_T3_P12ihipStream_tbEUlT_E_NS1_11comp_targetILNS1_3genE2ELNS1_11target_archE906ELNS1_3gpuE6ELNS1_3repE0EEENS1_30default_config_static_selectorELNS0_4arch9wavefront6targetE1EEEvSR_
    .private_segment_fixed_size: 0
    .sgpr_count:     53
    .sgpr_spill_count: 0
    .symbol:         _ZN7rocprim17ROCPRIM_400000_NS6detail17trampoline_kernelINS0_14default_configENS1_32segmented_reduce_config_selectorIN3c108BFloat16EEEZNS1_21segmented_reduce_implIS3_PKS6_PS6_PKiS6_N6hipcub16HIPCUB_304000_NS6detail27convert_result_type_wrapperISA_SB_N2at6native12_GLOBAL__N_110CustomProdEEEEE10hipError_tPvRmT0_T1_jT2_SS_T4_T3_P12ihipStream_tbEUlT_E_NS1_11comp_targetILNS1_3genE2ELNS1_11target_archE906ELNS1_3gpuE6ELNS1_3repE0EEENS1_30default_config_static_selectorELNS0_4arch9wavefront6targetE1EEEvSR_.kd
    .uniform_work_group_size: 1
    .uses_dynamic_stack: false
    .vgpr_count:     26
    .vgpr_spill_count: 0
    .wavefront_size: 64
  - .args:
      - .offset:         0
        .size:           48
        .value_kind:     by_value
    .group_segment_fixed_size: 0
    .kernarg_segment_align: 8
    .kernarg_segment_size: 48
    .language:       OpenCL C
    .language_version:
      - 2
      - 0
    .max_flat_workgroup_size: 256
    .name:           _ZN7rocprim17ROCPRIM_400000_NS6detail17trampoline_kernelINS0_14default_configENS1_32segmented_reduce_config_selectorIN3c108BFloat16EEEZNS1_21segmented_reduce_implIS3_PKS6_PS6_PKiS6_N6hipcub16HIPCUB_304000_NS6detail27convert_result_type_wrapperISA_SB_N2at6native12_GLOBAL__N_110CustomProdEEEEE10hipError_tPvRmT0_T1_jT2_SS_T4_T3_P12ihipStream_tbEUlT_E_NS1_11comp_targetILNS1_3genE9ELNS1_11target_archE1100ELNS1_3gpuE3ELNS1_3repE0EEENS1_30default_config_static_selectorELNS0_4arch9wavefront6targetE1EEEvSR_
    .private_segment_fixed_size: 0
    .sgpr_count:     4
    .sgpr_spill_count: 0
    .symbol:         _ZN7rocprim17ROCPRIM_400000_NS6detail17trampoline_kernelINS0_14default_configENS1_32segmented_reduce_config_selectorIN3c108BFloat16EEEZNS1_21segmented_reduce_implIS3_PKS6_PS6_PKiS6_N6hipcub16HIPCUB_304000_NS6detail27convert_result_type_wrapperISA_SB_N2at6native12_GLOBAL__N_110CustomProdEEEEE10hipError_tPvRmT0_T1_jT2_SS_T4_T3_P12ihipStream_tbEUlT_E_NS1_11comp_targetILNS1_3genE9ELNS1_11target_archE1100ELNS1_3gpuE3ELNS1_3repE0EEENS1_30default_config_static_selectorELNS0_4arch9wavefront6targetE1EEEvSR_.kd
    .uniform_work_group_size: 1
    .uses_dynamic_stack: false
    .vgpr_count:     0
    .vgpr_spill_count: 0
    .wavefront_size: 64
  - .args:
      - .offset:         0
        .size:           48
        .value_kind:     by_value
    .group_segment_fixed_size: 0
    .kernarg_segment_align: 8
    .kernarg_segment_size: 48
    .language:       OpenCL C
    .language_version:
      - 2
      - 0
    .max_flat_workgroup_size: 256
    .name:           _ZN7rocprim17ROCPRIM_400000_NS6detail17trampoline_kernelINS0_14default_configENS1_32segmented_reduce_config_selectorIN3c108BFloat16EEEZNS1_21segmented_reduce_implIS3_PKS6_PS6_PKiS6_N6hipcub16HIPCUB_304000_NS6detail27convert_result_type_wrapperISA_SB_N2at6native12_GLOBAL__N_110CustomProdEEEEE10hipError_tPvRmT0_T1_jT2_SS_T4_T3_P12ihipStream_tbEUlT_E_NS1_11comp_targetILNS1_3genE8ELNS1_11target_archE1030ELNS1_3gpuE2ELNS1_3repE0EEENS1_30default_config_static_selectorELNS0_4arch9wavefront6targetE1EEEvSR_
    .private_segment_fixed_size: 0
    .sgpr_count:     4
    .sgpr_spill_count: 0
    .symbol:         _ZN7rocprim17ROCPRIM_400000_NS6detail17trampoline_kernelINS0_14default_configENS1_32segmented_reduce_config_selectorIN3c108BFloat16EEEZNS1_21segmented_reduce_implIS3_PKS6_PS6_PKiS6_N6hipcub16HIPCUB_304000_NS6detail27convert_result_type_wrapperISA_SB_N2at6native12_GLOBAL__N_110CustomProdEEEEE10hipError_tPvRmT0_T1_jT2_SS_T4_T3_P12ihipStream_tbEUlT_E_NS1_11comp_targetILNS1_3genE8ELNS1_11target_archE1030ELNS1_3gpuE2ELNS1_3repE0EEENS1_30default_config_static_selectorELNS0_4arch9wavefront6targetE1EEEvSR_.kd
    .uniform_work_group_size: 1
    .uses_dynamic_stack: false
    .vgpr_count:     0
    .vgpr_spill_count: 0
    .wavefront_size: 64
  - .args:
      - .offset:         0
        .size:           4
        .value_kind:     by_value
      - .address_space:  global
        .offset:         8
        .size:           8
        .value_kind:     global_buffer
      - .address_space:  global
        .offset:         16
        .size:           8
        .value_kind:     global_buffer
      - .address_space:  global
        .offset:         24
        .size:           8
        .value_kind:     global_buffer
      - .address_space:  global
        .offset:         32
        .size:           8
        .value_kind:     global_buffer
      - .offset:         40
        .size:           8
        .value_kind:     by_value
      - .offset:         48
        .size:           8
        .value_kind:     by_value
      - .offset:         56
        .size:           1
        .value_kind:     by_value
      - .offset:         64
        .size:           8
        .value_kind:     by_value
      - .offset:         72
        .size:           8
        .value_kind:     by_value
      - .offset:         80
        .size:           8
        .value_kind:     by_value
      - .offset:         88
        .size:           8
        .value_kind:     by_value
      - .offset:         96
        .size:           8
        .value_kind:     by_value
      - .offset:         104
        .size:           8
        .value_kind:     by_value
      - .offset:         112
        .size:           8
        .value_kind:     by_value
      - .offset:         120
        .size:           8
        .value_kind:     by_value
      - .offset:         128
        .size:           4
        .value_kind:     hidden_block_count_x
      - .offset:         132
        .size:           4
        .value_kind:     hidden_block_count_y
      - .offset:         136
        .size:           4
        .value_kind:     hidden_block_count_z
      - .offset:         140
        .size:           2
        .value_kind:     hidden_group_size_x
      - .offset:         142
        .size:           2
        .value_kind:     hidden_group_size_y
      - .offset:         144
        .size:           2
        .value_kind:     hidden_group_size_z
      - .offset:         146
        .size:           2
        .value_kind:     hidden_remainder_x
      - .offset:         148
        .size:           2
        .value_kind:     hidden_remainder_y
      - .offset:         150
        .size:           2
        .value_kind:     hidden_remainder_z
      - .offset:         168
        .size:           8
        .value_kind:     hidden_global_offset_x
      - .offset:         176
        .size:           8
        .value_kind:     hidden_global_offset_y
      - .offset:         184
        .size:           8
        .value_kind:     hidden_global_offset_z
      - .offset:         192
        .size:           2
        .value_kind:     hidden_grid_dims
    .group_segment_fixed_size: 0
    .kernarg_segment_align: 8
    .kernarg_segment_size: 384
    .language:       OpenCL C
    .language_version:
      - 2
      - 0
    .max_flat_workgroup_size: 1024
    .name:           _ZN2at6native12_GLOBAL__N_129segment_reduce_forward_kernelIdlEEvNS0_13ReductionTypeEPT_PKS4_PKT0_SA_llbS4_lllllll
    .private_segment_fixed_size: 0
    .sgpr_count:     48
    .sgpr_spill_count: 0
    .symbol:         _ZN2at6native12_GLOBAL__N_129segment_reduce_forward_kernelIdlEEvNS0_13ReductionTypeEPT_PKS4_PKT0_SA_llbS4_lllllll.kd
    .uniform_work_group_size: 1
    .uses_dynamic_stack: false
    .vgpr_count:     24
    .vgpr_spill_count: 0
    .wavefront_size: 64
  - .args:
      - .offset:         0
        .size:           56
        .value_kind:     by_value
    .group_segment_fixed_size: 0
    .kernarg_segment_align: 8
    .kernarg_segment_size: 56
    .language:       OpenCL C
    .language_version:
      - 2
      - 0
    .max_flat_workgroup_size: 256
    .name:           _ZN7rocprim17ROCPRIM_400000_NS6detail17trampoline_kernelINS0_14default_configENS1_32segmented_reduce_config_selectorIdEEZNS1_21segmented_reduce_implIS3_PKdPdPKldN6hipcub16HIPCUB_304000_NS6detail27convert_result_type_wrapperIS8_S9_N2at6native12_GLOBAL__N_19CustomMaxEEEEE10hipError_tPvRmT0_T1_jT2_SQ_T4_T3_P12ihipStream_tbEUlT_E_NS1_11comp_targetILNS1_3genE0ELNS1_11target_archE4294967295ELNS1_3gpuE0ELNS1_3repE0EEENS1_30default_config_static_selectorELNS0_4arch9wavefront6targetE1EEEvSP_
    .private_segment_fixed_size: 0
    .sgpr_count:     4
    .sgpr_spill_count: 0
    .symbol:         _ZN7rocprim17ROCPRIM_400000_NS6detail17trampoline_kernelINS0_14default_configENS1_32segmented_reduce_config_selectorIdEEZNS1_21segmented_reduce_implIS3_PKdPdPKldN6hipcub16HIPCUB_304000_NS6detail27convert_result_type_wrapperIS8_S9_N2at6native12_GLOBAL__N_19CustomMaxEEEEE10hipError_tPvRmT0_T1_jT2_SQ_T4_T3_P12ihipStream_tbEUlT_E_NS1_11comp_targetILNS1_3genE0ELNS1_11target_archE4294967295ELNS1_3gpuE0ELNS1_3repE0EEENS1_30default_config_static_selectorELNS0_4arch9wavefront6targetE1EEEvSP_.kd
    .uniform_work_group_size: 1
    .uses_dynamic_stack: false
    .vgpr_count:     0
    .vgpr_spill_count: 0
    .wavefront_size: 64
  - .args:
      - .offset:         0
        .size:           56
        .value_kind:     by_value
    .group_segment_fixed_size: 0
    .kernarg_segment_align: 8
    .kernarg_segment_size: 56
    .language:       OpenCL C
    .language_version:
      - 2
      - 0
    .max_flat_workgroup_size: 256
    .name:           _ZN7rocprim17ROCPRIM_400000_NS6detail17trampoline_kernelINS0_14default_configENS1_32segmented_reduce_config_selectorIdEEZNS1_21segmented_reduce_implIS3_PKdPdPKldN6hipcub16HIPCUB_304000_NS6detail27convert_result_type_wrapperIS8_S9_N2at6native12_GLOBAL__N_19CustomMaxEEEEE10hipError_tPvRmT0_T1_jT2_SQ_T4_T3_P12ihipStream_tbEUlT_E_NS1_11comp_targetILNS1_3genE5ELNS1_11target_archE942ELNS1_3gpuE9ELNS1_3repE0EEENS1_30default_config_static_selectorELNS0_4arch9wavefront6targetE1EEEvSP_
    .private_segment_fixed_size: 0
    .sgpr_count:     4
    .sgpr_spill_count: 0
    .symbol:         _ZN7rocprim17ROCPRIM_400000_NS6detail17trampoline_kernelINS0_14default_configENS1_32segmented_reduce_config_selectorIdEEZNS1_21segmented_reduce_implIS3_PKdPdPKldN6hipcub16HIPCUB_304000_NS6detail27convert_result_type_wrapperIS8_S9_N2at6native12_GLOBAL__N_19CustomMaxEEEEE10hipError_tPvRmT0_T1_jT2_SQ_T4_T3_P12ihipStream_tbEUlT_E_NS1_11comp_targetILNS1_3genE5ELNS1_11target_archE942ELNS1_3gpuE9ELNS1_3repE0EEENS1_30default_config_static_selectorELNS0_4arch9wavefront6targetE1EEEvSP_.kd
    .uniform_work_group_size: 1
    .uses_dynamic_stack: false
    .vgpr_count:     0
    .vgpr_spill_count: 0
    .wavefront_size: 64
  - .args:
      - .offset:         0
        .size:           56
        .value_kind:     by_value
    .group_segment_fixed_size: 0
    .kernarg_segment_align: 8
    .kernarg_segment_size: 56
    .language:       OpenCL C
    .language_version:
      - 2
      - 0
    .max_flat_workgroup_size: 256
    .name:           _ZN7rocprim17ROCPRIM_400000_NS6detail17trampoline_kernelINS0_14default_configENS1_32segmented_reduce_config_selectorIdEEZNS1_21segmented_reduce_implIS3_PKdPdPKldN6hipcub16HIPCUB_304000_NS6detail27convert_result_type_wrapperIS8_S9_N2at6native12_GLOBAL__N_19CustomMaxEEEEE10hipError_tPvRmT0_T1_jT2_SQ_T4_T3_P12ihipStream_tbEUlT_E_NS1_11comp_targetILNS1_3genE10ELNS1_11target_archE1201ELNS1_3gpuE5ELNS1_3repE0EEENS1_30default_config_static_selectorELNS0_4arch9wavefront6targetE1EEEvSP_
    .private_segment_fixed_size: 0
    .sgpr_count:     4
    .sgpr_spill_count: 0
    .symbol:         _ZN7rocprim17ROCPRIM_400000_NS6detail17trampoline_kernelINS0_14default_configENS1_32segmented_reduce_config_selectorIdEEZNS1_21segmented_reduce_implIS3_PKdPdPKldN6hipcub16HIPCUB_304000_NS6detail27convert_result_type_wrapperIS8_S9_N2at6native12_GLOBAL__N_19CustomMaxEEEEE10hipError_tPvRmT0_T1_jT2_SQ_T4_T3_P12ihipStream_tbEUlT_E_NS1_11comp_targetILNS1_3genE10ELNS1_11target_archE1201ELNS1_3gpuE5ELNS1_3repE0EEENS1_30default_config_static_selectorELNS0_4arch9wavefront6targetE1EEEvSP_.kd
    .uniform_work_group_size: 1
    .uses_dynamic_stack: false
    .vgpr_count:     0
    .vgpr_spill_count: 0
    .wavefront_size: 64
  - .args:
      - .offset:         0
        .size:           56
        .value_kind:     by_value
    .group_segment_fixed_size: 0
    .kernarg_segment_align: 8
    .kernarg_segment_size: 56
    .language:       OpenCL C
    .language_version:
      - 2
      - 0
    .max_flat_workgroup_size: 256
    .name:           _ZN7rocprim17ROCPRIM_400000_NS6detail17trampoline_kernelINS0_14default_configENS1_32segmented_reduce_config_selectorIdEEZNS1_21segmented_reduce_implIS3_PKdPdPKldN6hipcub16HIPCUB_304000_NS6detail27convert_result_type_wrapperIS8_S9_N2at6native12_GLOBAL__N_19CustomMaxEEEEE10hipError_tPvRmT0_T1_jT2_SQ_T4_T3_P12ihipStream_tbEUlT_E_NS1_11comp_targetILNS1_3genE4ELNS1_11target_archE910ELNS1_3gpuE8ELNS1_3repE0EEENS1_30default_config_static_selectorELNS0_4arch9wavefront6targetE1EEEvSP_
    .private_segment_fixed_size: 0
    .sgpr_count:     4
    .sgpr_spill_count: 0
    .symbol:         _ZN7rocprim17ROCPRIM_400000_NS6detail17trampoline_kernelINS0_14default_configENS1_32segmented_reduce_config_selectorIdEEZNS1_21segmented_reduce_implIS3_PKdPdPKldN6hipcub16HIPCUB_304000_NS6detail27convert_result_type_wrapperIS8_S9_N2at6native12_GLOBAL__N_19CustomMaxEEEEE10hipError_tPvRmT0_T1_jT2_SQ_T4_T3_P12ihipStream_tbEUlT_E_NS1_11comp_targetILNS1_3genE4ELNS1_11target_archE910ELNS1_3gpuE8ELNS1_3repE0EEENS1_30default_config_static_selectorELNS0_4arch9wavefront6targetE1EEEvSP_.kd
    .uniform_work_group_size: 1
    .uses_dynamic_stack: false
    .vgpr_count:     0
    .vgpr_spill_count: 0
    .wavefront_size: 64
  - .args:
      - .offset:         0
        .size:           56
        .value_kind:     by_value
    .group_segment_fixed_size: 0
    .kernarg_segment_align: 8
    .kernarg_segment_size: 56
    .language:       OpenCL C
    .language_version:
      - 2
      - 0
    .max_flat_workgroup_size: 256
    .name:           _ZN7rocprim17ROCPRIM_400000_NS6detail17trampoline_kernelINS0_14default_configENS1_32segmented_reduce_config_selectorIdEEZNS1_21segmented_reduce_implIS3_PKdPdPKldN6hipcub16HIPCUB_304000_NS6detail27convert_result_type_wrapperIS8_S9_N2at6native12_GLOBAL__N_19CustomMaxEEEEE10hipError_tPvRmT0_T1_jT2_SQ_T4_T3_P12ihipStream_tbEUlT_E_NS1_11comp_targetILNS1_3genE3ELNS1_11target_archE908ELNS1_3gpuE7ELNS1_3repE0EEENS1_30default_config_static_selectorELNS0_4arch9wavefront6targetE1EEEvSP_
    .private_segment_fixed_size: 0
    .sgpr_count:     4
    .sgpr_spill_count: 0
    .symbol:         _ZN7rocprim17ROCPRIM_400000_NS6detail17trampoline_kernelINS0_14default_configENS1_32segmented_reduce_config_selectorIdEEZNS1_21segmented_reduce_implIS3_PKdPdPKldN6hipcub16HIPCUB_304000_NS6detail27convert_result_type_wrapperIS8_S9_N2at6native12_GLOBAL__N_19CustomMaxEEEEE10hipError_tPvRmT0_T1_jT2_SQ_T4_T3_P12ihipStream_tbEUlT_E_NS1_11comp_targetILNS1_3genE3ELNS1_11target_archE908ELNS1_3gpuE7ELNS1_3repE0EEENS1_30default_config_static_selectorELNS0_4arch9wavefront6targetE1EEEvSP_.kd
    .uniform_work_group_size: 1
    .uses_dynamic_stack: false
    .vgpr_count:     0
    .vgpr_spill_count: 0
    .wavefront_size: 64
  - .args:
      - .offset:         0
        .size:           56
        .value_kind:     by_value
    .group_segment_fixed_size: 32
    .kernarg_segment_align: 8
    .kernarg_segment_size: 56
    .language:       OpenCL C
    .language_version:
      - 2
      - 0
    .max_flat_workgroup_size: 256
    .name:           _ZN7rocprim17ROCPRIM_400000_NS6detail17trampoline_kernelINS0_14default_configENS1_32segmented_reduce_config_selectorIdEEZNS1_21segmented_reduce_implIS3_PKdPdPKldN6hipcub16HIPCUB_304000_NS6detail27convert_result_type_wrapperIS8_S9_N2at6native12_GLOBAL__N_19CustomMaxEEEEE10hipError_tPvRmT0_T1_jT2_SQ_T4_T3_P12ihipStream_tbEUlT_E_NS1_11comp_targetILNS1_3genE2ELNS1_11target_archE906ELNS1_3gpuE6ELNS1_3repE0EEENS1_30default_config_static_selectorELNS0_4arch9wavefront6targetE1EEEvSP_
    .private_segment_fixed_size: 0
    .sgpr_count:     28
    .sgpr_spill_count: 0
    .symbol:         _ZN7rocprim17ROCPRIM_400000_NS6detail17trampoline_kernelINS0_14default_configENS1_32segmented_reduce_config_selectorIdEEZNS1_21segmented_reduce_implIS3_PKdPdPKldN6hipcub16HIPCUB_304000_NS6detail27convert_result_type_wrapperIS8_S9_N2at6native12_GLOBAL__N_19CustomMaxEEEEE10hipError_tPvRmT0_T1_jT2_SQ_T4_T3_P12ihipStream_tbEUlT_E_NS1_11comp_targetILNS1_3genE2ELNS1_11target_archE906ELNS1_3gpuE6ELNS1_3repE0EEENS1_30default_config_static_selectorELNS0_4arch9wavefront6targetE1EEEvSP_.kd
    .uniform_work_group_size: 1
    .uses_dynamic_stack: false
    .vgpr_count:     26
    .vgpr_spill_count: 0
    .wavefront_size: 64
  - .args:
      - .offset:         0
        .size:           56
        .value_kind:     by_value
    .group_segment_fixed_size: 0
    .kernarg_segment_align: 8
    .kernarg_segment_size: 56
    .language:       OpenCL C
    .language_version:
      - 2
      - 0
    .max_flat_workgroup_size: 256
    .name:           _ZN7rocprim17ROCPRIM_400000_NS6detail17trampoline_kernelINS0_14default_configENS1_32segmented_reduce_config_selectorIdEEZNS1_21segmented_reduce_implIS3_PKdPdPKldN6hipcub16HIPCUB_304000_NS6detail27convert_result_type_wrapperIS8_S9_N2at6native12_GLOBAL__N_19CustomMaxEEEEE10hipError_tPvRmT0_T1_jT2_SQ_T4_T3_P12ihipStream_tbEUlT_E_NS1_11comp_targetILNS1_3genE9ELNS1_11target_archE1100ELNS1_3gpuE3ELNS1_3repE0EEENS1_30default_config_static_selectorELNS0_4arch9wavefront6targetE1EEEvSP_
    .private_segment_fixed_size: 0
    .sgpr_count:     4
    .sgpr_spill_count: 0
    .symbol:         _ZN7rocprim17ROCPRIM_400000_NS6detail17trampoline_kernelINS0_14default_configENS1_32segmented_reduce_config_selectorIdEEZNS1_21segmented_reduce_implIS3_PKdPdPKldN6hipcub16HIPCUB_304000_NS6detail27convert_result_type_wrapperIS8_S9_N2at6native12_GLOBAL__N_19CustomMaxEEEEE10hipError_tPvRmT0_T1_jT2_SQ_T4_T3_P12ihipStream_tbEUlT_E_NS1_11comp_targetILNS1_3genE9ELNS1_11target_archE1100ELNS1_3gpuE3ELNS1_3repE0EEENS1_30default_config_static_selectorELNS0_4arch9wavefront6targetE1EEEvSP_.kd
    .uniform_work_group_size: 1
    .uses_dynamic_stack: false
    .vgpr_count:     0
    .vgpr_spill_count: 0
    .wavefront_size: 64
  - .args:
      - .offset:         0
        .size:           56
        .value_kind:     by_value
    .group_segment_fixed_size: 0
    .kernarg_segment_align: 8
    .kernarg_segment_size: 56
    .language:       OpenCL C
    .language_version:
      - 2
      - 0
    .max_flat_workgroup_size: 256
    .name:           _ZN7rocprim17ROCPRIM_400000_NS6detail17trampoline_kernelINS0_14default_configENS1_32segmented_reduce_config_selectorIdEEZNS1_21segmented_reduce_implIS3_PKdPdPKldN6hipcub16HIPCUB_304000_NS6detail27convert_result_type_wrapperIS8_S9_N2at6native12_GLOBAL__N_19CustomMaxEEEEE10hipError_tPvRmT0_T1_jT2_SQ_T4_T3_P12ihipStream_tbEUlT_E_NS1_11comp_targetILNS1_3genE8ELNS1_11target_archE1030ELNS1_3gpuE2ELNS1_3repE0EEENS1_30default_config_static_selectorELNS0_4arch9wavefront6targetE1EEEvSP_
    .private_segment_fixed_size: 0
    .sgpr_count:     4
    .sgpr_spill_count: 0
    .symbol:         _ZN7rocprim17ROCPRIM_400000_NS6detail17trampoline_kernelINS0_14default_configENS1_32segmented_reduce_config_selectorIdEEZNS1_21segmented_reduce_implIS3_PKdPdPKldN6hipcub16HIPCUB_304000_NS6detail27convert_result_type_wrapperIS8_S9_N2at6native12_GLOBAL__N_19CustomMaxEEEEE10hipError_tPvRmT0_T1_jT2_SQ_T4_T3_P12ihipStream_tbEUlT_E_NS1_11comp_targetILNS1_3genE8ELNS1_11target_archE1030ELNS1_3gpuE2ELNS1_3repE0EEENS1_30default_config_static_selectorELNS0_4arch9wavefront6targetE1EEEvSP_.kd
    .uniform_work_group_size: 1
    .uses_dynamic_stack: false
    .vgpr_count:     0
    .vgpr_spill_count: 0
    .wavefront_size: 64
  - .args:
      - .offset:         0
        .size:           56
        .value_kind:     by_value
    .group_segment_fixed_size: 0
    .kernarg_segment_align: 8
    .kernarg_segment_size: 56
    .language:       OpenCL C
    .language_version:
      - 2
      - 0
    .max_flat_workgroup_size: 256
    .name:           _ZN7rocprim17ROCPRIM_400000_NS6detail17trampoline_kernelINS0_14default_configENS1_32segmented_reduce_config_selectorIdEEZNS1_21segmented_reduce_implIS3_PKdPdPKldN6hipcub16HIPCUB_304000_NS6detail27convert_result_type_wrapperIS8_S9_N2at6native12_GLOBAL__N_19CustomSumEEEEE10hipError_tPvRmT0_T1_jT2_SQ_T4_T3_P12ihipStream_tbEUlT_E_NS1_11comp_targetILNS1_3genE0ELNS1_11target_archE4294967295ELNS1_3gpuE0ELNS1_3repE0EEENS1_30default_config_static_selectorELNS0_4arch9wavefront6targetE1EEEvSP_
    .private_segment_fixed_size: 0
    .sgpr_count:     4
    .sgpr_spill_count: 0
    .symbol:         _ZN7rocprim17ROCPRIM_400000_NS6detail17trampoline_kernelINS0_14default_configENS1_32segmented_reduce_config_selectorIdEEZNS1_21segmented_reduce_implIS3_PKdPdPKldN6hipcub16HIPCUB_304000_NS6detail27convert_result_type_wrapperIS8_S9_N2at6native12_GLOBAL__N_19CustomSumEEEEE10hipError_tPvRmT0_T1_jT2_SQ_T4_T3_P12ihipStream_tbEUlT_E_NS1_11comp_targetILNS1_3genE0ELNS1_11target_archE4294967295ELNS1_3gpuE0ELNS1_3repE0EEENS1_30default_config_static_selectorELNS0_4arch9wavefront6targetE1EEEvSP_.kd
    .uniform_work_group_size: 1
    .uses_dynamic_stack: false
    .vgpr_count:     0
    .vgpr_spill_count: 0
    .wavefront_size: 64
  - .args:
      - .offset:         0
        .size:           56
        .value_kind:     by_value
    .group_segment_fixed_size: 0
    .kernarg_segment_align: 8
    .kernarg_segment_size: 56
    .language:       OpenCL C
    .language_version:
      - 2
      - 0
    .max_flat_workgroup_size: 256
    .name:           _ZN7rocprim17ROCPRIM_400000_NS6detail17trampoline_kernelINS0_14default_configENS1_32segmented_reduce_config_selectorIdEEZNS1_21segmented_reduce_implIS3_PKdPdPKldN6hipcub16HIPCUB_304000_NS6detail27convert_result_type_wrapperIS8_S9_N2at6native12_GLOBAL__N_19CustomSumEEEEE10hipError_tPvRmT0_T1_jT2_SQ_T4_T3_P12ihipStream_tbEUlT_E_NS1_11comp_targetILNS1_3genE5ELNS1_11target_archE942ELNS1_3gpuE9ELNS1_3repE0EEENS1_30default_config_static_selectorELNS0_4arch9wavefront6targetE1EEEvSP_
    .private_segment_fixed_size: 0
    .sgpr_count:     4
    .sgpr_spill_count: 0
    .symbol:         _ZN7rocprim17ROCPRIM_400000_NS6detail17trampoline_kernelINS0_14default_configENS1_32segmented_reduce_config_selectorIdEEZNS1_21segmented_reduce_implIS3_PKdPdPKldN6hipcub16HIPCUB_304000_NS6detail27convert_result_type_wrapperIS8_S9_N2at6native12_GLOBAL__N_19CustomSumEEEEE10hipError_tPvRmT0_T1_jT2_SQ_T4_T3_P12ihipStream_tbEUlT_E_NS1_11comp_targetILNS1_3genE5ELNS1_11target_archE942ELNS1_3gpuE9ELNS1_3repE0EEENS1_30default_config_static_selectorELNS0_4arch9wavefront6targetE1EEEvSP_.kd
    .uniform_work_group_size: 1
    .uses_dynamic_stack: false
    .vgpr_count:     0
    .vgpr_spill_count: 0
    .wavefront_size: 64
  - .args:
      - .offset:         0
        .size:           56
        .value_kind:     by_value
    .group_segment_fixed_size: 0
    .kernarg_segment_align: 8
    .kernarg_segment_size: 56
    .language:       OpenCL C
    .language_version:
      - 2
      - 0
    .max_flat_workgroup_size: 256
    .name:           _ZN7rocprim17ROCPRIM_400000_NS6detail17trampoline_kernelINS0_14default_configENS1_32segmented_reduce_config_selectorIdEEZNS1_21segmented_reduce_implIS3_PKdPdPKldN6hipcub16HIPCUB_304000_NS6detail27convert_result_type_wrapperIS8_S9_N2at6native12_GLOBAL__N_19CustomSumEEEEE10hipError_tPvRmT0_T1_jT2_SQ_T4_T3_P12ihipStream_tbEUlT_E_NS1_11comp_targetILNS1_3genE10ELNS1_11target_archE1201ELNS1_3gpuE5ELNS1_3repE0EEENS1_30default_config_static_selectorELNS0_4arch9wavefront6targetE1EEEvSP_
    .private_segment_fixed_size: 0
    .sgpr_count:     4
    .sgpr_spill_count: 0
    .symbol:         _ZN7rocprim17ROCPRIM_400000_NS6detail17trampoline_kernelINS0_14default_configENS1_32segmented_reduce_config_selectorIdEEZNS1_21segmented_reduce_implIS3_PKdPdPKldN6hipcub16HIPCUB_304000_NS6detail27convert_result_type_wrapperIS8_S9_N2at6native12_GLOBAL__N_19CustomSumEEEEE10hipError_tPvRmT0_T1_jT2_SQ_T4_T3_P12ihipStream_tbEUlT_E_NS1_11comp_targetILNS1_3genE10ELNS1_11target_archE1201ELNS1_3gpuE5ELNS1_3repE0EEENS1_30default_config_static_selectorELNS0_4arch9wavefront6targetE1EEEvSP_.kd
    .uniform_work_group_size: 1
    .uses_dynamic_stack: false
    .vgpr_count:     0
    .vgpr_spill_count: 0
    .wavefront_size: 64
  - .args:
      - .offset:         0
        .size:           56
        .value_kind:     by_value
    .group_segment_fixed_size: 0
    .kernarg_segment_align: 8
    .kernarg_segment_size: 56
    .language:       OpenCL C
    .language_version:
      - 2
      - 0
    .max_flat_workgroup_size: 256
    .name:           _ZN7rocprim17ROCPRIM_400000_NS6detail17trampoline_kernelINS0_14default_configENS1_32segmented_reduce_config_selectorIdEEZNS1_21segmented_reduce_implIS3_PKdPdPKldN6hipcub16HIPCUB_304000_NS6detail27convert_result_type_wrapperIS8_S9_N2at6native12_GLOBAL__N_19CustomSumEEEEE10hipError_tPvRmT0_T1_jT2_SQ_T4_T3_P12ihipStream_tbEUlT_E_NS1_11comp_targetILNS1_3genE4ELNS1_11target_archE910ELNS1_3gpuE8ELNS1_3repE0EEENS1_30default_config_static_selectorELNS0_4arch9wavefront6targetE1EEEvSP_
    .private_segment_fixed_size: 0
    .sgpr_count:     4
    .sgpr_spill_count: 0
    .symbol:         _ZN7rocprim17ROCPRIM_400000_NS6detail17trampoline_kernelINS0_14default_configENS1_32segmented_reduce_config_selectorIdEEZNS1_21segmented_reduce_implIS3_PKdPdPKldN6hipcub16HIPCUB_304000_NS6detail27convert_result_type_wrapperIS8_S9_N2at6native12_GLOBAL__N_19CustomSumEEEEE10hipError_tPvRmT0_T1_jT2_SQ_T4_T3_P12ihipStream_tbEUlT_E_NS1_11comp_targetILNS1_3genE4ELNS1_11target_archE910ELNS1_3gpuE8ELNS1_3repE0EEENS1_30default_config_static_selectorELNS0_4arch9wavefront6targetE1EEEvSP_.kd
    .uniform_work_group_size: 1
    .uses_dynamic_stack: false
    .vgpr_count:     0
    .vgpr_spill_count: 0
    .wavefront_size: 64
  - .args:
      - .offset:         0
        .size:           56
        .value_kind:     by_value
    .group_segment_fixed_size: 0
    .kernarg_segment_align: 8
    .kernarg_segment_size: 56
    .language:       OpenCL C
    .language_version:
      - 2
      - 0
    .max_flat_workgroup_size: 256
    .name:           _ZN7rocprim17ROCPRIM_400000_NS6detail17trampoline_kernelINS0_14default_configENS1_32segmented_reduce_config_selectorIdEEZNS1_21segmented_reduce_implIS3_PKdPdPKldN6hipcub16HIPCUB_304000_NS6detail27convert_result_type_wrapperIS8_S9_N2at6native12_GLOBAL__N_19CustomSumEEEEE10hipError_tPvRmT0_T1_jT2_SQ_T4_T3_P12ihipStream_tbEUlT_E_NS1_11comp_targetILNS1_3genE3ELNS1_11target_archE908ELNS1_3gpuE7ELNS1_3repE0EEENS1_30default_config_static_selectorELNS0_4arch9wavefront6targetE1EEEvSP_
    .private_segment_fixed_size: 0
    .sgpr_count:     4
    .sgpr_spill_count: 0
    .symbol:         _ZN7rocprim17ROCPRIM_400000_NS6detail17trampoline_kernelINS0_14default_configENS1_32segmented_reduce_config_selectorIdEEZNS1_21segmented_reduce_implIS3_PKdPdPKldN6hipcub16HIPCUB_304000_NS6detail27convert_result_type_wrapperIS8_S9_N2at6native12_GLOBAL__N_19CustomSumEEEEE10hipError_tPvRmT0_T1_jT2_SQ_T4_T3_P12ihipStream_tbEUlT_E_NS1_11comp_targetILNS1_3genE3ELNS1_11target_archE908ELNS1_3gpuE7ELNS1_3repE0EEENS1_30default_config_static_selectorELNS0_4arch9wavefront6targetE1EEEvSP_.kd
    .uniform_work_group_size: 1
    .uses_dynamic_stack: false
    .vgpr_count:     0
    .vgpr_spill_count: 0
    .wavefront_size: 64
  - .args:
      - .offset:         0
        .size:           56
        .value_kind:     by_value
    .group_segment_fixed_size: 32
    .kernarg_segment_align: 8
    .kernarg_segment_size: 56
    .language:       OpenCL C
    .language_version:
      - 2
      - 0
    .max_flat_workgroup_size: 256
    .name:           _ZN7rocprim17ROCPRIM_400000_NS6detail17trampoline_kernelINS0_14default_configENS1_32segmented_reduce_config_selectorIdEEZNS1_21segmented_reduce_implIS3_PKdPdPKldN6hipcub16HIPCUB_304000_NS6detail27convert_result_type_wrapperIS8_S9_N2at6native12_GLOBAL__N_19CustomSumEEEEE10hipError_tPvRmT0_T1_jT2_SQ_T4_T3_P12ihipStream_tbEUlT_E_NS1_11comp_targetILNS1_3genE2ELNS1_11target_archE906ELNS1_3gpuE6ELNS1_3repE0EEENS1_30default_config_static_selectorELNS0_4arch9wavefront6targetE1EEEvSP_
    .private_segment_fixed_size: 0
    .sgpr_count:     40
    .sgpr_spill_count: 0
    .symbol:         _ZN7rocprim17ROCPRIM_400000_NS6detail17trampoline_kernelINS0_14default_configENS1_32segmented_reduce_config_selectorIdEEZNS1_21segmented_reduce_implIS3_PKdPdPKldN6hipcub16HIPCUB_304000_NS6detail27convert_result_type_wrapperIS8_S9_N2at6native12_GLOBAL__N_19CustomSumEEEEE10hipError_tPvRmT0_T1_jT2_SQ_T4_T3_P12ihipStream_tbEUlT_E_NS1_11comp_targetILNS1_3genE2ELNS1_11target_archE906ELNS1_3gpuE6ELNS1_3repE0EEENS1_30default_config_static_selectorELNS0_4arch9wavefront6targetE1EEEvSP_.kd
    .uniform_work_group_size: 1
    .uses_dynamic_stack: false
    .vgpr_count:     24
    .vgpr_spill_count: 0
    .wavefront_size: 64
  - .args:
      - .offset:         0
        .size:           56
        .value_kind:     by_value
    .group_segment_fixed_size: 0
    .kernarg_segment_align: 8
    .kernarg_segment_size: 56
    .language:       OpenCL C
    .language_version:
      - 2
      - 0
    .max_flat_workgroup_size: 256
    .name:           _ZN7rocprim17ROCPRIM_400000_NS6detail17trampoline_kernelINS0_14default_configENS1_32segmented_reduce_config_selectorIdEEZNS1_21segmented_reduce_implIS3_PKdPdPKldN6hipcub16HIPCUB_304000_NS6detail27convert_result_type_wrapperIS8_S9_N2at6native12_GLOBAL__N_19CustomSumEEEEE10hipError_tPvRmT0_T1_jT2_SQ_T4_T3_P12ihipStream_tbEUlT_E_NS1_11comp_targetILNS1_3genE9ELNS1_11target_archE1100ELNS1_3gpuE3ELNS1_3repE0EEENS1_30default_config_static_selectorELNS0_4arch9wavefront6targetE1EEEvSP_
    .private_segment_fixed_size: 0
    .sgpr_count:     4
    .sgpr_spill_count: 0
    .symbol:         _ZN7rocprim17ROCPRIM_400000_NS6detail17trampoline_kernelINS0_14default_configENS1_32segmented_reduce_config_selectorIdEEZNS1_21segmented_reduce_implIS3_PKdPdPKldN6hipcub16HIPCUB_304000_NS6detail27convert_result_type_wrapperIS8_S9_N2at6native12_GLOBAL__N_19CustomSumEEEEE10hipError_tPvRmT0_T1_jT2_SQ_T4_T3_P12ihipStream_tbEUlT_E_NS1_11comp_targetILNS1_3genE9ELNS1_11target_archE1100ELNS1_3gpuE3ELNS1_3repE0EEENS1_30default_config_static_selectorELNS0_4arch9wavefront6targetE1EEEvSP_.kd
    .uniform_work_group_size: 1
    .uses_dynamic_stack: false
    .vgpr_count:     0
    .vgpr_spill_count: 0
    .wavefront_size: 64
  - .args:
      - .offset:         0
        .size:           56
        .value_kind:     by_value
    .group_segment_fixed_size: 0
    .kernarg_segment_align: 8
    .kernarg_segment_size: 56
    .language:       OpenCL C
    .language_version:
      - 2
      - 0
    .max_flat_workgroup_size: 256
    .name:           _ZN7rocprim17ROCPRIM_400000_NS6detail17trampoline_kernelINS0_14default_configENS1_32segmented_reduce_config_selectorIdEEZNS1_21segmented_reduce_implIS3_PKdPdPKldN6hipcub16HIPCUB_304000_NS6detail27convert_result_type_wrapperIS8_S9_N2at6native12_GLOBAL__N_19CustomSumEEEEE10hipError_tPvRmT0_T1_jT2_SQ_T4_T3_P12ihipStream_tbEUlT_E_NS1_11comp_targetILNS1_3genE8ELNS1_11target_archE1030ELNS1_3gpuE2ELNS1_3repE0EEENS1_30default_config_static_selectorELNS0_4arch9wavefront6targetE1EEEvSP_
    .private_segment_fixed_size: 0
    .sgpr_count:     4
    .sgpr_spill_count: 0
    .symbol:         _ZN7rocprim17ROCPRIM_400000_NS6detail17trampoline_kernelINS0_14default_configENS1_32segmented_reduce_config_selectorIdEEZNS1_21segmented_reduce_implIS3_PKdPdPKldN6hipcub16HIPCUB_304000_NS6detail27convert_result_type_wrapperIS8_S9_N2at6native12_GLOBAL__N_19CustomSumEEEEE10hipError_tPvRmT0_T1_jT2_SQ_T4_T3_P12ihipStream_tbEUlT_E_NS1_11comp_targetILNS1_3genE8ELNS1_11target_archE1030ELNS1_3gpuE2ELNS1_3repE0EEENS1_30default_config_static_selectorELNS0_4arch9wavefront6targetE1EEEvSP_.kd
    .uniform_work_group_size: 1
    .uses_dynamic_stack: false
    .vgpr_count:     0
    .vgpr_spill_count: 0
    .wavefront_size: 64
  - .args:
      - .address_space:  global
        .offset:         0
        .size:           8
        .value_kind:     global_buffer
      - .address_space:  global
        .offset:         8
        .size:           8
        .value_kind:     global_buffer
      - .offset:         16
        .size:           8
        .value_kind:     by_value
      - .offset:         24
        .size:           1
        .value_kind:     by_value
      - .offset:         32
        .size:           8
        .value_kind:     by_value
      - .offset:         40
        .size:           4
        .value_kind:     hidden_block_count_x
      - .offset:         44
        .size:           4
        .value_kind:     hidden_block_count_y
      - .offset:         48
        .size:           4
        .value_kind:     hidden_block_count_z
      - .offset:         52
        .size:           2
        .value_kind:     hidden_group_size_x
      - .offset:         54
        .size:           2
        .value_kind:     hidden_group_size_y
      - .offset:         56
        .size:           2
        .value_kind:     hidden_group_size_z
      - .offset:         58
        .size:           2
        .value_kind:     hidden_remainder_x
      - .offset:         60
        .size:           2
        .value_kind:     hidden_remainder_y
      - .offset:         62
        .size:           2
        .value_kind:     hidden_remainder_z
      - .offset:         80
        .size:           8
        .value_kind:     hidden_global_offset_x
      - .offset:         88
        .size:           8
        .value_kind:     hidden_global_offset_y
      - .offset:         96
        .size:           8
        .value_kind:     hidden_global_offset_z
      - .offset:         104
        .size:           2
        .value_kind:     hidden_grid_dims
    .group_segment_fixed_size: 0
    .kernarg_segment_align: 8
    .kernarg_segment_size: 296
    .language:       OpenCL C
    .language_version:
      - 2
      - 0
    .max_flat_workgroup_size: 1024
    .name:           _ZN2at6native12_GLOBAL__N_119post_sum_div_kernelIdlEEvPT_PKT0_lbS3_
    .private_segment_fixed_size: 0
    .sgpr_count:     32
    .sgpr_spill_count: 0
    .symbol:         _ZN2at6native12_GLOBAL__N_119post_sum_div_kernelIdlEEvPT_PKT0_lbS3_.kd
    .uniform_work_group_size: 1
    .uses_dynamic_stack: false
    .vgpr_count:     19
    .vgpr_spill_count: 0
    .wavefront_size: 64
  - .args:
      - .offset:         0
        .size:           56
        .value_kind:     by_value
    .group_segment_fixed_size: 0
    .kernarg_segment_align: 8
    .kernarg_segment_size: 56
    .language:       OpenCL C
    .language_version:
      - 2
      - 0
    .max_flat_workgroup_size: 256
    .name:           _ZN7rocprim17ROCPRIM_400000_NS6detail17trampoline_kernelINS0_14default_configENS1_32segmented_reduce_config_selectorIdEEZNS1_21segmented_reduce_implIS3_PKdPdPKldN6hipcub16HIPCUB_304000_NS6detail27convert_result_type_wrapperIS8_S9_N2at6native12_GLOBAL__N_19CustomMinEEEEE10hipError_tPvRmT0_T1_jT2_SQ_T4_T3_P12ihipStream_tbEUlT_E_NS1_11comp_targetILNS1_3genE0ELNS1_11target_archE4294967295ELNS1_3gpuE0ELNS1_3repE0EEENS1_30default_config_static_selectorELNS0_4arch9wavefront6targetE1EEEvSP_
    .private_segment_fixed_size: 0
    .sgpr_count:     4
    .sgpr_spill_count: 0
    .symbol:         _ZN7rocprim17ROCPRIM_400000_NS6detail17trampoline_kernelINS0_14default_configENS1_32segmented_reduce_config_selectorIdEEZNS1_21segmented_reduce_implIS3_PKdPdPKldN6hipcub16HIPCUB_304000_NS6detail27convert_result_type_wrapperIS8_S9_N2at6native12_GLOBAL__N_19CustomMinEEEEE10hipError_tPvRmT0_T1_jT2_SQ_T4_T3_P12ihipStream_tbEUlT_E_NS1_11comp_targetILNS1_3genE0ELNS1_11target_archE4294967295ELNS1_3gpuE0ELNS1_3repE0EEENS1_30default_config_static_selectorELNS0_4arch9wavefront6targetE1EEEvSP_.kd
    .uniform_work_group_size: 1
    .uses_dynamic_stack: false
    .vgpr_count:     0
    .vgpr_spill_count: 0
    .wavefront_size: 64
  - .args:
      - .offset:         0
        .size:           56
        .value_kind:     by_value
    .group_segment_fixed_size: 0
    .kernarg_segment_align: 8
    .kernarg_segment_size: 56
    .language:       OpenCL C
    .language_version:
      - 2
      - 0
    .max_flat_workgroup_size: 256
    .name:           _ZN7rocprim17ROCPRIM_400000_NS6detail17trampoline_kernelINS0_14default_configENS1_32segmented_reduce_config_selectorIdEEZNS1_21segmented_reduce_implIS3_PKdPdPKldN6hipcub16HIPCUB_304000_NS6detail27convert_result_type_wrapperIS8_S9_N2at6native12_GLOBAL__N_19CustomMinEEEEE10hipError_tPvRmT0_T1_jT2_SQ_T4_T3_P12ihipStream_tbEUlT_E_NS1_11comp_targetILNS1_3genE5ELNS1_11target_archE942ELNS1_3gpuE9ELNS1_3repE0EEENS1_30default_config_static_selectorELNS0_4arch9wavefront6targetE1EEEvSP_
    .private_segment_fixed_size: 0
    .sgpr_count:     4
    .sgpr_spill_count: 0
    .symbol:         _ZN7rocprim17ROCPRIM_400000_NS6detail17trampoline_kernelINS0_14default_configENS1_32segmented_reduce_config_selectorIdEEZNS1_21segmented_reduce_implIS3_PKdPdPKldN6hipcub16HIPCUB_304000_NS6detail27convert_result_type_wrapperIS8_S9_N2at6native12_GLOBAL__N_19CustomMinEEEEE10hipError_tPvRmT0_T1_jT2_SQ_T4_T3_P12ihipStream_tbEUlT_E_NS1_11comp_targetILNS1_3genE5ELNS1_11target_archE942ELNS1_3gpuE9ELNS1_3repE0EEENS1_30default_config_static_selectorELNS0_4arch9wavefront6targetE1EEEvSP_.kd
    .uniform_work_group_size: 1
    .uses_dynamic_stack: false
    .vgpr_count:     0
    .vgpr_spill_count: 0
    .wavefront_size: 64
  - .args:
      - .offset:         0
        .size:           56
        .value_kind:     by_value
    .group_segment_fixed_size: 0
    .kernarg_segment_align: 8
    .kernarg_segment_size: 56
    .language:       OpenCL C
    .language_version:
      - 2
      - 0
    .max_flat_workgroup_size: 256
    .name:           _ZN7rocprim17ROCPRIM_400000_NS6detail17trampoline_kernelINS0_14default_configENS1_32segmented_reduce_config_selectorIdEEZNS1_21segmented_reduce_implIS3_PKdPdPKldN6hipcub16HIPCUB_304000_NS6detail27convert_result_type_wrapperIS8_S9_N2at6native12_GLOBAL__N_19CustomMinEEEEE10hipError_tPvRmT0_T1_jT2_SQ_T4_T3_P12ihipStream_tbEUlT_E_NS1_11comp_targetILNS1_3genE10ELNS1_11target_archE1201ELNS1_3gpuE5ELNS1_3repE0EEENS1_30default_config_static_selectorELNS0_4arch9wavefront6targetE1EEEvSP_
    .private_segment_fixed_size: 0
    .sgpr_count:     4
    .sgpr_spill_count: 0
    .symbol:         _ZN7rocprim17ROCPRIM_400000_NS6detail17trampoline_kernelINS0_14default_configENS1_32segmented_reduce_config_selectorIdEEZNS1_21segmented_reduce_implIS3_PKdPdPKldN6hipcub16HIPCUB_304000_NS6detail27convert_result_type_wrapperIS8_S9_N2at6native12_GLOBAL__N_19CustomMinEEEEE10hipError_tPvRmT0_T1_jT2_SQ_T4_T3_P12ihipStream_tbEUlT_E_NS1_11comp_targetILNS1_3genE10ELNS1_11target_archE1201ELNS1_3gpuE5ELNS1_3repE0EEENS1_30default_config_static_selectorELNS0_4arch9wavefront6targetE1EEEvSP_.kd
    .uniform_work_group_size: 1
    .uses_dynamic_stack: false
    .vgpr_count:     0
    .vgpr_spill_count: 0
    .wavefront_size: 64
  - .args:
      - .offset:         0
        .size:           56
        .value_kind:     by_value
    .group_segment_fixed_size: 0
    .kernarg_segment_align: 8
    .kernarg_segment_size: 56
    .language:       OpenCL C
    .language_version:
      - 2
      - 0
    .max_flat_workgroup_size: 256
    .name:           _ZN7rocprim17ROCPRIM_400000_NS6detail17trampoline_kernelINS0_14default_configENS1_32segmented_reduce_config_selectorIdEEZNS1_21segmented_reduce_implIS3_PKdPdPKldN6hipcub16HIPCUB_304000_NS6detail27convert_result_type_wrapperIS8_S9_N2at6native12_GLOBAL__N_19CustomMinEEEEE10hipError_tPvRmT0_T1_jT2_SQ_T4_T3_P12ihipStream_tbEUlT_E_NS1_11comp_targetILNS1_3genE4ELNS1_11target_archE910ELNS1_3gpuE8ELNS1_3repE0EEENS1_30default_config_static_selectorELNS0_4arch9wavefront6targetE1EEEvSP_
    .private_segment_fixed_size: 0
    .sgpr_count:     4
    .sgpr_spill_count: 0
    .symbol:         _ZN7rocprim17ROCPRIM_400000_NS6detail17trampoline_kernelINS0_14default_configENS1_32segmented_reduce_config_selectorIdEEZNS1_21segmented_reduce_implIS3_PKdPdPKldN6hipcub16HIPCUB_304000_NS6detail27convert_result_type_wrapperIS8_S9_N2at6native12_GLOBAL__N_19CustomMinEEEEE10hipError_tPvRmT0_T1_jT2_SQ_T4_T3_P12ihipStream_tbEUlT_E_NS1_11comp_targetILNS1_3genE4ELNS1_11target_archE910ELNS1_3gpuE8ELNS1_3repE0EEENS1_30default_config_static_selectorELNS0_4arch9wavefront6targetE1EEEvSP_.kd
    .uniform_work_group_size: 1
    .uses_dynamic_stack: false
    .vgpr_count:     0
    .vgpr_spill_count: 0
    .wavefront_size: 64
  - .args:
      - .offset:         0
        .size:           56
        .value_kind:     by_value
    .group_segment_fixed_size: 0
    .kernarg_segment_align: 8
    .kernarg_segment_size: 56
    .language:       OpenCL C
    .language_version:
      - 2
      - 0
    .max_flat_workgroup_size: 256
    .name:           _ZN7rocprim17ROCPRIM_400000_NS6detail17trampoline_kernelINS0_14default_configENS1_32segmented_reduce_config_selectorIdEEZNS1_21segmented_reduce_implIS3_PKdPdPKldN6hipcub16HIPCUB_304000_NS6detail27convert_result_type_wrapperIS8_S9_N2at6native12_GLOBAL__N_19CustomMinEEEEE10hipError_tPvRmT0_T1_jT2_SQ_T4_T3_P12ihipStream_tbEUlT_E_NS1_11comp_targetILNS1_3genE3ELNS1_11target_archE908ELNS1_3gpuE7ELNS1_3repE0EEENS1_30default_config_static_selectorELNS0_4arch9wavefront6targetE1EEEvSP_
    .private_segment_fixed_size: 0
    .sgpr_count:     4
    .sgpr_spill_count: 0
    .symbol:         _ZN7rocprim17ROCPRIM_400000_NS6detail17trampoline_kernelINS0_14default_configENS1_32segmented_reduce_config_selectorIdEEZNS1_21segmented_reduce_implIS3_PKdPdPKldN6hipcub16HIPCUB_304000_NS6detail27convert_result_type_wrapperIS8_S9_N2at6native12_GLOBAL__N_19CustomMinEEEEE10hipError_tPvRmT0_T1_jT2_SQ_T4_T3_P12ihipStream_tbEUlT_E_NS1_11comp_targetILNS1_3genE3ELNS1_11target_archE908ELNS1_3gpuE7ELNS1_3repE0EEENS1_30default_config_static_selectorELNS0_4arch9wavefront6targetE1EEEvSP_.kd
    .uniform_work_group_size: 1
    .uses_dynamic_stack: false
    .vgpr_count:     0
    .vgpr_spill_count: 0
    .wavefront_size: 64
  - .args:
      - .offset:         0
        .size:           56
        .value_kind:     by_value
    .group_segment_fixed_size: 32
    .kernarg_segment_align: 8
    .kernarg_segment_size: 56
    .language:       OpenCL C
    .language_version:
      - 2
      - 0
    .max_flat_workgroup_size: 256
    .name:           _ZN7rocprim17ROCPRIM_400000_NS6detail17trampoline_kernelINS0_14default_configENS1_32segmented_reduce_config_selectorIdEEZNS1_21segmented_reduce_implIS3_PKdPdPKldN6hipcub16HIPCUB_304000_NS6detail27convert_result_type_wrapperIS8_S9_N2at6native12_GLOBAL__N_19CustomMinEEEEE10hipError_tPvRmT0_T1_jT2_SQ_T4_T3_P12ihipStream_tbEUlT_E_NS1_11comp_targetILNS1_3genE2ELNS1_11target_archE906ELNS1_3gpuE6ELNS1_3repE0EEENS1_30default_config_static_selectorELNS0_4arch9wavefront6targetE1EEEvSP_
    .private_segment_fixed_size: 0
    .sgpr_count:     28
    .sgpr_spill_count: 0
    .symbol:         _ZN7rocprim17ROCPRIM_400000_NS6detail17trampoline_kernelINS0_14default_configENS1_32segmented_reduce_config_selectorIdEEZNS1_21segmented_reduce_implIS3_PKdPdPKldN6hipcub16HIPCUB_304000_NS6detail27convert_result_type_wrapperIS8_S9_N2at6native12_GLOBAL__N_19CustomMinEEEEE10hipError_tPvRmT0_T1_jT2_SQ_T4_T3_P12ihipStream_tbEUlT_E_NS1_11comp_targetILNS1_3genE2ELNS1_11target_archE906ELNS1_3gpuE6ELNS1_3repE0EEENS1_30default_config_static_selectorELNS0_4arch9wavefront6targetE1EEEvSP_.kd
    .uniform_work_group_size: 1
    .uses_dynamic_stack: false
    .vgpr_count:     26
    .vgpr_spill_count: 0
    .wavefront_size: 64
  - .args:
      - .offset:         0
        .size:           56
        .value_kind:     by_value
    .group_segment_fixed_size: 0
    .kernarg_segment_align: 8
    .kernarg_segment_size: 56
    .language:       OpenCL C
    .language_version:
      - 2
      - 0
    .max_flat_workgroup_size: 256
    .name:           _ZN7rocprim17ROCPRIM_400000_NS6detail17trampoline_kernelINS0_14default_configENS1_32segmented_reduce_config_selectorIdEEZNS1_21segmented_reduce_implIS3_PKdPdPKldN6hipcub16HIPCUB_304000_NS6detail27convert_result_type_wrapperIS8_S9_N2at6native12_GLOBAL__N_19CustomMinEEEEE10hipError_tPvRmT0_T1_jT2_SQ_T4_T3_P12ihipStream_tbEUlT_E_NS1_11comp_targetILNS1_3genE9ELNS1_11target_archE1100ELNS1_3gpuE3ELNS1_3repE0EEENS1_30default_config_static_selectorELNS0_4arch9wavefront6targetE1EEEvSP_
    .private_segment_fixed_size: 0
    .sgpr_count:     4
    .sgpr_spill_count: 0
    .symbol:         _ZN7rocprim17ROCPRIM_400000_NS6detail17trampoline_kernelINS0_14default_configENS1_32segmented_reduce_config_selectorIdEEZNS1_21segmented_reduce_implIS3_PKdPdPKldN6hipcub16HIPCUB_304000_NS6detail27convert_result_type_wrapperIS8_S9_N2at6native12_GLOBAL__N_19CustomMinEEEEE10hipError_tPvRmT0_T1_jT2_SQ_T4_T3_P12ihipStream_tbEUlT_E_NS1_11comp_targetILNS1_3genE9ELNS1_11target_archE1100ELNS1_3gpuE3ELNS1_3repE0EEENS1_30default_config_static_selectorELNS0_4arch9wavefront6targetE1EEEvSP_.kd
    .uniform_work_group_size: 1
    .uses_dynamic_stack: false
    .vgpr_count:     0
    .vgpr_spill_count: 0
    .wavefront_size: 64
  - .args:
      - .offset:         0
        .size:           56
        .value_kind:     by_value
    .group_segment_fixed_size: 0
    .kernarg_segment_align: 8
    .kernarg_segment_size: 56
    .language:       OpenCL C
    .language_version:
      - 2
      - 0
    .max_flat_workgroup_size: 256
    .name:           _ZN7rocprim17ROCPRIM_400000_NS6detail17trampoline_kernelINS0_14default_configENS1_32segmented_reduce_config_selectorIdEEZNS1_21segmented_reduce_implIS3_PKdPdPKldN6hipcub16HIPCUB_304000_NS6detail27convert_result_type_wrapperIS8_S9_N2at6native12_GLOBAL__N_19CustomMinEEEEE10hipError_tPvRmT0_T1_jT2_SQ_T4_T3_P12ihipStream_tbEUlT_E_NS1_11comp_targetILNS1_3genE8ELNS1_11target_archE1030ELNS1_3gpuE2ELNS1_3repE0EEENS1_30default_config_static_selectorELNS0_4arch9wavefront6targetE1EEEvSP_
    .private_segment_fixed_size: 0
    .sgpr_count:     4
    .sgpr_spill_count: 0
    .symbol:         _ZN7rocprim17ROCPRIM_400000_NS6detail17trampoline_kernelINS0_14default_configENS1_32segmented_reduce_config_selectorIdEEZNS1_21segmented_reduce_implIS3_PKdPdPKldN6hipcub16HIPCUB_304000_NS6detail27convert_result_type_wrapperIS8_S9_N2at6native12_GLOBAL__N_19CustomMinEEEEE10hipError_tPvRmT0_T1_jT2_SQ_T4_T3_P12ihipStream_tbEUlT_E_NS1_11comp_targetILNS1_3genE8ELNS1_11target_archE1030ELNS1_3gpuE2ELNS1_3repE0EEENS1_30default_config_static_selectorELNS0_4arch9wavefront6targetE1EEEvSP_.kd
    .uniform_work_group_size: 1
    .uses_dynamic_stack: false
    .vgpr_count:     0
    .vgpr_spill_count: 0
    .wavefront_size: 64
  - .args:
      - .offset:         0
        .size:           56
        .value_kind:     by_value
    .group_segment_fixed_size: 0
    .kernarg_segment_align: 8
    .kernarg_segment_size: 56
    .language:       OpenCL C
    .language_version:
      - 2
      - 0
    .max_flat_workgroup_size: 256
    .name:           _ZN7rocprim17ROCPRIM_400000_NS6detail17trampoline_kernelINS0_14default_configENS1_32segmented_reduce_config_selectorIdEEZNS1_21segmented_reduce_implIS3_PKdPdPKldN6hipcub16HIPCUB_304000_NS6detail27convert_result_type_wrapperIS8_S9_N2at6native12_GLOBAL__N_110CustomProdEEEEE10hipError_tPvRmT0_T1_jT2_SQ_T4_T3_P12ihipStream_tbEUlT_E_NS1_11comp_targetILNS1_3genE0ELNS1_11target_archE4294967295ELNS1_3gpuE0ELNS1_3repE0EEENS1_30default_config_static_selectorELNS0_4arch9wavefront6targetE1EEEvSP_
    .private_segment_fixed_size: 0
    .sgpr_count:     4
    .sgpr_spill_count: 0
    .symbol:         _ZN7rocprim17ROCPRIM_400000_NS6detail17trampoline_kernelINS0_14default_configENS1_32segmented_reduce_config_selectorIdEEZNS1_21segmented_reduce_implIS3_PKdPdPKldN6hipcub16HIPCUB_304000_NS6detail27convert_result_type_wrapperIS8_S9_N2at6native12_GLOBAL__N_110CustomProdEEEEE10hipError_tPvRmT0_T1_jT2_SQ_T4_T3_P12ihipStream_tbEUlT_E_NS1_11comp_targetILNS1_3genE0ELNS1_11target_archE4294967295ELNS1_3gpuE0ELNS1_3repE0EEENS1_30default_config_static_selectorELNS0_4arch9wavefront6targetE1EEEvSP_.kd
    .uniform_work_group_size: 1
    .uses_dynamic_stack: false
    .vgpr_count:     0
    .vgpr_spill_count: 0
    .wavefront_size: 64
  - .args:
      - .offset:         0
        .size:           56
        .value_kind:     by_value
    .group_segment_fixed_size: 0
    .kernarg_segment_align: 8
    .kernarg_segment_size: 56
    .language:       OpenCL C
    .language_version:
      - 2
      - 0
    .max_flat_workgroup_size: 256
    .name:           _ZN7rocprim17ROCPRIM_400000_NS6detail17trampoline_kernelINS0_14default_configENS1_32segmented_reduce_config_selectorIdEEZNS1_21segmented_reduce_implIS3_PKdPdPKldN6hipcub16HIPCUB_304000_NS6detail27convert_result_type_wrapperIS8_S9_N2at6native12_GLOBAL__N_110CustomProdEEEEE10hipError_tPvRmT0_T1_jT2_SQ_T4_T3_P12ihipStream_tbEUlT_E_NS1_11comp_targetILNS1_3genE5ELNS1_11target_archE942ELNS1_3gpuE9ELNS1_3repE0EEENS1_30default_config_static_selectorELNS0_4arch9wavefront6targetE1EEEvSP_
    .private_segment_fixed_size: 0
    .sgpr_count:     4
    .sgpr_spill_count: 0
    .symbol:         _ZN7rocprim17ROCPRIM_400000_NS6detail17trampoline_kernelINS0_14default_configENS1_32segmented_reduce_config_selectorIdEEZNS1_21segmented_reduce_implIS3_PKdPdPKldN6hipcub16HIPCUB_304000_NS6detail27convert_result_type_wrapperIS8_S9_N2at6native12_GLOBAL__N_110CustomProdEEEEE10hipError_tPvRmT0_T1_jT2_SQ_T4_T3_P12ihipStream_tbEUlT_E_NS1_11comp_targetILNS1_3genE5ELNS1_11target_archE942ELNS1_3gpuE9ELNS1_3repE0EEENS1_30default_config_static_selectorELNS0_4arch9wavefront6targetE1EEEvSP_.kd
    .uniform_work_group_size: 1
    .uses_dynamic_stack: false
    .vgpr_count:     0
    .vgpr_spill_count: 0
    .wavefront_size: 64
  - .args:
      - .offset:         0
        .size:           56
        .value_kind:     by_value
    .group_segment_fixed_size: 0
    .kernarg_segment_align: 8
    .kernarg_segment_size: 56
    .language:       OpenCL C
    .language_version:
      - 2
      - 0
    .max_flat_workgroup_size: 256
    .name:           _ZN7rocprim17ROCPRIM_400000_NS6detail17trampoline_kernelINS0_14default_configENS1_32segmented_reduce_config_selectorIdEEZNS1_21segmented_reduce_implIS3_PKdPdPKldN6hipcub16HIPCUB_304000_NS6detail27convert_result_type_wrapperIS8_S9_N2at6native12_GLOBAL__N_110CustomProdEEEEE10hipError_tPvRmT0_T1_jT2_SQ_T4_T3_P12ihipStream_tbEUlT_E_NS1_11comp_targetILNS1_3genE10ELNS1_11target_archE1201ELNS1_3gpuE5ELNS1_3repE0EEENS1_30default_config_static_selectorELNS0_4arch9wavefront6targetE1EEEvSP_
    .private_segment_fixed_size: 0
    .sgpr_count:     4
    .sgpr_spill_count: 0
    .symbol:         _ZN7rocprim17ROCPRIM_400000_NS6detail17trampoline_kernelINS0_14default_configENS1_32segmented_reduce_config_selectorIdEEZNS1_21segmented_reduce_implIS3_PKdPdPKldN6hipcub16HIPCUB_304000_NS6detail27convert_result_type_wrapperIS8_S9_N2at6native12_GLOBAL__N_110CustomProdEEEEE10hipError_tPvRmT0_T1_jT2_SQ_T4_T3_P12ihipStream_tbEUlT_E_NS1_11comp_targetILNS1_3genE10ELNS1_11target_archE1201ELNS1_3gpuE5ELNS1_3repE0EEENS1_30default_config_static_selectorELNS0_4arch9wavefront6targetE1EEEvSP_.kd
    .uniform_work_group_size: 1
    .uses_dynamic_stack: false
    .vgpr_count:     0
    .vgpr_spill_count: 0
    .wavefront_size: 64
  - .args:
      - .offset:         0
        .size:           56
        .value_kind:     by_value
    .group_segment_fixed_size: 0
    .kernarg_segment_align: 8
    .kernarg_segment_size: 56
    .language:       OpenCL C
    .language_version:
      - 2
      - 0
    .max_flat_workgroup_size: 256
    .name:           _ZN7rocprim17ROCPRIM_400000_NS6detail17trampoline_kernelINS0_14default_configENS1_32segmented_reduce_config_selectorIdEEZNS1_21segmented_reduce_implIS3_PKdPdPKldN6hipcub16HIPCUB_304000_NS6detail27convert_result_type_wrapperIS8_S9_N2at6native12_GLOBAL__N_110CustomProdEEEEE10hipError_tPvRmT0_T1_jT2_SQ_T4_T3_P12ihipStream_tbEUlT_E_NS1_11comp_targetILNS1_3genE4ELNS1_11target_archE910ELNS1_3gpuE8ELNS1_3repE0EEENS1_30default_config_static_selectorELNS0_4arch9wavefront6targetE1EEEvSP_
    .private_segment_fixed_size: 0
    .sgpr_count:     4
    .sgpr_spill_count: 0
    .symbol:         _ZN7rocprim17ROCPRIM_400000_NS6detail17trampoline_kernelINS0_14default_configENS1_32segmented_reduce_config_selectorIdEEZNS1_21segmented_reduce_implIS3_PKdPdPKldN6hipcub16HIPCUB_304000_NS6detail27convert_result_type_wrapperIS8_S9_N2at6native12_GLOBAL__N_110CustomProdEEEEE10hipError_tPvRmT0_T1_jT2_SQ_T4_T3_P12ihipStream_tbEUlT_E_NS1_11comp_targetILNS1_3genE4ELNS1_11target_archE910ELNS1_3gpuE8ELNS1_3repE0EEENS1_30default_config_static_selectorELNS0_4arch9wavefront6targetE1EEEvSP_.kd
    .uniform_work_group_size: 1
    .uses_dynamic_stack: false
    .vgpr_count:     0
    .vgpr_spill_count: 0
    .wavefront_size: 64
  - .args:
      - .offset:         0
        .size:           56
        .value_kind:     by_value
    .group_segment_fixed_size: 0
    .kernarg_segment_align: 8
    .kernarg_segment_size: 56
    .language:       OpenCL C
    .language_version:
      - 2
      - 0
    .max_flat_workgroup_size: 256
    .name:           _ZN7rocprim17ROCPRIM_400000_NS6detail17trampoline_kernelINS0_14default_configENS1_32segmented_reduce_config_selectorIdEEZNS1_21segmented_reduce_implIS3_PKdPdPKldN6hipcub16HIPCUB_304000_NS6detail27convert_result_type_wrapperIS8_S9_N2at6native12_GLOBAL__N_110CustomProdEEEEE10hipError_tPvRmT0_T1_jT2_SQ_T4_T3_P12ihipStream_tbEUlT_E_NS1_11comp_targetILNS1_3genE3ELNS1_11target_archE908ELNS1_3gpuE7ELNS1_3repE0EEENS1_30default_config_static_selectorELNS0_4arch9wavefront6targetE1EEEvSP_
    .private_segment_fixed_size: 0
    .sgpr_count:     4
    .sgpr_spill_count: 0
    .symbol:         _ZN7rocprim17ROCPRIM_400000_NS6detail17trampoline_kernelINS0_14default_configENS1_32segmented_reduce_config_selectorIdEEZNS1_21segmented_reduce_implIS3_PKdPdPKldN6hipcub16HIPCUB_304000_NS6detail27convert_result_type_wrapperIS8_S9_N2at6native12_GLOBAL__N_110CustomProdEEEEE10hipError_tPvRmT0_T1_jT2_SQ_T4_T3_P12ihipStream_tbEUlT_E_NS1_11comp_targetILNS1_3genE3ELNS1_11target_archE908ELNS1_3gpuE7ELNS1_3repE0EEENS1_30default_config_static_selectorELNS0_4arch9wavefront6targetE1EEEvSP_.kd
    .uniform_work_group_size: 1
    .uses_dynamic_stack: false
    .vgpr_count:     0
    .vgpr_spill_count: 0
    .wavefront_size: 64
  - .args:
      - .offset:         0
        .size:           56
        .value_kind:     by_value
    .group_segment_fixed_size: 32
    .kernarg_segment_align: 8
    .kernarg_segment_size: 56
    .language:       OpenCL C
    .language_version:
      - 2
      - 0
    .max_flat_workgroup_size: 256
    .name:           _ZN7rocprim17ROCPRIM_400000_NS6detail17trampoline_kernelINS0_14default_configENS1_32segmented_reduce_config_selectorIdEEZNS1_21segmented_reduce_implIS3_PKdPdPKldN6hipcub16HIPCUB_304000_NS6detail27convert_result_type_wrapperIS8_S9_N2at6native12_GLOBAL__N_110CustomProdEEEEE10hipError_tPvRmT0_T1_jT2_SQ_T4_T3_P12ihipStream_tbEUlT_E_NS1_11comp_targetILNS1_3genE2ELNS1_11target_archE906ELNS1_3gpuE6ELNS1_3repE0EEENS1_30default_config_static_selectorELNS0_4arch9wavefront6targetE1EEEvSP_
    .private_segment_fixed_size: 0
    .sgpr_count:     40
    .sgpr_spill_count: 0
    .symbol:         _ZN7rocprim17ROCPRIM_400000_NS6detail17trampoline_kernelINS0_14default_configENS1_32segmented_reduce_config_selectorIdEEZNS1_21segmented_reduce_implIS3_PKdPdPKldN6hipcub16HIPCUB_304000_NS6detail27convert_result_type_wrapperIS8_S9_N2at6native12_GLOBAL__N_110CustomProdEEEEE10hipError_tPvRmT0_T1_jT2_SQ_T4_T3_P12ihipStream_tbEUlT_E_NS1_11comp_targetILNS1_3genE2ELNS1_11target_archE906ELNS1_3gpuE6ELNS1_3repE0EEENS1_30default_config_static_selectorELNS0_4arch9wavefront6targetE1EEEvSP_.kd
    .uniform_work_group_size: 1
    .uses_dynamic_stack: false
    .vgpr_count:     24
    .vgpr_spill_count: 0
    .wavefront_size: 64
  - .args:
      - .offset:         0
        .size:           56
        .value_kind:     by_value
    .group_segment_fixed_size: 0
    .kernarg_segment_align: 8
    .kernarg_segment_size: 56
    .language:       OpenCL C
    .language_version:
      - 2
      - 0
    .max_flat_workgroup_size: 256
    .name:           _ZN7rocprim17ROCPRIM_400000_NS6detail17trampoline_kernelINS0_14default_configENS1_32segmented_reduce_config_selectorIdEEZNS1_21segmented_reduce_implIS3_PKdPdPKldN6hipcub16HIPCUB_304000_NS6detail27convert_result_type_wrapperIS8_S9_N2at6native12_GLOBAL__N_110CustomProdEEEEE10hipError_tPvRmT0_T1_jT2_SQ_T4_T3_P12ihipStream_tbEUlT_E_NS1_11comp_targetILNS1_3genE9ELNS1_11target_archE1100ELNS1_3gpuE3ELNS1_3repE0EEENS1_30default_config_static_selectorELNS0_4arch9wavefront6targetE1EEEvSP_
    .private_segment_fixed_size: 0
    .sgpr_count:     4
    .sgpr_spill_count: 0
    .symbol:         _ZN7rocprim17ROCPRIM_400000_NS6detail17trampoline_kernelINS0_14default_configENS1_32segmented_reduce_config_selectorIdEEZNS1_21segmented_reduce_implIS3_PKdPdPKldN6hipcub16HIPCUB_304000_NS6detail27convert_result_type_wrapperIS8_S9_N2at6native12_GLOBAL__N_110CustomProdEEEEE10hipError_tPvRmT0_T1_jT2_SQ_T4_T3_P12ihipStream_tbEUlT_E_NS1_11comp_targetILNS1_3genE9ELNS1_11target_archE1100ELNS1_3gpuE3ELNS1_3repE0EEENS1_30default_config_static_selectorELNS0_4arch9wavefront6targetE1EEEvSP_.kd
    .uniform_work_group_size: 1
    .uses_dynamic_stack: false
    .vgpr_count:     0
    .vgpr_spill_count: 0
    .wavefront_size: 64
  - .args:
      - .offset:         0
        .size:           56
        .value_kind:     by_value
    .group_segment_fixed_size: 0
    .kernarg_segment_align: 8
    .kernarg_segment_size: 56
    .language:       OpenCL C
    .language_version:
      - 2
      - 0
    .max_flat_workgroup_size: 256
    .name:           _ZN7rocprim17ROCPRIM_400000_NS6detail17trampoline_kernelINS0_14default_configENS1_32segmented_reduce_config_selectorIdEEZNS1_21segmented_reduce_implIS3_PKdPdPKldN6hipcub16HIPCUB_304000_NS6detail27convert_result_type_wrapperIS8_S9_N2at6native12_GLOBAL__N_110CustomProdEEEEE10hipError_tPvRmT0_T1_jT2_SQ_T4_T3_P12ihipStream_tbEUlT_E_NS1_11comp_targetILNS1_3genE8ELNS1_11target_archE1030ELNS1_3gpuE2ELNS1_3repE0EEENS1_30default_config_static_selectorELNS0_4arch9wavefront6targetE1EEEvSP_
    .private_segment_fixed_size: 0
    .sgpr_count:     4
    .sgpr_spill_count: 0
    .symbol:         _ZN7rocprim17ROCPRIM_400000_NS6detail17trampoline_kernelINS0_14default_configENS1_32segmented_reduce_config_selectorIdEEZNS1_21segmented_reduce_implIS3_PKdPdPKldN6hipcub16HIPCUB_304000_NS6detail27convert_result_type_wrapperIS8_S9_N2at6native12_GLOBAL__N_110CustomProdEEEEE10hipError_tPvRmT0_T1_jT2_SQ_T4_T3_P12ihipStream_tbEUlT_E_NS1_11comp_targetILNS1_3genE8ELNS1_11target_archE1030ELNS1_3gpuE2ELNS1_3repE0EEENS1_30default_config_static_selectorELNS0_4arch9wavefront6targetE1EEEvSP_.kd
    .uniform_work_group_size: 1
    .uses_dynamic_stack: false
    .vgpr_count:     0
    .vgpr_spill_count: 0
    .wavefront_size: 64
  - .args:
      - .offset:         0
        .size:           4
        .value_kind:     by_value
      - .address_space:  global
        .offset:         8
        .size:           8
        .value_kind:     global_buffer
      - .address_space:  global
        .offset:         16
        .size:           8
        .value_kind:     global_buffer
      - .address_space:  global
        .offset:         24
        .size:           8
        .value_kind:     global_buffer
      - .address_space:  global
        .offset:         32
        .size:           8
        .value_kind:     global_buffer
      - .offset:         40
        .size:           8
        .value_kind:     by_value
      - .offset:         48
        .size:           8
        .value_kind:     by_value
      - .offset:         56
        .size:           1
        .value_kind:     by_value
      - .offset:         60
        .size:           4
        .value_kind:     by_value
      - .offset:         64
        .size:           8
        .value_kind:     by_value
      - .offset:         72
        .size:           8
        .value_kind:     by_value
      - .offset:         80
        .size:           8
        .value_kind:     by_value
      - .offset:         88
        .size:           8
        .value_kind:     by_value
      - .offset:         96
        .size:           8
        .value_kind:     by_value
      - .offset:         104
        .size:           8
        .value_kind:     by_value
      - .offset:         112
        .size:           8
        .value_kind:     by_value
      - .offset:         120
        .size:           4
        .value_kind:     hidden_block_count_x
      - .offset:         124
        .size:           4
        .value_kind:     hidden_block_count_y
      - .offset:         128
        .size:           4
        .value_kind:     hidden_block_count_z
      - .offset:         132
        .size:           2
        .value_kind:     hidden_group_size_x
      - .offset:         134
        .size:           2
        .value_kind:     hidden_group_size_y
      - .offset:         136
        .size:           2
        .value_kind:     hidden_group_size_z
      - .offset:         138
        .size:           2
        .value_kind:     hidden_remainder_x
      - .offset:         140
        .size:           2
        .value_kind:     hidden_remainder_y
      - .offset:         142
        .size:           2
        .value_kind:     hidden_remainder_z
      - .offset:         160
        .size:           8
        .value_kind:     hidden_global_offset_x
      - .offset:         168
        .size:           8
        .value_kind:     hidden_global_offset_y
      - .offset:         176
        .size:           8
        .value_kind:     hidden_global_offset_z
      - .offset:         184
        .size:           2
        .value_kind:     hidden_grid_dims
    .group_segment_fixed_size: 0
    .kernarg_segment_align: 8
    .kernarg_segment_size: 376
    .language:       OpenCL C
    .language_version:
      - 2
      - 0
    .max_flat_workgroup_size: 1024
    .name:           _ZN2at6native12_GLOBAL__N_129segment_reduce_forward_kernelIflEEvNS0_13ReductionTypeEPT_PKS4_PKT0_SA_llbS4_lllllll
    .private_segment_fixed_size: 0
    .sgpr_count:     46
    .sgpr_spill_count: 0
    .symbol:         _ZN2at6native12_GLOBAL__N_129segment_reduce_forward_kernelIflEEvNS0_13ReductionTypeEPT_PKS4_PKT0_SA_llbS4_lllllll.kd
    .uniform_work_group_size: 1
    .uses_dynamic_stack: false
    .vgpr_count:     21
    .vgpr_spill_count: 0
    .wavefront_size: 64
  - .args:
      - .offset:         0
        .size:           48
        .value_kind:     by_value
    .group_segment_fixed_size: 0
    .kernarg_segment_align: 8
    .kernarg_segment_size: 48
    .language:       OpenCL C
    .language_version:
      - 2
      - 0
    .max_flat_workgroup_size: 256
    .name:           _ZN7rocprim17ROCPRIM_400000_NS6detail17trampoline_kernelINS0_14default_configENS1_32segmented_reduce_config_selectorIfEEZNS1_21segmented_reduce_implIS3_PKfPfPKlfN6hipcub16HIPCUB_304000_NS6detail27convert_result_type_wrapperIS8_S9_N2at6native12_GLOBAL__N_19CustomMaxEEEEE10hipError_tPvRmT0_T1_jT2_SQ_T4_T3_P12ihipStream_tbEUlT_E_NS1_11comp_targetILNS1_3genE0ELNS1_11target_archE4294967295ELNS1_3gpuE0ELNS1_3repE0EEENS1_30default_config_static_selectorELNS0_4arch9wavefront6targetE1EEEvSP_
    .private_segment_fixed_size: 0
    .sgpr_count:     4
    .sgpr_spill_count: 0
    .symbol:         _ZN7rocprim17ROCPRIM_400000_NS6detail17trampoline_kernelINS0_14default_configENS1_32segmented_reduce_config_selectorIfEEZNS1_21segmented_reduce_implIS3_PKfPfPKlfN6hipcub16HIPCUB_304000_NS6detail27convert_result_type_wrapperIS8_S9_N2at6native12_GLOBAL__N_19CustomMaxEEEEE10hipError_tPvRmT0_T1_jT2_SQ_T4_T3_P12ihipStream_tbEUlT_E_NS1_11comp_targetILNS1_3genE0ELNS1_11target_archE4294967295ELNS1_3gpuE0ELNS1_3repE0EEENS1_30default_config_static_selectorELNS0_4arch9wavefront6targetE1EEEvSP_.kd
    .uniform_work_group_size: 1
    .uses_dynamic_stack: false
    .vgpr_count:     0
    .vgpr_spill_count: 0
    .wavefront_size: 64
  - .args:
      - .offset:         0
        .size:           48
        .value_kind:     by_value
    .group_segment_fixed_size: 0
    .kernarg_segment_align: 8
    .kernarg_segment_size: 48
    .language:       OpenCL C
    .language_version:
      - 2
      - 0
    .max_flat_workgroup_size: 256
    .name:           _ZN7rocprim17ROCPRIM_400000_NS6detail17trampoline_kernelINS0_14default_configENS1_32segmented_reduce_config_selectorIfEEZNS1_21segmented_reduce_implIS3_PKfPfPKlfN6hipcub16HIPCUB_304000_NS6detail27convert_result_type_wrapperIS8_S9_N2at6native12_GLOBAL__N_19CustomMaxEEEEE10hipError_tPvRmT0_T1_jT2_SQ_T4_T3_P12ihipStream_tbEUlT_E_NS1_11comp_targetILNS1_3genE5ELNS1_11target_archE942ELNS1_3gpuE9ELNS1_3repE0EEENS1_30default_config_static_selectorELNS0_4arch9wavefront6targetE1EEEvSP_
    .private_segment_fixed_size: 0
    .sgpr_count:     4
    .sgpr_spill_count: 0
    .symbol:         _ZN7rocprim17ROCPRIM_400000_NS6detail17trampoline_kernelINS0_14default_configENS1_32segmented_reduce_config_selectorIfEEZNS1_21segmented_reduce_implIS3_PKfPfPKlfN6hipcub16HIPCUB_304000_NS6detail27convert_result_type_wrapperIS8_S9_N2at6native12_GLOBAL__N_19CustomMaxEEEEE10hipError_tPvRmT0_T1_jT2_SQ_T4_T3_P12ihipStream_tbEUlT_E_NS1_11comp_targetILNS1_3genE5ELNS1_11target_archE942ELNS1_3gpuE9ELNS1_3repE0EEENS1_30default_config_static_selectorELNS0_4arch9wavefront6targetE1EEEvSP_.kd
    .uniform_work_group_size: 1
    .uses_dynamic_stack: false
    .vgpr_count:     0
    .vgpr_spill_count: 0
    .wavefront_size: 64
  - .args:
      - .offset:         0
        .size:           48
        .value_kind:     by_value
    .group_segment_fixed_size: 0
    .kernarg_segment_align: 8
    .kernarg_segment_size: 48
    .language:       OpenCL C
    .language_version:
      - 2
      - 0
    .max_flat_workgroup_size: 256
    .name:           _ZN7rocprim17ROCPRIM_400000_NS6detail17trampoline_kernelINS0_14default_configENS1_32segmented_reduce_config_selectorIfEEZNS1_21segmented_reduce_implIS3_PKfPfPKlfN6hipcub16HIPCUB_304000_NS6detail27convert_result_type_wrapperIS8_S9_N2at6native12_GLOBAL__N_19CustomMaxEEEEE10hipError_tPvRmT0_T1_jT2_SQ_T4_T3_P12ihipStream_tbEUlT_E_NS1_11comp_targetILNS1_3genE10ELNS1_11target_archE1201ELNS1_3gpuE5ELNS1_3repE0EEENS1_30default_config_static_selectorELNS0_4arch9wavefront6targetE1EEEvSP_
    .private_segment_fixed_size: 0
    .sgpr_count:     4
    .sgpr_spill_count: 0
    .symbol:         _ZN7rocprim17ROCPRIM_400000_NS6detail17trampoline_kernelINS0_14default_configENS1_32segmented_reduce_config_selectorIfEEZNS1_21segmented_reduce_implIS3_PKfPfPKlfN6hipcub16HIPCUB_304000_NS6detail27convert_result_type_wrapperIS8_S9_N2at6native12_GLOBAL__N_19CustomMaxEEEEE10hipError_tPvRmT0_T1_jT2_SQ_T4_T3_P12ihipStream_tbEUlT_E_NS1_11comp_targetILNS1_3genE10ELNS1_11target_archE1201ELNS1_3gpuE5ELNS1_3repE0EEENS1_30default_config_static_selectorELNS0_4arch9wavefront6targetE1EEEvSP_.kd
    .uniform_work_group_size: 1
    .uses_dynamic_stack: false
    .vgpr_count:     0
    .vgpr_spill_count: 0
    .wavefront_size: 64
  - .args:
      - .offset:         0
        .size:           48
        .value_kind:     by_value
    .group_segment_fixed_size: 0
    .kernarg_segment_align: 8
    .kernarg_segment_size: 48
    .language:       OpenCL C
    .language_version:
      - 2
      - 0
    .max_flat_workgroup_size: 256
    .name:           _ZN7rocprim17ROCPRIM_400000_NS6detail17trampoline_kernelINS0_14default_configENS1_32segmented_reduce_config_selectorIfEEZNS1_21segmented_reduce_implIS3_PKfPfPKlfN6hipcub16HIPCUB_304000_NS6detail27convert_result_type_wrapperIS8_S9_N2at6native12_GLOBAL__N_19CustomMaxEEEEE10hipError_tPvRmT0_T1_jT2_SQ_T4_T3_P12ihipStream_tbEUlT_E_NS1_11comp_targetILNS1_3genE4ELNS1_11target_archE910ELNS1_3gpuE8ELNS1_3repE0EEENS1_30default_config_static_selectorELNS0_4arch9wavefront6targetE1EEEvSP_
    .private_segment_fixed_size: 0
    .sgpr_count:     4
    .sgpr_spill_count: 0
    .symbol:         _ZN7rocprim17ROCPRIM_400000_NS6detail17trampoline_kernelINS0_14default_configENS1_32segmented_reduce_config_selectorIfEEZNS1_21segmented_reduce_implIS3_PKfPfPKlfN6hipcub16HIPCUB_304000_NS6detail27convert_result_type_wrapperIS8_S9_N2at6native12_GLOBAL__N_19CustomMaxEEEEE10hipError_tPvRmT0_T1_jT2_SQ_T4_T3_P12ihipStream_tbEUlT_E_NS1_11comp_targetILNS1_3genE4ELNS1_11target_archE910ELNS1_3gpuE8ELNS1_3repE0EEENS1_30default_config_static_selectorELNS0_4arch9wavefront6targetE1EEEvSP_.kd
    .uniform_work_group_size: 1
    .uses_dynamic_stack: false
    .vgpr_count:     0
    .vgpr_spill_count: 0
    .wavefront_size: 64
  - .args:
      - .offset:         0
        .size:           48
        .value_kind:     by_value
    .group_segment_fixed_size: 0
    .kernarg_segment_align: 8
    .kernarg_segment_size: 48
    .language:       OpenCL C
    .language_version:
      - 2
      - 0
    .max_flat_workgroup_size: 256
    .name:           _ZN7rocprim17ROCPRIM_400000_NS6detail17trampoline_kernelINS0_14default_configENS1_32segmented_reduce_config_selectorIfEEZNS1_21segmented_reduce_implIS3_PKfPfPKlfN6hipcub16HIPCUB_304000_NS6detail27convert_result_type_wrapperIS8_S9_N2at6native12_GLOBAL__N_19CustomMaxEEEEE10hipError_tPvRmT0_T1_jT2_SQ_T4_T3_P12ihipStream_tbEUlT_E_NS1_11comp_targetILNS1_3genE3ELNS1_11target_archE908ELNS1_3gpuE7ELNS1_3repE0EEENS1_30default_config_static_selectorELNS0_4arch9wavefront6targetE1EEEvSP_
    .private_segment_fixed_size: 0
    .sgpr_count:     4
    .sgpr_spill_count: 0
    .symbol:         _ZN7rocprim17ROCPRIM_400000_NS6detail17trampoline_kernelINS0_14default_configENS1_32segmented_reduce_config_selectorIfEEZNS1_21segmented_reduce_implIS3_PKfPfPKlfN6hipcub16HIPCUB_304000_NS6detail27convert_result_type_wrapperIS8_S9_N2at6native12_GLOBAL__N_19CustomMaxEEEEE10hipError_tPvRmT0_T1_jT2_SQ_T4_T3_P12ihipStream_tbEUlT_E_NS1_11comp_targetILNS1_3genE3ELNS1_11target_archE908ELNS1_3gpuE7ELNS1_3repE0EEENS1_30default_config_static_selectorELNS0_4arch9wavefront6targetE1EEEvSP_.kd
    .uniform_work_group_size: 1
    .uses_dynamic_stack: false
    .vgpr_count:     0
    .vgpr_spill_count: 0
    .wavefront_size: 64
  - .args:
      - .offset:         0
        .size:           48
        .value_kind:     by_value
    .group_segment_fixed_size: 16
    .kernarg_segment_align: 8
    .kernarg_segment_size: 48
    .language:       OpenCL C
    .language_version:
      - 2
      - 0
    .max_flat_workgroup_size: 256
    .name:           _ZN7rocprim17ROCPRIM_400000_NS6detail17trampoline_kernelINS0_14default_configENS1_32segmented_reduce_config_selectorIfEEZNS1_21segmented_reduce_implIS3_PKfPfPKlfN6hipcub16HIPCUB_304000_NS6detail27convert_result_type_wrapperIS8_S9_N2at6native12_GLOBAL__N_19CustomMaxEEEEE10hipError_tPvRmT0_T1_jT2_SQ_T4_T3_P12ihipStream_tbEUlT_E_NS1_11comp_targetILNS1_3genE2ELNS1_11target_archE906ELNS1_3gpuE6ELNS1_3repE0EEENS1_30default_config_static_selectorELNS0_4arch9wavefront6targetE1EEEvSP_
    .private_segment_fixed_size: 0
    .sgpr_count:     27
    .sgpr_spill_count: 0
    .symbol:         _ZN7rocprim17ROCPRIM_400000_NS6detail17trampoline_kernelINS0_14default_configENS1_32segmented_reduce_config_selectorIfEEZNS1_21segmented_reduce_implIS3_PKfPfPKlfN6hipcub16HIPCUB_304000_NS6detail27convert_result_type_wrapperIS8_S9_N2at6native12_GLOBAL__N_19CustomMaxEEEEE10hipError_tPvRmT0_T1_jT2_SQ_T4_T3_P12ihipStream_tbEUlT_E_NS1_11comp_targetILNS1_3genE2ELNS1_11target_archE906ELNS1_3gpuE6ELNS1_3repE0EEENS1_30default_config_static_selectorELNS0_4arch9wavefront6targetE1EEEvSP_.kd
    .uniform_work_group_size: 1
    .uses_dynamic_stack: false
    .vgpr_count:     33
    .vgpr_spill_count: 0
    .wavefront_size: 64
  - .args:
      - .offset:         0
        .size:           48
        .value_kind:     by_value
    .group_segment_fixed_size: 0
    .kernarg_segment_align: 8
    .kernarg_segment_size: 48
    .language:       OpenCL C
    .language_version:
      - 2
      - 0
    .max_flat_workgroup_size: 256
    .name:           _ZN7rocprim17ROCPRIM_400000_NS6detail17trampoline_kernelINS0_14default_configENS1_32segmented_reduce_config_selectorIfEEZNS1_21segmented_reduce_implIS3_PKfPfPKlfN6hipcub16HIPCUB_304000_NS6detail27convert_result_type_wrapperIS8_S9_N2at6native12_GLOBAL__N_19CustomMaxEEEEE10hipError_tPvRmT0_T1_jT2_SQ_T4_T3_P12ihipStream_tbEUlT_E_NS1_11comp_targetILNS1_3genE9ELNS1_11target_archE1100ELNS1_3gpuE3ELNS1_3repE0EEENS1_30default_config_static_selectorELNS0_4arch9wavefront6targetE1EEEvSP_
    .private_segment_fixed_size: 0
    .sgpr_count:     4
    .sgpr_spill_count: 0
    .symbol:         _ZN7rocprim17ROCPRIM_400000_NS6detail17trampoline_kernelINS0_14default_configENS1_32segmented_reduce_config_selectorIfEEZNS1_21segmented_reduce_implIS3_PKfPfPKlfN6hipcub16HIPCUB_304000_NS6detail27convert_result_type_wrapperIS8_S9_N2at6native12_GLOBAL__N_19CustomMaxEEEEE10hipError_tPvRmT0_T1_jT2_SQ_T4_T3_P12ihipStream_tbEUlT_E_NS1_11comp_targetILNS1_3genE9ELNS1_11target_archE1100ELNS1_3gpuE3ELNS1_3repE0EEENS1_30default_config_static_selectorELNS0_4arch9wavefront6targetE1EEEvSP_.kd
    .uniform_work_group_size: 1
    .uses_dynamic_stack: false
    .vgpr_count:     0
    .vgpr_spill_count: 0
    .wavefront_size: 64
  - .args:
      - .offset:         0
        .size:           48
        .value_kind:     by_value
    .group_segment_fixed_size: 0
    .kernarg_segment_align: 8
    .kernarg_segment_size: 48
    .language:       OpenCL C
    .language_version:
      - 2
      - 0
    .max_flat_workgroup_size: 256
    .name:           _ZN7rocprim17ROCPRIM_400000_NS6detail17trampoline_kernelINS0_14default_configENS1_32segmented_reduce_config_selectorIfEEZNS1_21segmented_reduce_implIS3_PKfPfPKlfN6hipcub16HIPCUB_304000_NS6detail27convert_result_type_wrapperIS8_S9_N2at6native12_GLOBAL__N_19CustomMaxEEEEE10hipError_tPvRmT0_T1_jT2_SQ_T4_T3_P12ihipStream_tbEUlT_E_NS1_11comp_targetILNS1_3genE8ELNS1_11target_archE1030ELNS1_3gpuE2ELNS1_3repE0EEENS1_30default_config_static_selectorELNS0_4arch9wavefront6targetE1EEEvSP_
    .private_segment_fixed_size: 0
    .sgpr_count:     4
    .sgpr_spill_count: 0
    .symbol:         _ZN7rocprim17ROCPRIM_400000_NS6detail17trampoline_kernelINS0_14default_configENS1_32segmented_reduce_config_selectorIfEEZNS1_21segmented_reduce_implIS3_PKfPfPKlfN6hipcub16HIPCUB_304000_NS6detail27convert_result_type_wrapperIS8_S9_N2at6native12_GLOBAL__N_19CustomMaxEEEEE10hipError_tPvRmT0_T1_jT2_SQ_T4_T3_P12ihipStream_tbEUlT_E_NS1_11comp_targetILNS1_3genE8ELNS1_11target_archE1030ELNS1_3gpuE2ELNS1_3repE0EEENS1_30default_config_static_selectorELNS0_4arch9wavefront6targetE1EEEvSP_.kd
    .uniform_work_group_size: 1
    .uses_dynamic_stack: false
    .vgpr_count:     0
    .vgpr_spill_count: 0
    .wavefront_size: 64
  - .args:
      - .offset:         0
        .size:           48
        .value_kind:     by_value
    .group_segment_fixed_size: 0
    .kernarg_segment_align: 8
    .kernarg_segment_size: 48
    .language:       OpenCL C
    .language_version:
      - 2
      - 0
    .max_flat_workgroup_size: 256
    .name:           _ZN7rocprim17ROCPRIM_400000_NS6detail17trampoline_kernelINS0_14default_configENS1_32segmented_reduce_config_selectorIfEEZNS1_21segmented_reduce_implIS3_PKfPfPKlfN6hipcub16HIPCUB_304000_NS6detail27convert_result_type_wrapperIS8_S9_N2at6native12_GLOBAL__N_19CustomSumEEEEE10hipError_tPvRmT0_T1_jT2_SQ_T4_T3_P12ihipStream_tbEUlT_E_NS1_11comp_targetILNS1_3genE0ELNS1_11target_archE4294967295ELNS1_3gpuE0ELNS1_3repE0EEENS1_30default_config_static_selectorELNS0_4arch9wavefront6targetE1EEEvSP_
    .private_segment_fixed_size: 0
    .sgpr_count:     4
    .sgpr_spill_count: 0
    .symbol:         _ZN7rocprim17ROCPRIM_400000_NS6detail17trampoline_kernelINS0_14default_configENS1_32segmented_reduce_config_selectorIfEEZNS1_21segmented_reduce_implIS3_PKfPfPKlfN6hipcub16HIPCUB_304000_NS6detail27convert_result_type_wrapperIS8_S9_N2at6native12_GLOBAL__N_19CustomSumEEEEE10hipError_tPvRmT0_T1_jT2_SQ_T4_T3_P12ihipStream_tbEUlT_E_NS1_11comp_targetILNS1_3genE0ELNS1_11target_archE4294967295ELNS1_3gpuE0ELNS1_3repE0EEENS1_30default_config_static_selectorELNS0_4arch9wavefront6targetE1EEEvSP_.kd
    .uniform_work_group_size: 1
    .uses_dynamic_stack: false
    .vgpr_count:     0
    .vgpr_spill_count: 0
    .wavefront_size: 64
  - .args:
      - .offset:         0
        .size:           48
        .value_kind:     by_value
    .group_segment_fixed_size: 0
    .kernarg_segment_align: 8
    .kernarg_segment_size: 48
    .language:       OpenCL C
    .language_version:
      - 2
      - 0
    .max_flat_workgroup_size: 256
    .name:           _ZN7rocprim17ROCPRIM_400000_NS6detail17trampoline_kernelINS0_14default_configENS1_32segmented_reduce_config_selectorIfEEZNS1_21segmented_reduce_implIS3_PKfPfPKlfN6hipcub16HIPCUB_304000_NS6detail27convert_result_type_wrapperIS8_S9_N2at6native12_GLOBAL__N_19CustomSumEEEEE10hipError_tPvRmT0_T1_jT2_SQ_T4_T3_P12ihipStream_tbEUlT_E_NS1_11comp_targetILNS1_3genE5ELNS1_11target_archE942ELNS1_3gpuE9ELNS1_3repE0EEENS1_30default_config_static_selectorELNS0_4arch9wavefront6targetE1EEEvSP_
    .private_segment_fixed_size: 0
    .sgpr_count:     4
    .sgpr_spill_count: 0
    .symbol:         _ZN7rocprim17ROCPRIM_400000_NS6detail17trampoline_kernelINS0_14default_configENS1_32segmented_reduce_config_selectorIfEEZNS1_21segmented_reduce_implIS3_PKfPfPKlfN6hipcub16HIPCUB_304000_NS6detail27convert_result_type_wrapperIS8_S9_N2at6native12_GLOBAL__N_19CustomSumEEEEE10hipError_tPvRmT0_T1_jT2_SQ_T4_T3_P12ihipStream_tbEUlT_E_NS1_11comp_targetILNS1_3genE5ELNS1_11target_archE942ELNS1_3gpuE9ELNS1_3repE0EEENS1_30default_config_static_selectorELNS0_4arch9wavefront6targetE1EEEvSP_.kd
    .uniform_work_group_size: 1
    .uses_dynamic_stack: false
    .vgpr_count:     0
    .vgpr_spill_count: 0
    .wavefront_size: 64
  - .args:
      - .offset:         0
        .size:           48
        .value_kind:     by_value
    .group_segment_fixed_size: 0
    .kernarg_segment_align: 8
    .kernarg_segment_size: 48
    .language:       OpenCL C
    .language_version:
      - 2
      - 0
    .max_flat_workgroup_size: 256
    .name:           _ZN7rocprim17ROCPRIM_400000_NS6detail17trampoline_kernelINS0_14default_configENS1_32segmented_reduce_config_selectorIfEEZNS1_21segmented_reduce_implIS3_PKfPfPKlfN6hipcub16HIPCUB_304000_NS6detail27convert_result_type_wrapperIS8_S9_N2at6native12_GLOBAL__N_19CustomSumEEEEE10hipError_tPvRmT0_T1_jT2_SQ_T4_T3_P12ihipStream_tbEUlT_E_NS1_11comp_targetILNS1_3genE10ELNS1_11target_archE1201ELNS1_3gpuE5ELNS1_3repE0EEENS1_30default_config_static_selectorELNS0_4arch9wavefront6targetE1EEEvSP_
    .private_segment_fixed_size: 0
    .sgpr_count:     4
    .sgpr_spill_count: 0
    .symbol:         _ZN7rocprim17ROCPRIM_400000_NS6detail17trampoline_kernelINS0_14default_configENS1_32segmented_reduce_config_selectorIfEEZNS1_21segmented_reduce_implIS3_PKfPfPKlfN6hipcub16HIPCUB_304000_NS6detail27convert_result_type_wrapperIS8_S9_N2at6native12_GLOBAL__N_19CustomSumEEEEE10hipError_tPvRmT0_T1_jT2_SQ_T4_T3_P12ihipStream_tbEUlT_E_NS1_11comp_targetILNS1_3genE10ELNS1_11target_archE1201ELNS1_3gpuE5ELNS1_3repE0EEENS1_30default_config_static_selectorELNS0_4arch9wavefront6targetE1EEEvSP_.kd
    .uniform_work_group_size: 1
    .uses_dynamic_stack: false
    .vgpr_count:     0
    .vgpr_spill_count: 0
    .wavefront_size: 64
  - .args:
      - .offset:         0
        .size:           48
        .value_kind:     by_value
    .group_segment_fixed_size: 0
    .kernarg_segment_align: 8
    .kernarg_segment_size: 48
    .language:       OpenCL C
    .language_version:
      - 2
      - 0
    .max_flat_workgroup_size: 256
    .name:           _ZN7rocprim17ROCPRIM_400000_NS6detail17trampoline_kernelINS0_14default_configENS1_32segmented_reduce_config_selectorIfEEZNS1_21segmented_reduce_implIS3_PKfPfPKlfN6hipcub16HIPCUB_304000_NS6detail27convert_result_type_wrapperIS8_S9_N2at6native12_GLOBAL__N_19CustomSumEEEEE10hipError_tPvRmT0_T1_jT2_SQ_T4_T3_P12ihipStream_tbEUlT_E_NS1_11comp_targetILNS1_3genE4ELNS1_11target_archE910ELNS1_3gpuE8ELNS1_3repE0EEENS1_30default_config_static_selectorELNS0_4arch9wavefront6targetE1EEEvSP_
    .private_segment_fixed_size: 0
    .sgpr_count:     4
    .sgpr_spill_count: 0
    .symbol:         _ZN7rocprim17ROCPRIM_400000_NS6detail17trampoline_kernelINS0_14default_configENS1_32segmented_reduce_config_selectorIfEEZNS1_21segmented_reduce_implIS3_PKfPfPKlfN6hipcub16HIPCUB_304000_NS6detail27convert_result_type_wrapperIS8_S9_N2at6native12_GLOBAL__N_19CustomSumEEEEE10hipError_tPvRmT0_T1_jT2_SQ_T4_T3_P12ihipStream_tbEUlT_E_NS1_11comp_targetILNS1_3genE4ELNS1_11target_archE910ELNS1_3gpuE8ELNS1_3repE0EEENS1_30default_config_static_selectorELNS0_4arch9wavefront6targetE1EEEvSP_.kd
    .uniform_work_group_size: 1
    .uses_dynamic_stack: false
    .vgpr_count:     0
    .vgpr_spill_count: 0
    .wavefront_size: 64
  - .args:
      - .offset:         0
        .size:           48
        .value_kind:     by_value
    .group_segment_fixed_size: 0
    .kernarg_segment_align: 8
    .kernarg_segment_size: 48
    .language:       OpenCL C
    .language_version:
      - 2
      - 0
    .max_flat_workgroup_size: 256
    .name:           _ZN7rocprim17ROCPRIM_400000_NS6detail17trampoline_kernelINS0_14default_configENS1_32segmented_reduce_config_selectorIfEEZNS1_21segmented_reduce_implIS3_PKfPfPKlfN6hipcub16HIPCUB_304000_NS6detail27convert_result_type_wrapperIS8_S9_N2at6native12_GLOBAL__N_19CustomSumEEEEE10hipError_tPvRmT0_T1_jT2_SQ_T4_T3_P12ihipStream_tbEUlT_E_NS1_11comp_targetILNS1_3genE3ELNS1_11target_archE908ELNS1_3gpuE7ELNS1_3repE0EEENS1_30default_config_static_selectorELNS0_4arch9wavefront6targetE1EEEvSP_
    .private_segment_fixed_size: 0
    .sgpr_count:     4
    .sgpr_spill_count: 0
    .symbol:         _ZN7rocprim17ROCPRIM_400000_NS6detail17trampoline_kernelINS0_14default_configENS1_32segmented_reduce_config_selectorIfEEZNS1_21segmented_reduce_implIS3_PKfPfPKlfN6hipcub16HIPCUB_304000_NS6detail27convert_result_type_wrapperIS8_S9_N2at6native12_GLOBAL__N_19CustomSumEEEEE10hipError_tPvRmT0_T1_jT2_SQ_T4_T3_P12ihipStream_tbEUlT_E_NS1_11comp_targetILNS1_3genE3ELNS1_11target_archE908ELNS1_3gpuE7ELNS1_3repE0EEENS1_30default_config_static_selectorELNS0_4arch9wavefront6targetE1EEEvSP_.kd
    .uniform_work_group_size: 1
    .uses_dynamic_stack: false
    .vgpr_count:     0
    .vgpr_spill_count: 0
    .wavefront_size: 64
  - .args:
      - .offset:         0
        .size:           48
        .value_kind:     by_value
    .group_segment_fixed_size: 16
    .kernarg_segment_align: 8
    .kernarg_segment_size: 48
    .language:       OpenCL C
    .language_version:
      - 2
      - 0
    .max_flat_workgroup_size: 256
    .name:           _ZN7rocprim17ROCPRIM_400000_NS6detail17trampoline_kernelINS0_14default_configENS1_32segmented_reduce_config_selectorIfEEZNS1_21segmented_reduce_implIS3_PKfPfPKlfN6hipcub16HIPCUB_304000_NS6detail27convert_result_type_wrapperIS8_S9_N2at6native12_GLOBAL__N_19CustomSumEEEEE10hipError_tPvRmT0_T1_jT2_SQ_T4_T3_P12ihipStream_tbEUlT_E_NS1_11comp_targetILNS1_3genE2ELNS1_11target_archE906ELNS1_3gpuE6ELNS1_3repE0EEENS1_30default_config_static_selectorELNS0_4arch9wavefront6targetE1EEEvSP_
    .private_segment_fixed_size: 0
    .sgpr_count:     54
    .sgpr_spill_count: 0
    .symbol:         _ZN7rocprim17ROCPRIM_400000_NS6detail17trampoline_kernelINS0_14default_configENS1_32segmented_reduce_config_selectorIfEEZNS1_21segmented_reduce_implIS3_PKfPfPKlfN6hipcub16HIPCUB_304000_NS6detail27convert_result_type_wrapperIS8_S9_N2at6native12_GLOBAL__N_19CustomSumEEEEE10hipError_tPvRmT0_T1_jT2_SQ_T4_T3_P12ihipStream_tbEUlT_E_NS1_11comp_targetILNS1_3genE2ELNS1_11target_archE906ELNS1_3gpuE6ELNS1_3repE0EEENS1_30default_config_static_selectorELNS0_4arch9wavefront6targetE1EEEvSP_.kd
    .uniform_work_group_size: 1
    .uses_dynamic_stack: false
    .vgpr_count:     25
    .vgpr_spill_count: 0
    .wavefront_size: 64
  - .args:
      - .offset:         0
        .size:           48
        .value_kind:     by_value
    .group_segment_fixed_size: 0
    .kernarg_segment_align: 8
    .kernarg_segment_size: 48
    .language:       OpenCL C
    .language_version:
      - 2
      - 0
    .max_flat_workgroup_size: 256
    .name:           _ZN7rocprim17ROCPRIM_400000_NS6detail17trampoline_kernelINS0_14default_configENS1_32segmented_reduce_config_selectorIfEEZNS1_21segmented_reduce_implIS3_PKfPfPKlfN6hipcub16HIPCUB_304000_NS6detail27convert_result_type_wrapperIS8_S9_N2at6native12_GLOBAL__N_19CustomSumEEEEE10hipError_tPvRmT0_T1_jT2_SQ_T4_T3_P12ihipStream_tbEUlT_E_NS1_11comp_targetILNS1_3genE9ELNS1_11target_archE1100ELNS1_3gpuE3ELNS1_3repE0EEENS1_30default_config_static_selectorELNS0_4arch9wavefront6targetE1EEEvSP_
    .private_segment_fixed_size: 0
    .sgpr_count:     4
    .sgpr_spill_count: 0
    .symbol:         _ZN7rocprim17ROCPRIM_400000_NS6detail17trampoline_kernelINS0_14default_configENS1_32segmented_reduce_config_selectorIfEEZNS1_21segmented_reduce_implIS3_PKfPfPKlfN6hipcub16HIPCUB_304000_NS6detail27convert_result_type_wrapperIS8_S9_N2at6native12_GLOBAL__N_19CustomSumEEEEE10hipError_tPvRmT0_T1_jT2_SQ_T4_T3_P12ihipStream_tbEUlT_E_NS1_11comp_targetILNS1_3genE9ELNS1_11target_archE1100ELNS1_3gpuE3ELNS1_3repE0EEENS1_30default_config_static_selectorELNS0_4arch9wavefront6targetE1EEEvSP_.kd
    .uniform_work_group_size: 1
    .uses_dynamic_stack: false
    .vgpr_count:     0
    .vgpr_spill_count: 0
    .wavefront_size: 64
  - .args:
      - .offset:         0
        .size:           48
        .value_kind:     by_value
    .group_segment_fixed_size: 0
    .kernarg_segment_align: 8
    .kernarg_segment_size: 48
    .language:       OpenCL C
    .language_version:
      - 2
      - 0
    .max_flat_workgroup_size: 256
    .name:           _ZN7rocprim17ROCPRIM_400000_NS6detail17trampoline_kernelINS0_14default_configENS1_32segmented_reduce_config_selectorIfEEZNS1_21segmented_reduce_implIS3_PKfPfPKlfN6hipcub16HIPCUB_304000_NS6detail27convert_result_type_wrapperIS8_S9_N2at6native12_GLOBAL__N_19CustomSumEEEEE10hipError_tPvRmT0_T1_jT2_SQ_T4_T3_P12ihipStream_tbEUlT_E_NS1_11comp_targetILNS1_3genE8ELNS1_11target_archE1030ELNS1_3gpuE2ELNS1_3repE0EEENS1_30default_config_static_selectorELNS0_4arch9wavefront6targetE1EEEvSP_
    .private_segment_fixed_size: 0
    .sgpr_count:     4
    .sgpr_spill_count: 0
    .symbol:         _ZN7rocprim17ROCPRIM_400000_NS6detail17trampoline_kernelINS0_14default_configENS1_32segmented_reduce_config_selectorIfEEZNS1_21segmented_reduce_implIS3_PKfPfPKlfN6hipcub16HIPCUB_304000_NS6detail27convert_result_type_wrapperIS8_S9_N2at6native12_GLOBAL__N_19CustomSumEEEEE10hipError_tPvRmT0_T1_jT2_SQ_T4_T3_P12ihipStream_tbEUlT_E_NS1_11comp_targetILNS1_3genE8ELNS1_11target_archE1030ELNS1_3gpuE2ELNS1_3repE0EEENS1_30default_config_static_selectorELNS0_4arch9wavefront6targetE1EEEvSP_.kd
    .uniform_work_group_size: 1
    .uses_dynamic_stack: false
    .vgpr_count:     0
    .vgpr_spill_count: 0
    .wavefront_size: 64
  - .args:
      - .address_space:  global
        .offset:         0
        .size:           8
        .value_kind:     global_buffer
      - .address_space:  global
        .offset:         8
        .size:           8
        .value_kind:     global_buffer
      - .offset:         16
        .size:           8
        .value_kind:     by_value
      - .offset:         24
        .size:           1
        .value_kind:     by_value
      - .offset:         28
        .size:           4
        .value_kind:     by_value
      - .offset:         32
        .size:           4
        .value_kind:     hidden_block_count_x
      - .offset:         36
        .size:           4
        .value_kind:     hidden_block_count_y
      - .offset:         40
        .size:           4
        .value_kind:     hidden_block_count_z
      - .offset:         44
        .size:           2
        .value_kind:     hidden_group_size_x
      - .offset:         46
        .size:           2
        .value_kind:     hidden_group_size_y
      - .offset:         48
        .size:           2
        .value_kind:     hidden_group_size_z
      - .offset:         50
        .size:           2
        .value_kind:     hidden_remainder_x
      - .offset:         52
        .size:           2
        .value_kind:     hidden_remainder_y
      - .offset:         54
        .size:           2
        .value_kind:     hidden_remainder_z
      - .offset:         72
        .size:           8
        .value_kind:     hidden_global_offset_x
      - .offset:         80
        .size:           8
        .value_kind:     hidden_global_offset_y
      - .offset:         88
        .size:           8
        .value_kind:     hidden_global_offset_z
      - .offset:         96
        .size:           2
        .value_kind:     hidden_grid_dims
    .group_segment_fixed_size: 0
    .kernarg_segment_align: 8
    .kernarg_segment_size: 288
    .language:       OpenCL C
    .language_version:
      - 2
      - 0
    .max_flat_workgroup_size: 1024
    .name:           _ZN2at6native12_GLOBAL__N_119post_sum_div_kernelIflEEvPT_PKT0_lbS3_
    .private_segment_fixed_size: 0
    .sgpr_count:     30
    .sgpr_spill_count: 0
    .symbol:         _ZN2at6native12_GLOBAL__N_119post_sum_div_kernelIflEEvPT_PKT0_lbS3_.kd
    .uniform_work_group_size: 1
    .uses_dynamic_stack: false
    .vgpr_count:     15
    .vgpr_spill_count: 0
    .wavefront_size: 64
  - .args:
      - .offset:         0
        .size:           48
        .value_kind:     by_value
    .group_segment_fixed_size: 0
    .kernarg_segment_align: 8
    .kernarg_segment_size: 48
    .language:       OpenCL C
    .language_version:
      - 2
      - 0
    .max_flat_workgroup_size: 256
    .name:           _ZN7rocprim17ROCPRIM_400000_NS6detail17trampoline_kernelINS0_14default_configENS1_32segmented_reduce_config_selectorIfEEZNS1_21segmented_reduce_implIS3_PKfPfPKlfN6hipcub16HIPCUB_304000_NS6detail27convert_result_type_wrapperIS8_S9_N2at6native12_GLOBAL__N_19CustomMinEEEEE10hipError_tPvRmT0_T1_jT2_SQ_T4_T3_P12ihipStream_tbEUlT_E_NS1_11comp_targetILNS1_3genE0ELNS1_11target_archE4294967295ELNS1_3gpuE0ELNS1_3repE0EEENS1_30default_config_static_selectorELNS0_4arch9wavefront6targetE1EEEvSP_
    .private_segment_fixed_size: 0
    .sgpr_count:     4
    .sgpr_spill_count: 0
    .symbol:         _ZN7rocprim17ROCPRIM_400000_NS6detail17trampoline_kernelINS0_14default_configENS1_32segmented_reduce_config_selectorIfEEZNS1_21segmented_reduce_implIS3_PKfPfPKlfN6hipcub16HIPCUB_304000_NS6detail27convert_result_type_wrapperIS8_S9_N2at6native12_GLOBAL__N_19CustomMinEEEEE10hipError_tPvRmT0_T1_jT2_SQ_T4_T3_P12ihipStream_tbEUlT_E_NS1_11comp_targetILNS1_3genE0ELNS1_11target_archE4294967295ELNS1_3gpuE0ELNS1_3repE0EEENS1_30default_config_static_selectorELNS0_4arch9wavefront6targetE1EEEvSP_.kd
    .uniform_work_group_size: 1
    .uses_dynamic_stack: false
    .vgpr_count:     0
    .vgpr_spill_count: 0
    .wavefront_size: 64
  - .args:
      - .offset:         0
        .size:           48
        .value_kind:     by_value
    .group_segment_fixed_size: 0
    .kernarg_segment_align: 8
    .kernarg_segment_size: 48
    .language:       OpenCL C
    .language_version:
      - 2
      - 0
    .max_flat_workgroup_size: 256
    .name:           _ZN7rocprim17ROCPRIM_400000_NS6detail17trampoline_kernelINS0_14default_configENS1_32segmented_reduce_config_selectorIfEEZNS1_21segmented_reduce_implIS3_PKfPfPKlfN6hipcub16HIPCUB_304000_NS6detail27convert_result_type_wrapperIS8_S9_N2at6native12_GLOBAL__N_19CustomMinEEEEE10hipError_tPvRmT0_T1_jT2_SQ_T4_T3_P12ihipStream_tbEUlT_E_NS1_11comp_targetILNS1_3genE5ELNS1_11target_archE942ELNS1_3gpuE9ELNS1_3repE0EEENS1_30default_config_static_selectorELNS0_4arch9wavefront6targetE1EEEvSP_
    .private_segment_fixed_size: 0
    .sgpr_count:     4
    .sgpr_spill_count: 0
    .symbol:         _ZN7rocprim17ROCPRIM_400000_NS6detail17trampoline_kernelINS0_14default_configENS1_32segmented_reduce_config_selectorIfEEZNS1_21segmented_reduce_implIS3_PKfPfPKlfN6hipcub16HIPCUB_304000_NS6detail27convert_result_type_wrapperIS8_S9_N2at6native12_GLOBAL__N_19CustomMinEEEEE10hipError_tPvRmT0_T1_jT2_SQ_T4_T3_P12ihipStream_tbEUlT_E_NS1_11comp_targetILNS1_3genE5ELNS1_11target_archE942ELNS1_3gpuE9ELNS1_3repE0EEENS1_30default_config_static_selectorELNS0_4arch9wavefront6targetE1EEEvSP_.kd
    .uniform_work_group_size: 1
    .uses_dynamic_stack: false
    .vgpr_count:     0
    .vgpr_spill_count: 0
    .wavefront_size: 64
  - .args:
      - .offset:         0
        .size:           48
        .value_kind:     by_value
    .group_segment_fixed_size: 0
    .kernarg_segment_align: 8
    .kernarg_segment_size: 48
    .language:       OpenCL C
    .language_version:
      - 2
      - 0
    .max_flat_workgroup_size: 256
    .name:           _ZN7rocprim17ROCPRIM_400000_NS6detail17trampoline_kernelINS0_14default_configENS1_32segmented_reduce_config_selectorIfEEZNS1_21segmented_reduce_implIS3_PKfPfPKlfN6hipcub16HIPCUB_304000_NS6detail27convert_result_type_wrapperIS8_S9_N2at6native12_GLOBAL__N_19CustomMinEEEEE10hipError_tPvRmT0_T1_jT2_SQ_T4_T3_P12ihipStream_tbEUlT_E_NS1_11comp_targetILNS1_3genE10ELNS1_11target_archE1201ELNS1_3gpuE5ELNS1_3repE0EEENS1_30default_config_static_selectorELNS0_4arch9wavefront6targetE1EEEvSP_
    .private_segment_fixed_size: 0
    .sgpr_count:     4
    .sgpr_spill_count: 0
    .symbol:         _ZN7rocprim17ROCPRIM_400000_NS6detail17trampoline_kernelINS0_14default_configENS1_32segmented_reduce_config_selectorIfEEZNS1_21segmented_reduce_implIS3_PKfPfPKlfN6hipcub16HIPCUB_304000_NS6detail27convert_result_type_wrapperIS8_S9_N2at6native12_GLOBAL__N_19CustomMinEEEEE10hipError_tPvRmT0_T1_jT2_SQ_T4_T3_P12ihipStream_tbEUlT_E_NS1_11comp_targetILNS1_3genE10ELNS1_11target_archE1201ELNS1_3gpuE5ELNS1_3repE0EEENS1_30default_config_static_selectorELNS0_4arch9wavefront6targetE1EEEvSP_.kd
    .uniform_work_group_size: 1
    .uses_dynamic_stack: false
    .vgpr_count:     0
    .vgpr_spill_count: 0
    .wavefront_size: 64
  - .args:
      - .offset:         0
        .size:           48
        .value_kind:     by_value
    .group_segment_fixed_size: 0
    .kernarg_segment_align: 8
    .kernarg_segment_size: 48
    .language:       OpenCL C
    .language_version:
      - 2
      - 0
    .max_flat_workgroup_size: 256
    .name:           _ZN7rocprim17ROCPRIM_400000_NS6detail17trampoline_kernelINS0_14default_configENS1_32segmented_reduce_config_selectorIfEEZNS1_21segmented_reduce_implIS3_PKfPfPKlfN6hipcub16HIPCUB_304000_NS6detail27convert_result_type_wrapperIS8_S9_N2at6native12_GLOBAL__N_19CustomMinEEEEE10hipError_tPvRmT0_T1_jT2_SQ_T4_T3_P12ihipStream_tbEUlT_E_NS1_11comp_targetILNS1_3genE4ELNS1_11target_archE910ELNS1_3gpuE8ELNS1_3repE0EEENS1_30default_config_static_selectorELNS0_4arch9wavefront6targetE1EEEvSP_
    .private_segment_fixed_size: 0
    .sgpr_count:     4
    .sgpr_spill_count: 0
    .symbol:         _ZN7rocprim17ROCPRIM_400000_NS6detail17trampoline_kernelINS0_14default_configENS1_32segmented_reduce_config_selectorIfEEZNS1_21segmented_reduce_implIS3_PKfPfPKlfN6hipcub16HIPCUB_304000_NS6detail27convert_result_type_wrapperIS8_S9_N2at6native12_GLOBAL__N_19CustomMinEEEEE10hipError_tPvRmT0_T1_jT2_SQ_T4_T3_P12ihipStream_tbEUlT_E_NS1_11comp_targetILNS1_3genE4ELNS1_11target_archE910ELNS1_3gpuE8ELNS1_3repE0EEENS1_30default_config_static_selectorELNS0_4arch9wavefront6targetE1EEEvSP_.kd
    .uniform_work_group_size: 1
    .uses_dynamic_stack: false
    .vgpr_count:     0
    .vgpr_spill_count: 0
    .wavefront_size: 64
  - .args:
      - .offset:         0
        .size:           48
        .value_kind:     by_value
    .group_segment_fixed_size: 0
    .kernarg_segment_align: 8
    .kernarg_segment_size: 48
    .language:       OpenCL C
    .language_version:
      - 2
      - 0
    .max_flat_workgroup_size: 256
    .name:           _ZN7rocprim17ROCPRIM_400000_NS6detail17trampoline_kernelINS0_14default_configENS1_32segmented_reduce_config_selectorIfEEZNS1_21segmented_reduce_implIS3_PKfPfPKlfN6hipcub16HIPCUB_304000_NS6detail27convert_result_type_wrapperIS8_S9_N2at6native12_GLOBAL__N_19CustomMinEEEEE10hipError_tPvRmT0_T1_jT2_SQ_T4_T3_P12ihipStream_tbEUlT_E_NS1_11comp_targetILNS1_3genE3ELNS1_11target_archE908ELNS1_3gpuE7ELNS1_3repE0EEENS1_30default_config_static_selectorELNS0_4arch9wavefront6targetE1EEEvSP_
    .private_segment_fixed_size: 0
    .sgpr_count:     4
    .sgpr_spill_count: 0
    .symbol:         _ZN7rocprim17ROCPRIM_400000_NS6detail17trampoline_kernelINS0_14default_configENS1_32segmented_reduce_config_selectorIfEEZNS1_21segmented_reduce_implIS3_PKfPfPKlfN6hipcub16HIPCUB_304000_NS6detail27convert_result_type_wrapperIS8_S9_N2at6native12_GLOBAL__N_19CustomMinEEEEE10hipError_tPvRmT0_T1_jT2_SQ_T4_T3_P12ihipStream_tbEUlT_E_NS1_11comp_targetILNS1_3genE3ELNS1_11target_archE908ELNS1_3gpuE7ELNS1_3repE0EEENS1_30default_config_static_selectorELNS0_4arch9wavefront6targetE1EEEvSP_.kd
    .uniform_work_group_size: 1
    .uses_dynamic_stack: false
    .vgpr_count:     0
    .vgpr_spill_count: 0
    .wavefront_size: 64
  - .args:
      - .offset:         0
        .size:           48
        .value_kind:     by_value
    .group_segment_fixed_size: 16
    .kernarg_segment_align: 8
    .kernarg_segment_size: 48
    .language:       OpenCL C
    .language_version:
      - 2
      - 0
    .max_flat_workgroup_size: 256
    .name:           _ZN7rocprim17ROCPRIM_400000_NS6detail17trampoline_kernelINS0_14default_configENS1_32segmented_reduce_config_selectorIfEEZNS1_21segmented_reduce_implIS3_PKfPfPKlfN6hipcub16HIPCUB_304000_NS6detail27convert_result_type_wrapperIS8_S9_N2at6native12_GLOBAL__N_19CustomMinEEEEE10hipError_tPvRmT0_T1_jT2_SQ_T4_T3_P12ihipStream_tbEUlT_E_NS1_11comp_targetILNS1_3genE2ELNS1_11target_archE906ELNS1_3gpuE6ELNS1_3repE0EEENS1_30default_config_static_selectorELNS0_4arch9wavefront6targetE1EEEvSP_
    .private_segment_fixed_size: 0
    .sgpr_count:     27
    .sgpr_spill_count: 0
    .symbol:         _ZN7rocprim17ROCPRIM_400000_NS6detail17trampoline_kernelINS0_14default_configENS1_32segmented_reduce_config_selectorIfEEZNS1_21segmented_reduce_implIS3_PKfPfPKlfN6hipcub16HIPCUB_304000_NS6detail27convert_result_type_wrapperIS8_S9_N2at6native12_GLOBAL__N_19CustomMinEEEEE10hipError_tPvRmT0_T1_jT2_SQ_T4_T3_P12ihipStream_tbEUlT_E_NS1_11comp_targetILNS1_3genE2ELNS1_11target_archE906ELNS1_3gpuE6ELNS1_3repE0EEENS1_30default_config_static_selectorELNS0_4arch9wavefront6targetE1EEEvSP_.kd
    .uniform_work_group_size: 1
    .uses_dynamic_stack: false
    .vgpr_count:     33
    .vgpr_spill_count: 0
    .wavefront_size: 64
  - .args:
      - .offset:         0
        .size:           48
        .value_kind:     by_value
    .group_segment_fixed_size: 0
    .kernarg_segment_align: 8
    .kernarg_segment_size: 48
    .language:       OpenCL C
    .language_version:
      - 2
      - 0
    .max_flat_workgroup_size: 256
    .name:           _ZN7rocprim17ROCPRIM_400000_NS6detail17trampoline_kernelINS0_14default_configENS1_32segmented_reduce_config_selectorIfEEZNS1_21segmented_reduce_implIS3_PKfPfPKlfN6hipcub16HIPCUB_304000_NS6detail27convert_result_type_wrapperIS8_S9_N2at6native12_GLOBAL__N_19CustomMinEEEEE10hipError_tPvRmT0_T1_jT2_SQ_T4_T3_P12ihipStream_tbEUlT_E_NS1_11comp_targetILNS1_3genE9ELNS1_11target_archE1100ELNS1_3gpuE3ELNS1_3repE0EEENS1_30default_config_static_selectorELNS0_4arch9wavefront6targetE1EEEvSP_
    .private_segment_fixed_size: 0
    .sgpr_count:     4
    .sgpr_spill_count: 0
    .symbol:         _ZN7rocprim17ROCPRIM_400000_NS6detail17trampoline_kernelINS0_14default_configENS1_32segmented_reduce_config_selectorIfEEZNS1_21segmented_reduce_implIS3_PKfPfPKlfN6hipcub16HIPCUB_304000_NS6detail27convert_result_type_wrapperIS8_S9_N2at6native12_GLOBAL__N_19CustomMinEEEEE10hipError_tPvRmT0_T1_jT2_SQ_T4_T3_P12ihipStream_tbEUlT_E_NS1_11comp_targetILNS1_3genE9ELNS1_11target_archE1100ELNS1_3gpuE3ELNS1_3repE0EEENS1_30default_config_static_selectorELNS0_4arch9wavefront6targetE1EEEvSP_.kd
    .uniform_work_group_size: 1
    .uses_dynamic_stack: false
    .vgpr_count:     0
    .vgpr_spill_count: 0
    .wavefront_size: 64
  - .args:
      - .offset:         0
        .size:           48
        .value_kind:     by_value
    .group_segment_fixed_size: 0
    .kernarg_segment_align: 8
    .kernarg_segment_size: 48
    .language:       OpenCL C
    .language_version:
      - 2
      - 0
    .max_flat_workgroup_size: 256
    .name:           _ZN7rocprim17ROCPRIM_400000_NS6detail17trampoline_kernelINS0_14default_configENS1_32segmented_reduce_config_selectorIfEEZNS1_21segmented_reduce_implIS3_PKfPfPKlfN6hipcub16HIPCUB_304000_NS6detail27convert_result_type_wrapperIS8_S9_N2at6native12_GLOBAL__N_19CustomMinEEEEE10hipError_tPvRmT0_T1_jT2_SQ_T4_T3_P12ihipStream_tbEUlT_E_NS1_11comp_targetILNS1_3genE8ELNS1_11target_archE1030ELNS1_3gpuE2ELNS1_3repE0EEENS1_30default_config_static_selectorELNS0_4arch9wavefront6targetE1EEEvSP_
    .private_segment_fixed_size: 0
    .sgpr_count:     4
    .sgpr_spill_count: 0
    .symbol:         _ZN7rocprim17ROCPRIM_400000_NS6detail17trampoline_kernelINS0_14default_configENS1_32segmented_reduce_config_selectorIfEEZNS1_21segmented_reduce_implIS3_PKfPfPKlfN6hipcub16HIPCUB_304000_NS6detail27convert_result_type_wrapperIS8_S9_N2at6native12_GLOBAL__N_19CustomMinEEEEE10hipError_tPvRmT0_T1_jT2_SQ_T4_T3_P12ihipStream_tbEUlT_E_NS1_11comp_targetILNS1_3genE8ELNS1_11target_archE1030ELNS1_3gpuE2ELNS1_3repE0EEENS1_30default_config_static_selectorELNS0_4arch9wavefront6targetE1EEEvSP_.kd
    .uniform_work_group_size: 1
    .uses_dynamic_stack: false
    .vgpr_count:     0
    .vgpr_spill_count: 0
    .wavefront_size: 64
  - .args:
      - .offset:         0
        .size:           48
        .value_kind:     by_value
    .group_segment_fixed_size: 0
    .kernarg_segment_align: 8
    .kernarg_segment_size: 48
    .language:       OpenCL C
    .language_version:
      - 2
      - 0
    .max_flat_workgroup_size: 256
    .name:           _ZN7rocprim17ROCPRIM_400000_NS6detail17trampoline_kernelINS0_14default_configENS1_32segmented_reduce_config_selectorIfEEZNS1_21segmented_reduce_implIS3_PKfPfPKlfN6hipcub16HIPCUB_304000_NS6detail27convert_result_type_wrapperIS8_S9_N2at6native12_GLOBAL__N_110CustomProdEEEEE10hipError_tPvRmT0_T1_jT2_SQ_T4_T3_P12ihipStream_tbEUlT_E_NS1_11comp_targetILNS1_3genE0ELNS1_11target_archE4294967295ELNS1_3gpuE0ELNS1_3repE0EEENS1_30default_config_static_selectorELNS0_4arch9wavefront6targetE1EEEvSP_
    .private_segment_fixed_size: 0
    .sgpr_count:     4
    .sgpr_spill_count: 0
    .symbol:         _ZN7rocprim17ROCPRIM_400000_NS6detail17trampoline_kernelINS0_14default_configENS1_32segmented_reduce_config_selectorIfEEZNS1_21segmented_reduce_implIS3_PKfPfPKlfN6hipcub16HIPCUB_304000_NS6detail27convert_result_type_wrapperIS8_S9_N2at6native12_GLOBAL__N_110CustomProdEEEEE10hipError_tPvRmT0_T1_jT2_SQ_T4_T3_P12ihipStream_tbEUlT_E_NS1_11comp_targetILNS1_3genE0ELNS1_11target_archE4294967295ELNS1_3gpuE0ELNS1_3repE0EEENS1_30default_config_static_selectorELNS0_4arch9wavefront6targetE1EEEvSP_.kd
    .uniform_work_group_size: 1
    .uses_dynamic_stack: false
    .vgpr_count:     0
    .vgpr_spill_count: 0
    .wavefront_size: 64
  - .args:
      - .offset:         0
        .size:           48
        .value_kind:     by_value
    .group_segment_fixed_size: 0
    .kernarg_segment_align: 8
    .kernarg_segment_size: 48
    .language:       OpenCL C
    .language_version:
      - 2
      - 0
    .max_flat_workgroup_size: 256
    .name:           _ZN7rocprim17ROCPRIM_400000_NS6detail17trampoline_kernelINS0_14default_configENS1_32segmented_reduce_config_selectorIfEEZNS1_21segmented_reduce_implIS3_PKfPfPKlfN6hipcub16HIPCUB_304000_NS6detail27convert_result_type_wrapperIS8_S9_N2at6native12_GLOBAL__N_110CustomProdEEEEE10hipError_tPvRmT0_T1_jT2_SQ_T4_T3_P12ihipStream_tbEUlT_E_NS1_11comp_targetILNS1_3genE5ELNS1_11target_archE942ELNS1_3gpuE9ELNS1_3repE0EEENS1_30default_config_static_selectorELNS0_4arch9wavefront6targetE1EEEvSP_
    .private_segment_fixed_size: 0
    .sgpr_count:     4
    .sgpr_spill_count: 0
    .symbol:         _ZN7rocprim17ROCPRIM_400000_NS6detail17trampoline_kernelINS0_14default_configENS1_32segmented_reduce_config_selectorIfEEZNS1_21segmented_reduce_implIS3_PKfPfPKlfN6hipcub16HIPCUB_304000_NS6detail27convert_result_type_wrapperIS8_S9_N2at6native12_GLOBAL__N_110CustomProdEEEEE10hipError_tPvRmT0_T1_jT2_SQ_T4_T3_P12ihipStream_tbEUlT_E_NS1_11comp_targetILNS1_3genE5ELNS1_11target_archE942ELNS1_3gpuE9ELNS1_3repE0EEENS1_30default_config_static_selectorELNS0_4arch9wavefront6targetE1EEEvSP_.kd
    .uniform_work_group_size: 1
    .uses_dynamic_stack: false
    .vgpr_count:     0
    .vgpr_spill_count: 0
    .wavefront_size: 64
  - .args:
      - .offset:         0
        .size:           48
        .value_kind:     by_value
    .group_segment_fixed_size: 0
    .kernarg_segment_align: 8
    .kernarg_segment_size: 48
    .language:       OpenCL C
    .language_version:
      - 2
      - 0
    .max_flat_workgroup_size: 256
    .name:           _ZN7rocprim17ROCPRIM_400000_NS6detail17trampoline_kernelINS0_14default_configENS1_32segmented_reduce_config_selectorIfEEZNS1_21segmented_reduce_implIS3_PKfPfPKlfN6hipcub16HIPCUB_304000_NS6detail27convert_result_type_wrapperIS8_S9_N2at6native12_GLOBAL__N_110CustomProdEEEEE10hipError_tPvRmT0_T1_jT2_SQ_T4_T3_P12ihipStream_tbEUlT_E_NS1_11comp_targetILNS1_3genE10ELNS1_11target_archE1201ELNS1_3gpuE5ELNS1_3repE0EEENS1_30default_config_static_selectorELNS0_4arch9wavefront6targetE1EEEvSP_
    .private_segment_fixed_size: 0
    .sgpr_count:     4
    .sgpr_spill_count: 0
    .symbol:         _ZN7rocprim17ROCPRIM_400000_NS6detail17trampoline_kernelINS0_14default_configENS1_32segmented_reduce_config_selectorIfEEZNS1_21segmented_reduce_implIS3_PKfPfPKlfN6hipcub16HIPCUB_304000_NS6detail27convert_result_type_wrapperIS8_S9_N2at6native12_GLOBAL__N_110CustomProdEEEEE10hipError_tPvRmT0_T1_jT2_SQ_T4_T3_P12ihipStream_tbEUlT_E_NS1_11comp_targetILNS1_3genE10ELNS1_11target_archE1201ELNS1_3gpuE5ELNS1_3repE0EEENS1_30default_config_static_selectorELNS0_4arch9wavefront6targetE1EEEvSP_.kd
    .uniform_work_group_size: 1
    .uses_dynamic_stack: false
    .vgpr_count:     0
    .vgpr_spill_count: 0
    .wavefront_size: 64
  - .args:
      - .offset:         0
        .size:           48
        .value_kind:     by_value
    .group_segment_fixed_size: 0
    .kernarg_segment_align: 8
    .kernarg_segment_size: 48
    .language:       OpenCL C
    .language_version:
      - 2
      - 0
    .max_flat_workgroup_size: 256
    .name:           _ZN7rocprim17ROCPRIM_400000_NS6detail17trampoline_kernelINS0_14default_configENS1_32segmented_reduce_config_selectorIfEEZNS1_21segmented_reduce_implIS3_PKfPfPKlfN6hipcub16HIPCUB_304000_NS6detail27convert_result_type_wrapperIS8_S9_N2at6native12_GLOBAL__N_110CustomProdEEEEE10hipError_tPvRmT0_T1_jT2_SQ_T4_T3_P12ihipStream_tbEUlT_E_NS1_11comp_targetILNS1_3genE4ELNS1_11target_archE910ELNS1_3gpuE8ELNS1_3repE0EEENS1_30default_config_static_selectorELNS0_4arch9wavefront6targetE1EEEvSP_
    .private_segment_fixed_size: 0
    .sgpr_count:     4
    .sgpr_spill_count: 0
    .symbol:         _ZN7rocprim17ROCPRIM_400000_NS6detail17trampoline_kernelINS0_14default_configENS1_32segmented_reduce_config_selectorIfEEZNS1_21segmented_reduce_implIS3_PKfPfPKlfN6hipcub16HIPCUB_304000_NS6detail27convert_result_type_wrapperIS8_S9_N2at6native12_GLOBAL__N_110CustomProdEEEEE10hipError_tPvRmT0_T1_jT2_SQ_T4_T3_P12ihipStream_tbEUlT_E_NS1_11comp_targetILNS1_3genE4ELNS1_11target_archE910ELNS1_3gpuE8ELNS1_3repE0EEENS1_30default_config_static_selectorELNS0_4arch9wavefront6targetE1EEEvSP_.kd
    .uniform_work_group_size: 1
    .uses_dynamic_stack: false
    .vgpr_count:     0
    .vgpr_spill_count: 0
    .wavefront_size: 64
  - .args:
      - .offset:         0
        .size:           48
        .value_kind:     by_value
    .group_segment_fixed_size: 0
    .kernarg_segment_align: 8
    .kernarg_segment_size: 48
    .language:       OpenCL C
    .language_version:
      - 2
      - 0
    .max_flat_workgroup_size: 256
    .name:           _ZN7rocprim17ROCPRIM_400000_NS6detail17trampoline_kernelINS0_14default_configENS1_32segmented_reduce_config_selectorIfEEZNS1_21segmented_reduce_implIS3_PKfPfPKlfN6hipcub16HIPCUB_304000_NS6detail27convert_result_type_wrapperIS8_S9_N2at6native12_GLOBAL__N_110CustomProdEEEEE10hipError_tPvRmT0_T1_jT2_SQ_T4_T3_P12ihipStream_tbEUlT_E_NS1_11comp_targetILNS1_3genE3ELNS1_11target_archE908ELNS1_3gpuE7ELNS1_3repE0EEENS1_30default_config_static_selectorELNS0_4arch9wavefront6targetE1EEEvSP_
    .private_segment_fixed_size: 0
    .sgpr_count:     4
    .sgpr_spill_count: 0
    .symbol:         _ZN7rocprim17ROCPRIM_400000_NS6detail17trampoline_kernelINS0_14default_configENS1_32segmented_reduce_config_selectorIfEEZNS1_21segmented_reduce_implIS3_PKfPfPKlfN6hipcub16HIPCUB_304000_NS6detail27convert_result_type_wrapperIS8_S9_N2at6native12_GLOBAL__N_110CustomProdEEEEE10hipError_tPvRmT0_T1_jT2_SQ_T4_T3_P12ihipStream_tbEUlT_E_NS1_11comp_targetILNS1_3genE3ELNS1_11target_archE908ELNS1_3gpuE7ELNS1_3repE0EEENS1_30default_config_static_selectorELNS0_4arch9wavefront6targetE1EEEvSP_.kd
    .uniform_work_group_size: 1
    .uses_dynamic_stack: false
    .vgpr_count:     0
    .vgpr_spill_count: 0
    .wavefront_size: 64
  - .args:
      - .offset:         0
        .size:           48
        .value_kind:     by_value
    .group_segment_fixed_size: 16
    .kernarg_segment_align: 8
    .kernarg_segment_size: 48
    .language:       OpenCL C
    .language_version:
      - 2
      - 0
    .max_flat_workgroup_size: 256
    .name:           _ZN7rocprim17ROCPRIM_400000_NS6detail17trampoline_kernelINS0_14default_configENS1_32segmented_reduce_config_selectorIfEEZNS1_21segmented_reduce_implIS3_PKfPfPKlfN6hipcub16HIPCUB_304000_NS6detail27convert_result_type_wrapperIS8_S9_N2at6native12_GLOBAL__N_110CustomProdEEEEE10hipError_tPvRmT0_T1_jT2_SQ_T4_T3_P12ihipStream_tbEUlT_E_NS1_11comp_targetILNS1_3genE2ELNS1_11target_archE906ELNS1_3gpuE6ELNS1_3repE0EEENS1_30default_config_static_selectorELNS0_4arch9wavefront6targetE1EEEvSP_
    .private_segment_fixed_size: 0
    .sgpr_count:     54
    .sgpr_spill_count: 0
    .symbol:         _ZN7rocprim17ROCPRIM_400000_NS6detail17trampoline_kernelINS0_14default_configENS1_32segmented_reduce_config_selectorIfEEZNS1_21segmented_reduce_implIS3_PKfPfPKlfN6hipcub16HIPCUB_304000_NS6detail27convert_result_type_wrapperIS8_S9_N2at6native12_GLOBAL__N_110CustomProdEEEEE10hipError_tPvRmT0_T1_jT2_SQ_T4_T3_P12ihipStream_tbEUlT_E_NS1_11comp_targetILNS1_3genE2ELNS1_11target_archE906ELNS1_3gpuE6ELNS1_3repE0EEENS1_30default_config_static_selectorELNS0_4arch9wavefront6targetE1EEEvSP_.kd
    .uniform_work_group_size: 1
    .uses_dynamic_stack: false
    .vgpr_count:     25
    .vgpr_spill_count: 0
    .wavefront_size: 64
  - .args:
      - .offset:         0
        .size:           48
        .value_kind:     by_value
    .group_segment_fixed_size: 0
    .kernarg_segment_align: 8
    .kernarg_segment_size: 48
    .language:       OpenCL C
    .language_version:
      - 2
      - 0
    .max_flat_workgroup_size: 256
    .name:           _ZN7rocprim17ROCPRIM_400000_NS6detail17trampoline_kernelINS0_14default_configENS1_32segmented_reduce_config_selectorIfEEZNS1_21segmented_reduce_implIS3_PKfPfPKlfN6hipcub16HIPCUB_304000_NS6detail27convert_result_type_wrapperIS8_S9_N2at6native12_GLOBAL__N_110CustomProdEEEEE10hipError_tPvRmT0_T1_jT2_SQ_T4_T3_P12ihipStream_tbEUlT_E_NS1_11comp_targetILNS1_3genE9ELNS1_11target_archE1100ELNS1_3gpuE3ELNS1_3repE0EEENS1_30default_config_static_selectorELNS0_4arch9wavefront6targetE1EEEvSP_
    .private_segment_fixed_size: 0
    .sgpr_count:     4
    .sgpr_spill_count: 0
    .symbol:         _ZN7rocprim17ROCPRIM_400000_NS6detail17trampoline_kernelINS0_14default_configENS1_32segmented_reduce_config_selectorIfEEZNS1_21segmented_reduce_implIS3_PKfPfPKlfN6hipcub16HIPCUB_304000_NS6detail27convert_result_type_wrapperIS8_S9_N2at6native12_GLOBAL__N_110CustomProdEEEEE10hipError_tPvRmT0_T1_jT2_SQ_T4_T3_P12ihipStream_tbEUlT_E_NS1_11comp_targetILNS1_3genE9ELNS1_11target_archE1100ELNS1_3gpuE3ELNS1_3repE0EEENS1_30default_config_static_selectorELNS0_4arch9wavefront6targetE1EEEvSP_.kd
    .uniform_work_group_size: 1
    .uses_dynamic_stack: false
    .vgpr_count:     0
    .vgpr_spill_count: 0
    .wavefront_size: 64
  - .args:
      - .offset:         0
        .size:           48
        .value_kind:     by_value
    .group_segment_fixed_size: 0
    .kernarg_segment_align: 8
    .kernarg_segment_size: 48
    .language:       OpenCL C
    .language_version:
      - 2
      - 0
    .max_flat_workgroup_size: 256
    .name:           _ZN7rocprim17ROCPRIM_400000_NS6detail17trampoline_kernelINS0_14default_configENS1_32segmented_reduce_config_selectorIfEEZNS1_21segmented_reduce_implIS3_PKfPfPKlfN6hipcub16HIPCUB_304000_NS6detail27convert_result_type_wrapperIS8_S9_N2at6native12_GLOBAL__N_110CustomProdEEEEE10hipError_tPvRmT0_T1_jT2_SQ_T4_T3_P12ihipStream_tbEUlT_E_NS1_11comp_targetILNS1_3genE8ELNS1_11target_archE1030ELNS1_3gpuE2ELNS1_3repE0EEENS1_30default_config_static_selectorELNS0_4arch9wavefront6targetE1EEEvSP_
    .private_segment_fixed_size: 0
    .sgpr_count:     4
    .sgpr_spill_count: 0
    .symbol:         _ZN7rocprim17ROCPRIM_400000_NS6detail17trampoline_kernelINS0_14default_configENS1_32segmented_reduce_config_selectorIfEEZNS1_21segmented_reduce_implIS3_PKfPfPKlfN6hipcub16HIPCUB_304000_NS6detail27convert_result_type_wrapperIS8_S9_N2at6native12_GLOBAL__N_110CustomProdEEEEE10hipError_tPvRmT0_T1_jT2_SQ_T4_T3_P12ihipStream_tbEUlT_E_NS1_11comp_targetILNS1_3genE8ELNS1_11target_archE1030ELNS1_3gpuE2ELNS1_3repE0EEENS1_30default_config_static_selectorELNS0_4arch9wavefront6targetE1EEEvSP_.kd
    .uniform_work_group_size: 1
    .uses_dynamic_stack: false
    .vgpr_count:     0
    .vgpr_spill_count: 0
    .wavefront_size: 64
  - .args:
      - .offset:         0
        .size:           4
        .value_kind:     by_value
      - .address_space:  global
        .offset:         8
        .size:           8
        .value_kind:     global_buffer
      - .address_space:  global
        .offset:         16
        .size:           8
        .value_kind:     global_buffer
      - .address_space:  global
        .offset:         24
        .size:           8
        .value_kind:     global_buffer
      - .address_space:  global
        .offset:         32
        .size:           8
        .value_kind:     global_buffer
      - .offset:         40
        .size:           8
        .value_kind:     by_value
      - .offset:         48
        .size:           8
        .value_kind:     by_value
      - .offset:         56
        .size:           1
        .value_kind:     by_value
      - .offset:         58
        .size:           2
        .value_kind:     by_value
      - .offset:         64
        .size:           8
        .value_kind:     by_value
      - .offset:         72
        .size:           8
        .value_kind:     by_value
      - .offset:         80
        .size:           8
        .value_kind:     by_value
      - .offset:         88
        .size:           8
        .value_kind:     by_value
      - .offset:         96
        .size:           8
        .value_kind:     by_value
      - .offset:         104
        .size:           8
        .value_kind:     by_value
      - .offset:         112
        .size:           8
        .value_kind:     by_value
      - .offset:         120
        .size:           4
        .value_kind:     hidden_block_count_x
      - .offset:         124
        .size:           4
        .value_kind:     hidden_block_count_y
      - .offset:         128
        .size:           4
        .value_kind:     hidden_block_count_z
      - .offset:         132
        .size:           2
        .value_kind:     hidden_group_size_x
      - .offset:         134
        .size:           2
        .value_kind:     hidden_group_size_y
      - .offset:         136
        .size:           2
        .value_kind:     hidden_group_size_z
      - .offset:         138
        .size:           2
        .value_kind:     hidden_remainder_x
      - .offset:         140
        .size:           2
        .value_kind:     hidden_remainder_y
      - .offset:         142
        .size:           2
        .value_kind:     hidden_remainder_z
      - .offset:         160
        .size:           8
        .value_kind:     hidden_global_offset_x
      - .offset:         168
        .size:           8
        .value_kind:     hidden_global_offset_y
      - .offset:         176
        .size:           8
        .value_kind:     hidden_global_offset_z
      - .offset:         184
        .size:           2
        .value_kind:     hidden_grid_dims
    .group_segment_fixed_size: 0
    .kernarg_segment_align: 8
    .kernarg_segment_size: 376
    .language:       OpenCL C
    .language_version:
      - 2
      - 0
    .max_flat_workgroup_size: 1024
    .name:           _ZN2at6native12_GLOBAL__N_129segment_reduce_forward_kernelIN3c104HalfElEEvNS0_13ReductionTypeEPT_PKS6_PKT0_SC_llbS6_lllllll
    .private_segment_fixed_size: 0
    .sgpr_count:     46
    .sgpr_spill_count: 0
    .symbol:         _ZN2at6native12_GLOBAL__N_129segment_reduce_forward_kernelIN3c104HalfElEEvNS0_13ReductionTypeEPT_PKS6_PKT0_SC_llbS6_lllllll.kd
    .uniform_work_group_size: 1
    .uses_dynamic_stack: false
    .vgpr_count:     21
    .vgpr_spill_count: 0
    .wavefront_size: 64
  - .args:
      - .offset:         0
        .size:           48
        .value_kind:     by_value
    .group_segment_fixed_size: 0
    .kernarg_segment_align: 8
    .kernarg_segment_size: 48
    .language:       OpenCL C
    .language_version:
      - 2
      - 0
    .max_flat_workgroup_size: 256
    .name:           _ZN7rocprim17ROCPRIM_400000_NS6detail17trampoline_kernelINS0_14default_configENS1_32segmented_reduce_config_selectorIN3c104HalfEEEZNS1_21segmented_reduce_implIS3_PKS6_PS6_PKlS6_N6hipcub16HIPCUB_304000_NS6detail27convert_result_type_wrapperISA_SB_N2at6native12_GLOBAL__N_19CustomMaxEEEEE10hipError_tPvRmT0_T1_jT2_SS_T4_T3_P12ihipStream_tbEUlT_E_NS1_11comp_targetILNS1_3genE0ELNS1_11target_archE4294967295ELNS1_3gpuE0ELNS1_3repE0EEENS1_30default_config_static_selectorELNS0_4arch9wavefront6targetE1EEEvSR_
    .private_segment_fixed_size: 0
    .sgpr_count:     4
    .sgpr_spill_count: 0
    .symbol:         _ZN7rocprim17ROCPRIM_400000_NS6detail17trampoline_kernelINS0_14default_configENS1_32segmented_reduce_config_selectorIN3c104HalfEEEZNS1_21segmented_reduce_implIS3_PKS6_PS6_PKlS6_N6hipcub16HIPCUB_304000_NS6detail27convert_result_type_wrapperISA_SB_N2at6native12_GLOBAL__N_19CustomMaxEEEEE10hipError_tPvRmT0_T1_jT2_SS_T4_T3_P12ihipStream_tbEUlT_E_NS1_11comp_targetILNS1_3genE0ELNS1_11target_archE4294967295ELNS1_3gpuE0ELNS1_3repE0EEENS1_30default_config_static_selectorELNS0_4arch9wavefront6targetE1EEEvSR_.kd
    .uniform_work_group_size: 1
    .uses_dynamic_stack: false
    .vgpr_count:     0
    .vgpr_spill_count: 0
    .wavefront_size: 64
  - .args:
      - .offset:         0
        .size:           48
        .value_kind:     by_value
    .group_segment_fixed_size: 0
    .kernarg_segment_align: 8
    .kernarg_segment_size: 48
    .language:       OpenCL C
    .language_version:
      - 2
      - 0
    .max_flat_workgroup_size: 256
    .name:           _ZN7rocprim17ROCPRIM_400000_NS6detail17trampoline_kernelINS0_14default_configENS1_32segmented_reduce_config_selectorIN3c104HalfEEEZNS1_21segmented_reduce_implIS3_PKS6_PS6_PKlS6_N6hipcub16HIPCUB_304000_NS6detail27convert_result_type_wrapperISA_SB_N2at6native12_GLOBAL__N_19CustomMaxEEEEE10hipError_tPvRmT0_T1_jT2_SS_T4_T3_P12ihipStream_tbEUlT_E_NS1_11comp_targetILNS1_3genE5ELNS1_11target_archE942ELNS1_3gpuE9ELNS1_3repE0EEENS1_30default_config_static_selectorELNS0_4arch9wavefront6targetE1EEEvSR_
    .private_segment_fixed_size: 0
    .sgpr_count:     4
    .sgpr_spill_count: 0
    .symbol:         _ZN7rocprim17ROCPRIM_400000_NS6detail17trampoline_kernelINS0_14default_configENS1_32segmented_reduce_config_selectorIN3c104HalfEEEZNS1_21segmented_reduce_implIS3_PKS6_PS6_PKlS6_N6hipcub16HIPCUB_304000_NS6detail27convert_result_type_wrapperISA_SB_N2at6native12_GLOBAL__N_19CustomMaxEEEEE10hipError_tPvRmT0_T1_jT2_SS_T4_T3_P12ihipStream_tbEUlT_E_NS1_11comp_targetILNS1_3genE5ELNS1_11target_archE942ELNS1_3gpuE9ELNS1_3repE0EEENS1_30default_config_static_selectorELNS0_4arch9wavefront6targetE1EEEvSR_.kd
    .uniform_work_group_size: 1
    .uses_dynamic_stack: false
    .vgpr_count:     0
    .vgpr_spill_count: 0
    .wavefront_size: 64
  - .args:
      - .offset:         0
        .size:           48
        .value_kind:     by_value
    .group_segment_fixed_size: 0
    .kernarg_segment_align: 8
    .kernarg_segment_size: 48
    .language:       OpenCL C
    .language_version:
      - 2
      - 0
    .max_flat_workgroup_size: 256
    .name:           _ZN7rocprim17ROCPRIM_400000_NS6detail17trampoline_kernelINS0_14default_configENS1_32segmented_reduce_config_selectorIN3c104HalfEEEZNS1_21segmented_reduce_implIS3_PKS6_PS6_PKlS6_N6hipcub16HIPCUB_304000_NS6detail27convert_result_type_wrapperISA_SB_N2at6native12_GLOBAL__N_19CustomMaxEEEEE10hipError_tPvRmT0_T1_jT2_SS_T4_T3_P12ihipStream_tbEUlT_E_NS1_11comp_targetILNS1_3genE10ELNS1_11target_archE1201ELNS1_3gpuE5ELNS1_3repE0EEENS1_30default_config_static_selectorELNS0_4arch9wavefront6targetE1EEEvSR_
    .private_segment_fixed_size: 0
    .sgpr_count:     4
    .sgpr_spill_count: 0
    .symbol:         _ZN7rocprim17ROCPRIM_400000_NS6detail17trampoline_kernelINS0_14default_configENS1_32segmented_reduce_config_selectorIN3c104HalfEEEZNS1_21segmented_reduce_implIS3_PKS6_PS6_PKlS6_N6hipcub16HIPCUB_304000_NS6detail27convert_result_type_wrapperISA_SB_N2at6native12_GLOBAL__N_19CustomMaxEEEEE10hipError_tPvRmT0_T1_jT2_SS_T4_T3_P12ihipStream_tbEUlT_E_NS1_11comp_targetILNS1_3genE10ELNS1_11target_archE1201ELNS1_3gpuE5ELNS1_3repE0EEENS1_30default_config_static_selectorELNS0_4arch9wavefront6targetE1EEEvSR_.kd
    .uniform_work_group_size: 1
    .uses_dynamic_stack: false
    .vgpr_count:     0
    .vgpr_spill_count: 0
    .wavefront_size: 64
  - .args:
      - .offset:         0
        .size:           48
        .value_kind:     by_value
    .group_segment_fixed_size: 0
    .kernarg_segment_align: 8
    .kernarg_segment_size: 48
    .language:       OpenCL C
    .language_version:
      - 2
      - 0
    .max_flat_workgroup_size: 256
    .name:           _ZN7rocprim17ROCPRIM_400000_NS6detail17trampoline_kernelINS0_14default_configENS1_32segmented_reduce_config_selectorIN3c104HalfEEEZNS1_21segmented_reduce_implIS3_PKS6_PS6_PKlS6_N6hipcub16HIPCUB_304000_NS6detail27convert_result_type_wrapperISA_SB_N2at6native12_GLOBAL__N_19CustomMaxEEEEE10hipError_tPvRmT0_T1_jT2_SS_T4_T3_P12ihipStream_tbEUlT_E_NS1_11comp_targetILNS1_3genE4ELNS1_11target_archE910ELNS1_3gpuE8ELNS1_3repE0EEENS1_30default_config_static_selectorELNS0_4arch9wavefront6targetE1EEEvSR_
    .private_segment_fixed_size: 0
    .sgpr_count:     4
    .sgpr_spill_count: 0
    .symbol:         _ZN7rocprim17ROCPRIM_400000_NS6detail17trampoline_kernelINS0_14default_configENS1_32segmented_reduce_config_selectorIN3c104HalfEEEZNS1_21segmented_reduce_implIS3_PKS6_PS6_PKlS6_N6hipcub16HIPCUB_304000_NS6detail27convert_result_type_wrapperISA_SB_N2at6native12_GLOBAL__N_19CustomMaxEEEEE10hipError_tPvRmT0_T1_jT2_SS_T4_T3_P12ihipStream_tbEUlT_E_NS1_11comp_targetILNS1_3genE4ELNS1_11target_archE910ELNS1_3gpuE8ELNS1_3repE0EEENS1_30default_config_static_selectorELNS0_4arch9wavefront6targetE1EEEvSR_.kd
    .uniform_work_group_size: 1
    .uses_dynamic_stack: false
    .vgpr_count:     0
    .vgpr_spill_count: 0
    .wavefront_size: 64
  - .args:
      - .offset:         0
        .size:           48
        .value_kind:     by_value
    .group_segment_fixed_size: 0
    .kernarg_segment_align: 8
    .kernarg_segment_size: 48
    .language:       OpenCL C
    .language_version:
      - 2
      - 0
    .max_flat_workgroup_size: 256
    .name:           _ZN7rocprim17ROCPRIM_400000_NS6detail17trampoline_kernelINS0_14default_configENS1_32segmented_reduce_config_selectorIN3c104HalfEEEZNS1_21segmented_reduce_implIS3_PKS6_PS6_PKlS6_N6hipcub16HIPCUB_304000_NS6detail27convert_result_type_wrapperISA_SB_N2at6native12_GLOBAL__N_19CustomMaxEEEEE10hipError_tPvRmT0_T1_jT2_SS_T4_T3_P12ihipStream_tbEUlT_E_NS1_11comp_targetILNS1_3genE3ELNS1_11target_archE908ELNS1_3gpuE7ELNS1_3repE0EEENS1_30default_config_static_selectorELNS0_4arch9wavefront6targetE1EEEvSR_
    .private_segment_fixed_size: 0
    .sgpr_count:     4
    .sgpr_spill_count: 0
    .symbol:         _ZN7rocprim17ROCPRIM_400000_NS6detail17trampoline_kernelINS0_14default_configENS1_32segmented_reduce_config_selectorIN3c104HalfEEEZNS1_21segmented_reduce_implIS3_PKS6_PS6_PKlS6_N6hipcub16HIPCUB_304000_NS6detail27convert_result_type_wrapperISA_SB_N2at6native12_GLOBAL__N_19CustomMaxEEEEE10hipError_tPvRmT0_T1_jT2_SS_T4_T3_P12ihipStream_tbEUlT_E_NS1_11comp_targetILNS1_3genE3ELNS1_11target_archE908ELNS1_3gpuE7ELNS1_3repE0EEENS1_30default_config_static_selectorELNS0_4arch9wavefront6targetE1EEEvSR_.kd
    .uniform_work_group_size: 1
    .uses_dynamic_stack: false
    .vgpr_count:     0
    .vgpr_spill_count: 0
    .wavefront_size: 64
  - .args:
      - .offset:         0
        .size:           48
        .value_kind:     by_value
    .group_segment_fixed_size: 8
    .kernarg_segment_align: 8
    .kernarg_segment_size: 48
    .language:       OpenCL C
    .language_version:
      - 2
      - 0
    .max_flat_workgroup_size: 256
    .name:           _ZN7rocprim17ROCPRIM_400000_NS6detail17trampoline_kernelINS0_14default_configENS1_32segmented_reduce_config_selectorIN3c104HalfEEEZNS1_21segmented_reduce_implIS3_PKS6_PS6_PKlS6_N6hipcub16HIPCUB_304000_NS6detail27convert_result_type_wrapperISA_SB_N2at6native12_GLOBAL__N_19CustomMaxEEEEE10hipError_tPvRmT0_T1_jT2_SS_T4_T3_P12ihipStream_tbEUlT_E_NS1_11comp_targetILNS1_3genE2ELNS1_11target_archE906ELNS1_3gpuE6ELNS1_3repE0EEENS1_30default_config_static_selectorELNS0_4arch9wavefront6targetE1EEEvSR_
    .private_segment_fixed_size: 0
    .sgpr_count:     56
    .sgpr_spill_count: 0
    .symbol:         _ZN7rocprim17ROCPRIM_400000_NS6detail17trampoline_kernelINS0_14default_configENS1_32segmented_reduce_config_selectorIN3c104HalfEEEZNS1_21segmented_reduce_implIS3_PKS6_PS6_PKlS6_N6hipcub16HIPCUB_304000_NS6detail27convert_result_type_wrapperISA_SB_N2at6native12_GLOBAL__N_19CustomMaxEEEEE10hipError_tPvRmT0_T1_jT2_SS_T4_T3_P12ihipStream_tbEUlT_E_NS1_11comp_targetILNS1_3genE2ELNS1_11target_archE906ELNS1_3gpuE6ELNS1_3repE0EEENS1_30default_config_static_selectorELNS0_4arch9wavefront6targetE1EEEvSR_.kd
    .uniform_work_group_size: 1
    .uses_dynamic_stack: false
    .vgpr_count:     23
    .vgpr_spill_count: 0
    .wavefront_size: 64
  - .args:
      - .offset:         0
        .size:           48
        .value_kind:     by_value
    .group_segment_fixed_size: 0
    .kernarg_segment_align: 8
    .kernarg_segment_size: 48
    .language:       OpenCL C
    .language_version:
      - 2
      - 0
    .max_flat_workgroup_size: 256
    .name:           _ZN7rocprim17ROCPRIM_400000_NS6detail17trampoline_kernelINS0_14default_configENS1_32segmented_reduce_config_selectorIN3c104HalfEEEZNS1_21segmented_reduce_implIS3_PKS6_PS6_PKlS6_N6hipcub16HIPCUB_304000_NS6detail27convert_result_type_wrapperISA_SB_N2at6native12_GLOBAL__N_19CustomMaxEEEEE10hipError_tPvRmT0_T1_jT2_SS_T4_T3_P12ihipStream_tbEUlT_E_NS1_11comp_targetILNS1_3genE9ELNS1_11target_archE1100ELNS1_3gpuE3ELNS1_3repE0EEENS1_30default_config_static_selectorELNS0_4arch9wavefront6targetE1EEEvSR_
    .private_segment_fixed_size: 0
    .sgpr_count:     4
    .sgpr_spill_count: 0
    .symbol:         _ZN7rocprim17ROCPRIM_400000_NS6detail17trampoline_kernelINS0_14default_configENS1_32segmented_reduce_config_selectorIN3c104HalfEEEZNS1_21segmented_reduce_implIS3_PKS6_PS6_PKlS6_N6hipcub16HIPCUB_304000_NS6detail27convert_result_type_wrapperISA_SB_N2at6native12_GLOBAL__N_19CustomMaxEEEEE10hipError_tPvRmT0_T1_jT2_SS_T4_T3_P12ihipStream_tbEUlT_E_NS1_11comp_targetILNS1_3genE9ELNS1_11target_archE1100ELNS1_3gpuE3ELNS1_3repE0EEENS1_30default_config_static_selectorELNS0_4arch9wavefront6targetE1EEEvSR_.kd
    .uniform_work_group_size: 1
    .uses_dynamic_stack: false
    .vgpr_count:     0
    .vgpr_spill_count: 0
    .wavefront_size: 64
  - .args:
      - .offset:         0
        .size:           48
        .value_kind:     by_value
    .group_segment_fixed_size: 0
    .kernarg_segment_align: 8
    .kernarg_segment_size: 48
    .language:       OpenCL C
    .language_version:
      - 2
      - 0
    .max_flat_workgroup_size: 256
    .name:           _ZN7rocprim17ROCPRIM_400000_NS6detail17trampoline_kernelINS0_14default_configENS1_32segmented_reduce_config_selectorIN3c104HalfEEEZNS1_21segmented_reduce_implIS3_PKS6_PS6_PKlS6_N6hipcub16HIPCUB_304000_NS6detail27convert_result_type_wrapperISA_SB_N2at6native12_GLOBAL__N_19CustomMaxEEEEE10hipError_tPvRmT0_T1_jT2_SS_T4_T3_P12ihipStream_tbEUlT_E_NS1_11comp_targetILNS1_3genE8ELNS1_11target_archE1030ELNS1_3gpuE2ELNS1_3repE0EEENS1_30default_config_static_selectorELNS0_4arch9wavefront6targetE1EEEvSR_
    .private_segment_fixed_size: 0
    .sgpr_count:     4
    .sgpr_spill_count: 0
    .symbol:         _ZN7rocprim17ROCPRIM_400000_NS6detail17trampoline_kernelINS0_14default_configENS1_32segmented_reduce_config_selectorIN3c104HalfEEEZNS1_21segmented_reduce_implIS3_PKS6_PS6_PKlS6_N6hipcub16HIPCUB_304000_NS6detail27convert_result_type_wrapperISA_SB_N2at6native12_GLOBAL__N_19CustomMaxEEEEE10hipError_tPvRmT0_T1_jT2_SS_T4_T3_P12ihipStream_tbEUlT_E_NS1_11comp_targetILNS1_3genE8ELNS1_11target_archE1030ELNS1_3gpuE2ELNS1_3repE0EEENS1_30default_config_static_selectorELNS0_4arch9wavefront6targetE1EEEvSR_.kd
    .uniform_work_group_size: 1
    .uses_dynamic_stack: false
    .vgpr_count:     0
    .vgpr_spill_count: 0
    .wavefront_size: 64
  - .args:
      - .offset:         0
        .size:           48
        .value_kind:     by_value
    .group_segment_fixed_size: 0
    .kernarg_segment_align: 8
    .kernarg_segment_size: 48
    .language:       OpenCL C
    .language_version:
      - 2
      - 0
    .max_flat_workgroup_size: 256
    .name:           _ZN7rocprim17ROCPRIM_400000_NS6detail17trampoline_kernelINS0_14default_configENS1_32segmented_reduce_config_selectorIN3c104HalfEEEZNS1_21segmented_reduce_implIS3_PKS6_PS6_PKlS6_N6hipcub16HIPCUB_304000_NS6detail27convert_result_type_wrapperISA_SB_N2at6native12_GLOBAL__N_19CustomSumEEEEE10hipError_tPvRmT0_T1_jT2_SS_T4_T3_P12ihipStream_tbEUlT_E_NS1_11comp_targetILNS1_3genE0ELNS1_11target_archE4294967295ELNS1_3gpuE0ELNS1_3repE0EEENS1_30default_config_static_selectorELNS0_4arch9wavefront6targetE1EEEvSR_
    .private_segment_fixed_size: 0
    .sgpr_count:     4
    .sgpr_spill_count: 0
    .symbol:         _ZN7rocprim17ROCPRIM_400000_NS6detail17trampoline_kernelINS0_14default_configENS1_32segmented_reduce_config_selectorIN3c104HalfEEEZNS1_21segmented_reduce_implIS3_PKS6_PS6_PKlS6_N6hipcub16HIPCUB_304000_NS6detail27convert_result_type_wrapperISA_SB_N2at6native12_GLOBAL__N_19CustomSumEEEEE10hipError_tPvRmT0_T1_jT2_SS_T4_T3_P12ihipStream_tbEUlT_E_NS1_11comp_targetILNS1_3genE0ELNS1_11target_archE4294967295ELNS1_3gpuE0ELNS1_3repE0EEENS1_30default_config_static_selectorELNS0_4arch9wavefront6targetE1EEEvSR_.kd
    .uniform_work_group_size: 1
    .uses_dynamic_stack: false
    .vgpr_count:     0
    .vgpr_spill_count: 0
    .wavefront_size: 64
  - .args:
      - .offset:         0
        .size:           48
        .value_kind:     by_value
    .group_segment_fixed_size: 0
    .kernarg_segment_align: 8
    .kernarg_segment_size: 48
    .language:       OpenCL C
    .language_version:
      - 2
      - 0
    .max_flat_workgroup_size: 256
    .name:           _ZN7rocprim17ROCPRIM_400000_NS6detail17trampoline_kernelINS0_14default_configENS1_32segmented_reduce_config_selectorIN3c104HalfEEEZNS1_21segmented_reduce_implIS3_PKS6_PS6_PKlS6_N6hipcub16HIPCUB_304000_NS6detail27convert_result_type_wrapperISA_SB_N2at6native12_GLOBAL__N_19CustomSumEEEEE10hipError_tPvRmT0_T1_jT2_SS_T4_T3_P12ihipStream_tbEUlT_E_NS1_11comp_targetILNS1_3genE5ELNS1_11target_archE942ELNS1_3gpuE9ELNS1_3repE0EEENS1_30default_config_static_selectorELNS0_4arch9wavefront6targetE1EEEvSR_
    .private_segment_fixed_size: 0
    .sgpr_count:     4
    .sgpr_spill_count: 0
    .symbol:         _ZN7rocprim17ROCPRIM_400000_NS6detail17trampoline_kernelINS0_14default_configENS1_32segmented_reduce_config_selectorIN3c104HalfEEEZNS1_21segmented_reduce_implIS3_PKS6_PS6_PKlS6_N6hipcub16HIPCUB_304000_NS6detail27convert_result_type_wrapperISA_SB_N2at6native12_GLOBAL__N_19CustomSumEEEEE10hipError_tPvRmT0_T1_jT2_SS_T4_T3_P12ihipStream_tbEUlT_E_NS1_11comp_targetILNS1_3genE5ELNS1_11target_archE942ELNS1_3gpuE9ELNS1_3repE0EEENS1_30default_config_static_selectorELNS0_4arch9wavefront6targetE1EEEvSR_.kd
    .uniform_work_group_size: 1
    .uses_dynamic_stack: false
    .vgpr_count:     0
    .vgpr_spill_count: 0
    .wavefront_size: 64
  - .args:
      - .offset:         0
        .size:           48
        .value_kind:     by_value
    .group_segment_fixed_size: 0
    .kernarg_segment_align: 8
    .kernarg_segment_size: 48
    .language:       OpenCL C
    .language_version:
      - 2
      - 0
    .max_flat_workgroup_size: 256
    .name:           _ZN7rocprim17ROCPRIM_400000_NS6detail17trampoline_kernelINS0_14default_configENS1_32segmented_reduce_config_selectorIN3c104HalfEEEZNS1_21segmented_reduce_implIS3_PKS6_PS6_PKlS6_N6hipcub16HIPCUB_304000_NS6detail27convert_result_type_wrapperISA_SB_N2at6native12_GLOBAL__N_19CustomSumEEEEE10hipError_tPvRmT0_T1_jT2_SS_T4_T3_P12ihipStream_tbEUlT_E_NS1_11comp_targetILNS1_3genE10ELNS1_11target_archE1201ELNS1_3gpuE5ELNS1_3repE0EEENS1_30default_config_static_selectorELNS0_4arch9wavefront6targetE1EEEvSR_
    .private_segment_fixed_size: 0
    .sgpr_count:     4
    .sgpr_spill_count: 0
    .symbol:         _ZN7rocprim17ROCPRIM_400000_NS6detail17trampoline_kernelINS0_14default_configENS1_32segmented_reduce_config_selectorIN3c104HalfEEEZNS1_21segmented_reduce_implIS3_PKS6_PS6_PKlS6_N6hipcub16HIPCUB_304000_NS6detail27convert_result_type_wrapperISA_SB_N2at6native12_GLOBAL__N_19CustomSumEEEEE10hipError_tPvRmT0_T1_jT2_SS_T4_T3_P12ihipStream_tbEUlT_E_NS1_11comp_targetILNS1_3genE10ELNS1_11target_archE1201ELNS1_3gpuE5ELNS1_3repE0EEENS1_30default_config_static_selectorELNS0_4arch9wavefront6targetE1EEEvSR_.kd
    .uniform_work_group_size: 1
    .uses_dynamic_stack: false
    .vgpr_count:     0
    .vgpr_spill_count: 0
    .wavefront_size: 64
  - .args:
      - .offset:         0
        .size:           48
        .value_kind:     by_value
    .group_segment_fixed_size: 0
    .kernarg_segment_align: 8
    .kernarg_segment_size: 48
    .language:       OpenCL C
    .language_version:
      - 2
      - 0
    .max_flat_workgroup_size: 256
    .name:           _ZN7rocprim17ROCPRIM_400000_NS6detail17trampoline_kernelINS0_14default_configENS1_32segmented_reduce_config_selectorIN3c104HalfEEEZNS1_21segmented_reduce_implIS3_PKS6_PS6_PKlS6_N6hipcub16HIPCUB_304000_NS6detail27convert_result_type_wrapperISA_SB_N2at6native12_GLOBAL__N_19CustomSumEEEEE10hipError_tPvRmT0_T1_jT2_SS_T4_T3_P12ihipStream_tbEUlT_E_NS1_11comp_targetILNS1_3genE4ELNS1_11target_archE910ELNS1_3gpuE8ELNS1_3repE0EEENS1_30default_config_static_selectorELNS0_4arch9wavefront6targetE1EEEvSR_
    .private_segment_fixed_size: 0
    .sgpr_count:     4
    .sgpr_spill_count: 0
    .symbol:         _ZN7rocprim17ROCPRIM_400000_NS6detail17trampoline_kernelINS0_14default_configENS1_32segmented_reduce_config_selectorIN3c104HalfEEEZNS1_21segmented_reduce_implIS3_PKS6_PS6_PKlS6_N6hipcub16HIPCUB_304000_NS6detail27convert_result_type_wrapperISA_SB_N2at6native12_GLOBAL__N_19CustomSumEEEEE10hipError_tPvRmT0_T1_jT2_SS_T4_T3_P12ihipStream_tbEUlT_E_NS1_11comp_targetILNS1_3genE4ELNS1_11target_archE910ELNS1_3gpuE8ELNS1_3repE0EEENS1_30default_config_static_selectorELNS0_4arch9wavefront6targetE1EEEvSR_.kd
    .uniform_work_group_size: 1
    .uses_dynamic_stack: false
    .vgpr_count:     0
    .vgpr_spill_count: 0
    .wavefront_size: 64
  - .args:
      - .offset:         0
        .size:           48
        .value_kind:     by_value
    .group_segment_fixed_size: 0
    .kernarg_segment_align: 8
    .kernarg_segment_size: 48
    .language:       OpenCL C
    .language_version:
      - 2
      - 0
    .max_flat_workgroup_size: 256
    .name:           _ZN7rocprim17ROCPRIM_400000_NS6detail17trampoline_kernelINS0_14default_configENS1_32segmented_reduce_config_selectorIN3c104HalfEEEZNS1_21segmented_reduce_implIS3_PKS6_PS6_PKlS6_N6hipcub16HIPCUB_304000_NS6detail27convert_result_type_wrapperISA_SB_N2at6native12_GLOBAL__N_19CustomSumEEEEE10hipError_tPvRmT0_T1_jT2_SS_T4_T3_P12ihipStream_tbEUlT_E_NS1_11comp_targetILNS1_3genE3ELNS1_11target_archE908ELNS1_3gpuE7ELNS1_3repE0EEENS1_30default_config_static_selectorELNS0_4arch9wavefront6targetE1EEEvSR_
    .private_segment_fixed_size: 0
    .sgpr_count:     4
    .sgpr_spill_count: 0
    .symbol:         _ZN7rocprim17ROCPRIM_400000_NS6detail17trampoline_kernelINS0_14default_configENS1_32segmented_reduce_config_selectorIN3c104HalfEEEZNS1_21segmented_reduce_implIS3_PKS6_PS6_PKlS6_N6hipcub16HIPCUB_304000_NS6detail27convert_result_type_wrapperISA_SB_N2at6native12_GLOBAL__N_19CustomSumEEEEE10hipError_tPvRmT0_T1_jT2_SS_T4_T3_P12ihipStream_tbEUlT_E_NS1_11comp_targetILNS1_3genE3ELNS1_11target_archE908ELNS1_3gpuE7ELNS1_3repE0EEENS1_30default_config_static_selectorELNS0_4arch9wavefront6targetE1EEEvSR_.kd
    .uniform_work_group_size: 1
    .uses_dynamic_stack: false
    .vgpr_count:     0
    .vgpr_spill_count: 0
    .wavefront_size: 64
  - .args:
      - .offset:         0
        .size:           48
        .value_kind:     by_value
    .group_segment_fixed_size: 8
    .kernarg_segment_align: 8
    .kernarg_segment_size: 48
    .language:       OpenCL C
    .language_version:
      - 2
      - 0
    .max_flat_workgroup_size: 256
    .name:           _ZN7rocprim17ROCPRIM_400000_NS6detail17trampoline_kernelINS0_14default_configENS1_32segmented_reduce_config_selectorIN3c104HalfEEEZNS1_21segmented_reduce_implIS3_PKS6_PS6_PKlS6_N6hipcub16HIPCUB_304000_NS6detail27convert_result_type_wrapperISA_SB_N2at6native12_GLOBAL__N_19CustomSumEEEEE10hipError_tPvRmT0_T1_jT2_SS_T4_T3_P12ihipStream_tbEUlT_E_NS1_11comp_targetILNS1_3genE2ELNS1_11target_archE906ELNS1_3gpuE6ELNS1_3repE0EEENS1_30default_config_static_selectorELNS0_4arch9wavefront6targetE1EEEvSR_
    .private_segment_fixed_size: 0
    .sgpr_count:     50
    .sgpr_spill_count: 0
    .symbol:         _ZN7rocprim17ROCPRIM_400000_NS6detail17trampoline_kernelINS0_14default_configENS1_32segmented_reduce_config_selectorIN3c104HalfEEEZNS1_21segmented_reduce_implIS3_PKS6_PS6_PKlS6_N6hipcub16HIPCUB_304000_NS6detail27convert_result_type_wrapperISA_SB_N2at6native12_GLOBAL__N_19CustomSumEEEEE10hipError_tPvRmT0_T1_jT2_SS_T4_T3_P12ihipStream_tbEUlT_E_NS1_11comp_targetILNS1_3genE2ELNS1_11target_archE906ELNS1_3gpuE6ELNS1_3repE0EEENS1_30default_config_static_selectorELNS0_4arch9wavefront6targetE1EEEvSR_.kd
    .uniform_work_group_size: 1
    .uses_dynamic_stack: false
    .vgpr_count:     23
    .vgpr_spill_count: 0
    .wavefront_size: 64
  - .args:
      - .offset:         0
        .size:           48
        .value_kind:     by_value
    .group_segment_fixed_size: 0
    .kernarg_segment_align: 8
    .kernarg_segment_size: 48
    .language:       OpenCL C
    .language_version:
      - 2
      - 0
    .max_flat_workgroup_size: 256
    .name:           _ZN7rocprim17ROCPRIM_400000_NS6detail17trampoline_kernelINS0_14default_configENS1_32segmented_reduce_config_selectorIN3c104HalfEEEZNS1_21segmented_reduce_implIS3_PKS6_PS6_PKlS6_N6hipcub16HIPCUB_304000_NS6detail27convert_result_type_wrapperISA_SB_N2at6native12_GLOBAL__N_19CustomSumEEEEE10hipError_tPvRmT0_T1_jT2_SS_T4_T3_P12ihipStream_tbEUlT_E_NS1_11comp_targetILNS1_3genE9ELNS1_11target_archE1100ELNS1_3gpuE3ELNS1_3repE0EEENS1_30default_config_static_selectorELNS0_4arch9wavefront6targetE1EEEvSR_
    .private_segment_fixed_size: 0
    .sgpr_count:     4
    .sgpr_spill_count: 0
    .symbol:         _ZN7rocprim17ROCPRIM_400000_NS6detail17trampoline_kernelINS0_14default_configENS1_32segmented_reduce_config_selectorIN3c104HalfEEEZNS1_21segmented_reduce_implIS3_PKS6_PS6_PKlS6_N6hipcub16HIPCUB_304000_NS6detail27convert_result_type_wrapperISA_SB_N2at6native12_GLOBAL__N_19CustomSumEEEEE10hipError_tPvRmT0_T1_jT2_SS_T4_T3_P12ihipStream_tbEUlT_E_NS1_11comp_targetILNS1_3genE9ELNS1_11target_archE1100ELNS1_3gpuE3ELNS1_3repE0EEENS1_30default_config_static_selectorELNS0_4arch9wavefront6targetE1EEEvSR_.kd
    .uniform_work_group_size: 1
    .uses_dynamic_stack: false
    .vgpr_count:     0
    .vgpr_spill_count: 0
    .wavefront_size: 64
  - .args:
      - .offset:         0
        .size:           48
        .value_kind:     by_value
    .group_segment_fixed_size: 0
    .kernarg_segment_align: 8
    .kernarg_segment_size: 48
    .language:       OpenCL C
    .language_version:
      - 2
      - 0
    .max_flat_workgroup_size: 256
    .name:           _ZN7rocprim17ROCPRIM_400000_NS6detail17trampoline_kernelINS0_14default_configENS1_32segmented_reduce_config_selectorIN3c104HalfEEEZNS1_21segmented_reduce_implIS3_PKS6_PS6_PKlS6_N6hipcub16HIPCUB_304000_NS6detail27convert_result_type_wrapperISA_SB_N2at6native12_GLOBAL__N_19CustomSumEEEEE10hipError_tPvRmT0_T1_jT2_SS_T4_T3_P12ihipStream_tbEUlT_E_NS1_11comp_targetILNS1_3genE8ELNS1_11target_archE1030ELNS1_3gpuE2ELNS1_3repE0EEENS1_30default_config_static_selectorELNS0_4arch9wavefront6targetE1EEEvSR_
    .private_segment_fixed_size: 0
    .sgpr_count:     4
    .sgpr_spill_count: 0
    .symbol:         _ZN7rocprim17ROCPRIM_400000_NS6detail17trampoline_kernelINS0_14default_configENS1_32segmented_reduce_config_selectorIN3c104HalfEEEZNS1_21segmented_reduce_implIS3_PKS6_PS6_PKlS6_N6hipcub16HIPCUB_304000_NS6detail27convert_result_type_wrapperISA_SB_N2at6native12_GLOBAL__N_19CustomSumEEEEE10hipError_tPvRmT0_T1_jT2_SS_T4_T3_P12ihipStream_tbEUlT_E_NS1_11comp_targetILNS1_3genE8ELNS1_11target_archE1030ELNS1_3gpuE2ELNS1_3repE0EEENS1_30default_config_static_selectorELNS0_4arch9wavefront6targetE1EEEvSR_.kd
    .uniform_work_group_size: 1
    .uses_dynamic_stack: false
    .vgpr_count:     0
    .vgpr_spill_count: 0
    .wavefront_size: 64
  - .args:
      - .address_space:  global
        .offset:         0
        .size:           8
        .value_kind:     global_buffer
      - .address_space:  global
        .offset:         8
        .size:           8
        .value_kind:     global_buffer
      - .offset:         16
        .size:           8
        .value_kind:     by_value
      - .offset:         24
        .size:           1
        .value_kind:     by_value
      - .offset:         26
        .size:           2
        .value_kind:     by_value
      - .offset:         32
        .size:           4
        .value_kind:     hidden_block_count_x
      - .offset:         36
        .size:           4
        .value_kind:     hidden_block_count_y
      - .offset:         40
        .size:           4
        .value_kind:     hidden_block_count_z
      - .offset:         44
        .size:           2
        .value_kind:     hidden_group_size_x
      - .offset:         46
        .size:           2
        .value_kind:     hidden_group_size_y
      - .offset:         48
        .size:           2
        .value_kind:     hidden_group_size_z
      - .offset:         50
        .size:           2
        .value_kind:     hidden_remainder_x
      - .offset:         52
        .size:           2
        .value_kind:     hidden_remainder_y
      - .offset:         54
        .size:           2
        .value_kind:     hidden_remainder_z
      - .offset:         72
        .size:           8
        .value_kind:     hidden_global_offset_x
      - .offset:         80
        .size:           8
        .value_kind:     hidden_global_offset_y
      - .offset:         88
        .size:           8
        .value_kind:     hidden_global_offset_z
      - .offset:         96
        .size:           2
        .value_kind:     hidden_grid_dims
    .group_segment_fixed_size: 0
    .kernarg_segment_align: 8
    .kernarg_segment_size: 288
    .language:       OpenCL C
    .language_version:
      - 2
      - 0
    .max_flat_workgroup_size: 1024
    .name:           _ZN2at6native12_GLOBAL__N_119post_sum_div_kernelIN3c104HalfElEEvPT_PKT0_lbS5_
    .private_segment_fixed_size: 0
    .sgpr_count:     29
    .sgpr_spill_count: 0
    .symbol:         _ZN2at6native12_GLOBAL__N_119post_sum_div_kernelIN3c104HalfElEEvPT_PKT0_lbS5_.kd
    .uniform_work_group_size: 1
    .uses_dynamic_stack: false
    .vgpr_count:     15
    .vgpr_spill_count: 0
    .wavefront_size: 64
  - .args:
      - .offset:         0
        .size:           48
        .value_kind:     by_value
    .group_segment_fixed_size: 0
    .kernarg_segment_align: 8
    .kernarg_segment_size: 48
    .language:       OpenCL C
    .language_version:
      - 2
      - 0
    .max_flat_workgroup_size: 256
    .name:           _ZN7rocprim17ROCPRIM_400000_NS6detail17trampoline_kernelINS0_14default_configENS1_32segmented_reduce_config_selectorIN3c104HalfEEEZNS1_21segmented_reduce_implIS3_PKS6_PS6_PKlS6_N6hipcub16HIPCUB_304000_NS6detail27convert_result_type_wrapperISA_SB_N2at6native12_GLOBAL__N_19CustomMinEEEEE10hipError_tPvRmT0_T1_jT2_SS_T4_T3_P12ihipStream_tbEUlT_E_NS1_11comp_targetILNS1_3genE0ELNS1_11target_archE4294967295ELNS1_3gpuE0ELNS1_3repE0EEENS1_30default_config_static_selectorELNS0_4arch9wavefront6targetE1EEEvSR_
    .private_segment_fixed_size: 0
    .sgpr_count:     4
    .sgpr_spill_count: 0
    .symbol:         _ZN7rocprim17ROCPRIM_400000_NS6detail17trampoline_kernelINS0_14default_configENS1_32segmented_reduce_config_selectorIN3c104HalfEEEZNS1_21segmented_reduce_implIS3_PKS6_PS6_PKlS6_N6hipcub16HIPCUB_304000_NS6detail27convert_result_type_wrapperISA_SB_N2at6native12_GLOBAL__N_19CustomMinEEEEE10hipError_tPvRmT0_T1_jT2_SS_T4_T3_P12ihipStream_tbEUlT_E_NS1_11comp_targetILNS1_3genE0ELNS1_11target_archE4294967295ELNS1_3gpuE0ELNS1_3repE0EEENS1_30default_config_static_selectorELNS0_4arch9wavefront6targetE1EEEvSR_.kd
    .uniform_work_group_size: 1
    .uses_dynamic_stack: false
    .vgpr_count:     0
    .vgpr_spill_count: 0
    .wavefront_size: 64
  - .args:
      - .offset:         0
        .size:           48
        .value_kind:     by_value
    .group_segment_fixed_size: 0
    .kernarg_segment_align: 8
    .kernarg_segment_size: 48
    .language:       OpenCL C
    .language_version:
      - 2
      - 0
    .max_flat_workgroup_size: 256
    .name:           _ZN7rocprim17ROCPRIM_400000_NS6detail17trampoline_kernelINS0_14default_configENS1_32segmented_reduce_config_selectorIN3c104HalfEEEZNS1_21segmented_reduce_implIS3_PKS6_PS6_PKlS6_N6hipcub16HIPCUB_304000_NS6detail27convert_result_type_wrapperISA_SB_N2at6native12_GLOBAL__N_19CustomMinEEEEE10hipError_tPvRmT0_T1_jT2_SS_T4_T3_P12ihipStream_tbEUlT_E_NS1_11comp_targetILNS1_3genE5ELNS1_11target_archE942ELNS1_3gpuE9ELNS1_3repE0EEENS1_30default_config_static_selectorELNS0_4arch9wavefront6targetE1EEEvSR_
    .private_segment_fixed_size: 0
    .sgpr_count:     4
    .sgpr_spill_count: 0
    .symbol:         _ZN7rocprim17ROCPRIM_400000_NS6detail17trampoline_kernelINS0_14default_configENS1_32segmented_reduce_config_selectorIN3c104HalfEEEZNS1_21segmented_reduce_implIS3_PKS6_PS6_PKlS6_N6hipcub16HIPCUB_304000_NS6detail27convert_result_type_wrapperISA_SB_N2at6native12_GLOBAL__N_19CustomMinEEEEE10hipError_tPvRmT0_T1_jT2_SS_T4_T3_P12ihipStream_tbEUlT_E_NS1_11comp_targetILNS1_3genE5ELNS1_11target_archE942ELNS1_3gpuE9ELNS1_3repE0EEENS1_30default_config_static_selectorELNS0_4arch9wavefront6targetE1EEEvSR_.kd
    .uniform_work_group_size: 1
    .uses_dynamic_stack: false
    .vgpr_count:     0
    .vgpr_spill_count: 0
    .wavefront_size: 64
  - .args:
      - .offset:         0
        .size:           48
        .value_kind:     by_value
    .group_segment_fixed_size: 0
    .kernarg_segment_align: 8
    .kernarg_segment_size: 48
    .language:       OpenCL C
    .language_version:
      - 2
      - 0
    .max_flat_workgroup_size: 256
    .name:           _ZN7rocprim17ROCPRIM_400000_NS6detail17trampoline_kernelINS0_14default_configENS1_32segmented_reduce_config_selectorIN3c104HalfEEEZNS1_21segmented_reduce_implIS3_PKS6_PS6_PKlS6_N6hipcub16HIPCUB_304000_NS6detail27convert_result_type_wrapperISA_SB_N2at6native12_GLOBAL__N_19CustomMinEEEEE10hipError_tPvRmT0_T1_jT2_SS_T4_T3_P12ihipStream_tbEUlT_E_NS1_11comp_targetILNS1_3genE10ELNS1_11target_archE1201ELNS1_3gpuE5ELNS1_3repE0EEENS1_30default_config_static_selectorELNS0_4arch9wavefront6targetE1EEEvSR_
    .private_segment_fixed_size: 0
    .sgpr_count:     4
    .sgpr_spill_count: 0
    .symbol:         _ZN7rocprim17ROCPRIM_400000_NS6detail17trampoline_kernelINS0_14default_configENS1_32segmented_reduce_config_selectorIN3c104HalfEEEZNS1_21segmented_reduce_implIS3_PKS6_PS6_PKlS6_N6hipcub16HIPCUB_304000_NS6detail27convert_result_type_wrapperISA_SB_N2at6native12_GLOBAL__N_19CustomMinEEEEE10hipError_tPvRmT0_T1_jT2_SS_T4_T3_P12ihipStream_tbEUlT_E_NS1_11comp_targetILNS1_3genE10ELNS1_11target_archE1201ELNS1_3gpuE5ELNS1_3repE0EEENS1_30default_config_static_selectorELNS0_4arch9wavefront6targetE1EEEvSR_.kd
    .uniform_work_group_size: 1
    .uses_dynamic_stack: false
    .vgpr_count:     0
    .vgpr_spill_count: 0
    .wavefront_size: 64
  - .args:
      - .offset:         0
        .size:           48
        .value_kind:     by_value
    .group_segment_fixed_size: 0
    .kernarg_segment_align: 8
    .kernarg_segment_size: 48
    .language:       OpenCL C
    .language_version:
      - 2
      - 0
    .max_flat_workgroup_size: 256
    .name:           _ZN7rocprim17ROCPRIM_400000_NS6detail17trampoline_kernelINS0_14default_configENS1_32segmented_reduce_config_selectorIN3c104HalfEEEZNS1_21segmented_reduce_implIS3_PKS6_PS6_PKlS6_N6hipcub16HIPCUB_304000_NS6detail27convert_result_type_wrapperISA_SB_N2at6native12_GLOBAL__N_19CustomMinEEEEE10hipError_tPvRmT0_T1_jT2_SS_T4_T3_P12ihipStream_tbEUlT_E_NS1_11comp_targetILNS1_3genE4ELNS1_11target_archE910ELNS1_3gpuE8ELNS1_3repE0EEENS1_30default_config_static_selectorELNS0_4arch9wavefront6targetE1EEEvSR_
    .private_segment_fixed_size: 0
    .sgpr_count:     4
    .sgpr_spill_count: 0
    .symbol:         _ZN7rocprim17ROCPRIM_400000_NS6detail17trampoline_kernelINS0_14default_configENS1_32segmented_reduce_config_selectorIN3c104HalfEEEZNS1_21segmented_reduce_implIS3_PKS6_PS6_PKlS6_N6hipcub16HIPCUB_304000_NS6detail27convert_result_type_wrapperISA_SB_N2at6native12_GLOBAL__N_19CustomMinEEEEE10hipError_tPvRmT0_T1_jT2_SS_T4_T3_P12ihipStream_tbEUlT_E_NS1_11comp_targetILNS1_3genE4ELNS1_11target_archE910ELNS1_3gpuE8ELNS1_3repE0EEENS1_30default_config_static_selectorELNS0_4arch9wavefront6targetE1EEEvSR_.kd
    .uniform_work_group_size: 1
    .uses_dynamic_stack: false
    .vgpr_count:     0
    .vgpr_spill_count: 0
    .wavefront_size: 64
  - .args:
      - .offset:         0
        .size:           48
        .value_kind:     by_value
    .group_segment_fixed_size: 0
    .kernarg_segment_align: 8
    .kernarg_segment_size: 48
    .language:       OpenCL C
    .language_version:
      - 2
      - 0
    .max_flat_workgroup_size: 256
    .name:           _ZN7rocprim17ROCPRIM_400000_NS6detail17trampoline_kernelINS0_14default_configENS1_32segmented_reduce_config_selectorIN3c104HalfEEEZNS1_21segmented_reduce_implIS3_PKS6_PS6_PKlS6_N6hipcub16HIPCUB_304000_NS6detail27convert_result_type_wrapperISA_SB_N2at6native12_GLOBAL__N_19CustomMinEEEEE10hipError_tPvRmT0_T1_jT2_SS_T4_T3_P12ihipStream_tbEUlT_E_NS1_11comp_targetILNS1_3genE3ELNS1_11target_archE908ELNS1_3gpuE7ELNS1_3repE0EEENS1_30default_config_static_selectorELNS0_4arch9wavefront6targetE1EEEvSR_
    .private_segment_fixed_size: 0
    .sgpr_count:     4
    .sgpr_spill_count: 0
    .symbol:         _ZN7rocprim17ROCPRIM_400000_NS6detail17trampoline_kernelINS0_14default_configENS1_32segmented_reduce_config_selectorIN3c104HalfEEEZNS1_21segmented_reduce_implIS3_PKS6_PS6_PKlS6_N6hipcub16HIPCUB_304000_NS6detail27convert_result_type_wrapperISA_SB_N2at6native12_GLOBAL__N_19CustomMinEEEEE10hipError_tPvRmT0_T1_jT2_SS_T4_T3_P12ihipStream_tbEUlT_E_NS1_11comp_targetILNS1_3genE3ELNS1_11target_archE908ELNS1_3gpuE7ELNS1_3repE0EEENS1_30default_config_static_selectorELNS0_4arch9wavefront6targetE1EEEvSR_.kd
    .uniform_work_group_size: 1
    .uses_dynamic_stack: false
    .vgpr_count:     0
    .vgpr_spill_count: 0
    .wavefront_size: 64
  - .args:
      - .offset:         0
        .size:           48
        .value_kind:     by_value
    .group_segment_fixed_size: 8
    .kernarg_segment_align: 8
    .kernarg_segment_size: 48
    .language:       OpenCL C
    .language_version:
      - 2
      - 0
    .max_flat_workgroup_size: 256
    .name:           _ZN7rocprim17ROCPRIM_400000_NS6detail17trampoline_kernelINS0_14default_configENS1_32segmented_reduce_config_selectorIN3c104HalfEEEZNS1_21segmented_reduce_implIS3_PKS6_PS6_PKlS6_N6hipcub16HIPCUB_304000_NS6detail27convert_result_type_wrapperISA_SB_N2at6native12_GLOBAL__N_19CustomMinEEEEE10hipError_tPvRmT0_T1_jT2_SS_T4_T3_P12ihipStream_tbEUlT_E_NS1_11comp_targetILNS1_3genE2ELNS1_11target_archE906ELNS1_3gpuE6ELNS1_3repE0EEENS1_30default_config_static_selectorELNS0_4arch9wavefront6targetE1EEEvSR_
    .private_segment_fixed_size: 0
    .sgpr_count:     56
    .sgpr_spill_count: 0
    .symbol:         _ZN7rocprim17ROCPRIM_400000_NS6detail17trampoline_kernelINS0_14default_configENS1_32segmented_reduce_config_selectorIN3c104HalfEEEZNS1_21segmented_reduce_implIS3_PKS6_PS6_PKlS6_N6hipcub16HIPCUB_304000_NS6detail27convert_result_type_wrapperISA_SB_N2at6native12_GLOBAL__N_19CustomMinEEEEE10hipError_tPvRmT0_T1_jT2_SS_T4_T3_P12ihipStream_tbEUlT_E_NS1_11comp_targetILNS1_3genE2ELNS1_11target_archE906ELNS1_3gpuE6ELNS1_3repE0EEENS1_30default_config_static_selectorELNS0_4arch9wavefront6targetE1EEEvSR_.kd
    .uniform_work_group_size: 1
    .uses_dynamic_stack: false
    .vgpr_count:     23
    .vgpr_spill_count: 0
    .wavefront_size: 64
  - .args:
      - .offset:         0
        .size:           48
        .value_kind:     by_value
    .group_segment_fixed_size: 0
    .kernarg_segment_align: 8
    .kernarg_segment_size: 48
    .language:       OpenCL C
    .language_version:
      - 2
      - 0
    .max_flat_workgroup_size: 256
    .name:           _ZN7rocprim17ROCPRIM_400000_NS6detail17trampoline_kernelINS0_14default_configENS1_32segmented_reduce_config_selectorIN3c104HalfEEEZNS1_21segmented_reduce_implIS3_PKS6_PS6_PKlS6_N6hipcub16HIPCUB_304000_NS6detail27convert_result_type_wrapperISA_SB_N2at6native12_GLOBAL__N_19CustomMinEEEEE10hipError_tPvRmT0_T1_jT2_SS_T4_T3_P12ihipStream_tbEUlT_E_NS1_11comp_targetILNS1_3genE9ELNS1_11target_archE1100ELNS1_3gpuE3ELNS1_3repE0EEENS1_30default_config_static_selectorELNS0_4arch9wavefront6targetE1EEEvSR_
    .private_segment_fixed_size: 0
    .sgpr_count:     4
    .sgpr_spill_count: 0
    .symbol:         _ZN7rocprim17ROCPRIM_400000_NS6detail17trampoline_kernelINS0_14default_configENS1_32segmented_reduce_config_selectorIN3c104HalfEEEZNS1_21segmented_reduce_implIS3_PKS6_PS6_PKlS6_N6hipcub16HIPCUB_304000_NS6detail27convert_result_type_wrapperISA_SB_N2at6native12_GLOBAL__N_19CustomMinEEEEE10hipError_tPvRmT0_T1_jT2_SS_T4_T3_P12ihipStream_tbEUlT_E_NS1_11comp_targetILNS1_3genE9ELNS1_11target_archE1100ELNS1_3gpuE3ELNS1_3repE0EEENS1_30default_config_static_selectorELNS0_4arch9wavefront6targetE1EEEvSR_.kd
    .uniform_work_group_size: 1
    .uses_dynamic_stack: false
    .vgpr_count:     0
    .vgpr_spill_count: 0
    .wavefront_size: 64
  - .args:
      - .offset:         0
        .size:           48
        .value_kind:     by_value
    .group_segment_fixed_size: 0
    .kernarg_segment_align: 8
    .kernarg_segment_size: 48
    .language:       OpenCL C
    .language_version:
      - 2
      - 0
    .max_flat_workgroup_size: 256
    .name:           _ZN7rocprim17ROCPRIM_400000_NS6detail17trampoline_kernelINS0_14default_configENS1_32segmented_reduce_config_selectorIN3c104HalfEEEZNS1_21segmented_reduce_implIS3_PKS6_PS6_PKlS6_N6hipcub16HIPCUB_304000_NS6detail27convert_result_type_wrapperISA_SB_N2at6native12_GLOBAL__N_19CustomMinEEEEE10hipError_tPvRmT0_T1_jT2_SS_T4_T3_P12ihipStream_tbEUlT_E_NS1_11comp_targetILNS1_3genE8ELNS1_11target_archE1030ELNS1_3gpuE2ELNS1_3repE0EEENS1_30default_config_static_selectorELNS0_4arch9wavefront6targetE1EEEvSR_
    .private_segment_fixed_size: 0
    .sgpr_count:     4
    .sgpr_spill_count: 0
    .symbol:         _ZN7rocprim17ROCPRIM_400000_NS6detail17trampoline_kernelINS0_14default_configENS1_32segmented_reduce_config_selectorIN3c104HalfEEEZNS1_21segmented_reduce_implIS3_PKS6_PS6_PKlS6_N6hipcub16HIPCUB_304000_NS6detail27convert_result_type_wrapperISA_SB_N2at6native12_GLOBAL__N_19CustomMinEEEEE10hipError_tPvRmT0_T1_jT2_SS_T4_T3_P12ihipStream_tbEUlT_E_NS1_11comp_targetILNS1_3genE8ELNS1_11target_archE1030ELNS1_3gpuE2ELNS1_3repE0EEENS1_30default_config_static_selectorELNS0_4arch9wavefront6targetE1EEEvSR_.kd
    .uniform_work_group_size: 1
    .uses_dynamic_stack: false
    .vgpr_count:     0
    .vgpr_spill_count: 0
    .wavefront_size: 64
  - .args:
      - .offset:         0
        .size:           48
        .value_kind:     by_value
    .group_segment_fixed_size: 0
    .kernarg_segment_align: 8
    .kernarg_segment_size: 48
    .language:       OpenCL C
    .language_version:
      - 2
      - 0
    .max_flat_workgroup_size: 256
    .name:           _ZN7rocprim17ROCPRIM_400000_NS6detail17trampoline_kernelINS0_14default_configENS1_32segmented_reduce_config_selectorIN3c104HalfEEEZNS1_21segmented_reduce_implIS3_PKS6_PS6_PKlS6_N6hipcub16HIPCUB_304000_NS6detail27convert_result_type_wrapperISA_SB_N2at6native12_GLOBAL__N_110CustomProdEEEEE10hipError_tPvRmT0_T1_jT2_SS_T4_T3_P12ihipStream_tbEUlT_E_NS1_11comp_targetILNS1_3genE0ELNS1_11target_archE4294967295ELNS1_3gpuE0ELNS1_3repE0EEENS1_30default_config_static_selectorELNS0_4arch9wavefront6targetE1EEEvSR_
    .private_segment_fixed_size: 0
    .sgpr_count:     4
    .sgpr_spill_count: 0
    .symbol:         _ZN7rocprim17ROCPRIM_400000_NS6detail17trampoline_kernelINS0_14default_configENS1_32segmented_reduce_config_selectorIN3c104HalfEEEZNS1_21segmented_reduce_implIS3_PKS6_PS6_PKlS6_N6hipcub16HIPCUB_304000_NS6detail27convert_result_type_wrapperISA_SB_N2at6native12_GLOBAL__N_110CustomProdEEEEE10hipError_tPvRmT0_T1_jT2_SS_T4_T3_P12ihipStream_tbEUlT_E_NS1_11comp_targetILNS1_3genE0ELNS1_11target_archE4294967295ELNS1_3gpuE0ELNS1_3repE0EEENS1_30default_config_static_selectorELNS0_4arch9wavefront6targetE1EEEvSR_.kd
    .uniform_work_group_size: 1
    .uses_dynamic_stack: false
    .vgpr_count:     0
    .vgpr_spill_count: 0
    .wavefront_size: 64
  - .args:
      - .offset:         0
        .size:           48
        .value_kind:     by_value
    .group_segment_fixed_size: 0
    .kernarg_segment_align: 8
    .kernarg_segment_size: 48
    .language:       OpenCL C
    .language_version:
      - 2
      - 0
    .max_flat_workgroup_size: 256
    .name:           _ZN7rocprim17ROCPRIM_400000_NS6detail17trampoline_kernelINS0_14default_configENS1_32segmented_reduce_config_selectorIN3c104HalfEEEZNS1_21segmented_reduce_implIS3_PKS6_PS6_PKlS6_N6hipcub16HIPCUB_304000_NS6detail27convert_result_type_wrapperISA_SB_N2at6native12_GLOBAL__N_110CustomProdEEEEE10hipError_tPvRmT0_T1_jT2_SS_T4_T3_P12ihipStream_tbEUlT_E_NS1_11comp_targetILNS1_3genE5ELNS1_11target_archE942ELNS1_3gpuE9ELNS1_3repE0EEENS1_30default_config_static_selectorELNS0_4arch9wavefront6targetE1EEEvSR_
    .private_segment_fixed_size: 0
    .sgpr_count:     4
    .sgpr_spill_count: 0
    .symbol:         _ZN7rocprim17ROCPRIM_400000_NS6detail17trampoline_kernelINS0_14default_configENS1_32segmented_reduce_config_selectorIN3c104HalfEEEZNS1_21segmented_reduce_implIS3_PKS6_PS6_PKlS6_N6hipcub16HIPCUB_304000_NS6detail27convert_result_type_wrapperISA_SB_N2at6native12_GLOBAL__N_110CustomProdEEEEE10hipError_tPvRmT0_T1_jT2_SS_T4_T3_P12ihipStream_tbEUlT_E_NS1_11comp_targetILNS1_3genE5ELNS1_11target_archE942ELNS1_3gpuE9ELNS1_3repE0EEENS1_30default_config_static_selectorELNS0_4arch9wavefront6targetE1EEEvSR_.kd
    .uniform_work_group_size: 1
    .uses_dynamic_stack: false
    .vgpr_count:     0
    .vgpr_spill_count: 0
    .wavefront_size: 64
  - .args:
      - .offset:         0
        .size:           48
        .value_kind:     by_value
    .group_segment_fixed_size: 0
    .kernarg_segment_align: 8
    .kernarg_segment_size: 48
    .language:       OpenCL C
    .language_version:
      - 2
      - 0
    .max_flat_workgroup_size: 256
    .name:           _ZN7rocprim17ROCPRIM_400000_NS6detail17trampoline_kernelINS0_14default_configENS1_32segmented_reduce_config_selectorIN3c104HalfEEEZNS1_21segmented_reduce_implIS3_PKS6_PS6_PKlS6_N6hipcub16HIPCUB_304000_NS6detail27convert_result_type_wrapperISA_SB_N2at6native12_GLOBAL__N_110CustomProdEEEEE10hipError_tPvRmT0_T1_jT2_SS_T4_T3_P12ihipStream_tbEUlT_E_NS1_11comp_targetILNS1_3genE10ELNS1_11target_archE1201ELNS1_3gpuE5ELNS1_3repE0EEENS1_30default_config_static_selectorELNS0_4arch9wavefront6targetE1EEEvSR_
    .private_segment_fixed_size: 0
    .sgpr_count:     4
    .sgpr_spill_count: 0
    .symbol:         _ZN7rocprim17ROCPRIM_400000_NS6detail17trampoline_kernelINS0_14default_configENS1_32segmented_reduce_config_selectorIN3c104HalfEEEZNS1_21segmented_reduce_implIS3_PKS6_PS6_PKlS6_N6hipcub16HIPCUB_304000_NS6detail27convert_result_type_wrapperISA_SB_N2at6native12_GLOBAL__N_110CustomProdEEEEE10hipError_tPvRmT0_T1_jT2_SS_T4_T3_P12ihipStream_tbEUlT_E_NS1_11comp_targetILNS1_3genE10ELNS1_11target_archE1201ELNS1_3gpuE5ELNS1_3repE0EEENS1_30default_config_static_selectorELNS0_4arch9wavefront6targetE1EEEvSR_.kd
    .uniform_work_group_size: 1
    .uses_dynamic_stack: false
    .vgpr_count:     0
    .vgpr_spill_count: 0
    .wavefront_size: 64
  - .args:
      - .offset:         0
        .size:           48
        .value_kind:     by_value
    .group_segment_fixed_size: 0
    .kernarg_segment_align: 8
    .kernarg_segment_size: 48
    .language:       OpenCL C
    .language_version:
      - 2
      - 0
    .max_flat_workgroup_size: 256
    .name:           _ZN7rocprim17ROCPRIM_400000_NS6detail17trampoline_kernelINS0_14default_configENS1_32segmented_reduce_config_selectorIN3c104HalfEEEZNS1_21segmented_reduce_implIS3_PKS6_PS6_PKlS6_N6hipcub16HIPCUB_304000_NS6detail27convert_result_type_wrapperISA_SB_N2at6native12_GLOBAL__N_110CustomProdEEEEE10hipError_tPvRmT0_T1_jT2_SS_T4_T3_P12ihipStream_tbEUlT_E_NS1_11comp_targetILNS1_3genE4ELNS1_11target_archE910ELNS1_3gpuE8ELNS1_3repE0EEENS1_30default_config_static_selectorELNS0_4arch9wavefront6targetE1EEEvSR_
    .private_segment_fixed_size: 0
    .sgpr_count:     4
    .sgpr_spill_count: 0
    .symbol:         _ZN7rocprim17ROCPRIM_400000_NS6detail17trampoline_kernelINS0_14default_configENS1_32segmented_reduce_config_selectorIN3c104HalfEEEZNS1_21segmented_reduce_implIS3_PKS6_PS6_PKlS6_N6hipcub16HIPCUB_304000_NS6detail27convert_result_type_wrapperISA_SB_N2at6native12_GLOBAL__N_110CustomProdEEEEE10hipError_tPvRmT0_T1_jT2_SS_T4_T3_P12ihipStream_tbEUlT_E_NS1_11comp_targetILNS1_3genE4ELNS1_11target_archE910ELNS1_3gpuE8ELNS1_3repE0EEENS1_30default_config_static_selectorELNS0_4arch9wavefront6targetE1EEEvSR_.kd
    .uniform_work_group_size: 1
    .uses_dynamic_stack: false
    .vgpr_count:     0
    .vgpr_spill_count: 0
    .wavefront_size: 64
  - .args:
      - .offset:         0
        .size:           48
        .value_kind:     by_value
    .group_segment_fixed_size: 0
    .kernarg_segment_align: 8
    .kernarg_segment_size: 48
    .language:       OpenCL C
    .language_version:
      - 2
      - 0
    .max_flat_workgroup_size: 256
    .name:           _ZN7rocprim17ROCPRIM_400000_NS6detail17trampoline_kernelINS0_14default_configENS1_32segmented_reduce_config_selectorIN3c104HalfEEEZNS1_21segmented_reduce_implIS3_PKS6_PS6_PKlS6_N6hipcub16HIPCUB_304000_NS6detail27convert_result_type_wrapperISA_SB_N2at6native12_GLOBAL__N_110CustomProdEEEEE10hipError_tPvRmT0_T1_jT2_SS_T4_T3_P12ihipStream_tbEUlT_E_NS1_11comp_targetILNS1_3genE3ELNS1_11target_archE908ELNS1_3gpuE7ELNS1_3repE0EEENS1_30default_config_static_selectorELNS0_4arch9wavefront6targetE1EEEvSR_
    .private_segment_fixed_size: 0
    .sgpr_count:     4
    .sgpr_spill_count: 0
    .symbol:         _ZN7rocprim17ROCPRIM_400000_NS6detail17trampoline_kernelINS0_14default_configENS1_32segmented_reduce_config_selectorIN3c104HalfEEEZNS1_21segmented_reduce_implIS3_PKS6_PS6_PKlS6_N6hipcub16HIPCUB_304000_NS6detail27convert_result_type_wrapperISA_SB_N2at6native12_GLOBAL__N_110CustomProdEEEEE10hipError_tPvRmT0_T1_jT2_SS_T4_T3_P12ihipStream_tbEUlT_E_NS1_11comp_targetILNS1_3genE3ELNS1_11target_archE908ELNS1_3gpuE7ELNS1_3repE0EEENS1_30default_config_static_selectorELNS0_4arch9wavefront6targetE1EEEvSR_.kd
    .uniform_work_group_size: 1
    .uses_dynamic_stack: false
    .vgpr_count:     0
    .vgpr_spill_count: 0
    .wavefront_size: 64
  - .args:
      - .offset:         0
        .size:           48
        .value_kind:     by_value
    .group_segment_fixed_size: 8
    .kernarg_segment_align: 8
    .kernarg_segment_size: 48
    .language:       OpenCL C
    .language_version:
      - 2
      - 0
    .max_flat_workgroup_size: 256
    .name:           _ZN7rocprim17ROCPRIM_400000_NS6detail17trampoline_kernelINS0_14default_configENS1_32segmented_reduce_config_selectorIN3c104HalfEEEZNS1_21segmented_reduce_implIS3_PKS6_PS6_PKlS6_N6hipcub16HIPCUB_304000_NS6detail27convert_result_type_wrapperISA_SB_N2at6native12_GLOBAL__N_110CustomProdEEEEE10hipError_tPvRmT0_T1_jT2_SS_T4_T3_P12ihipStream_tbEUlT_E_NS1_11comp_targetILNS1_3genE2ELNS1_11target_archE906ELNS1_3gpuE6ELNS1_3repE0EEENS1_30default_config_static_selectorELNS0_4arch9wavefront6targetE1EEEvSR_
    .private_segment_fixed_size: 0
    .sgpr_count:     50
    .sgpr_spill_count: 0
    .symbol:         _ZN7rocprim17ROCPRIM_400000_NS6detail17trampoline_kernelINS0_14default_configENS1_32segmented_reduce_config_selectorIN3c104HalfEEEZNS1_21segmented_reduce_implIS3_PKS6_PS6_PKlS6_N6hipcub16HIPCUB_304000_NS6detail27convert_result_type_wrapperISA_SB_N2at6native12_GLOBAL__N_110CustomProdEEEEE10hipError_tPvRmT0_T1_jT2_SS_T4_T3_P12ihipStream_tbEUlT_E_NS1_11comp_targetILNS1_3genE2ELNS1_11target_archE906ELNS1_3gpuE6ELNS1_3repE0EEENS1_30default_config_static_selectorELNS0_4arch9wavefront6targetE1EEEvSR_.kd
    .uniform_work_group_size: 1
    .uses_dynamic_stack: false
    .vgpr_count:     23
    .vgpr_spill_count: 0
    .wavefront_size: 64
  - .args:
      - .offset:         0
        .size:           48
        .value_kind:     by_value
    .group_segment_fixed_size: 0
    .kernarg_segment_align: 8
    .kernarg_segment_size: 48
    .language:       OpenCL C
    .language_version:
      - 2
      - 0
    .max_flat_workgroup_size: 256
    .name:           _ZN7rocprim17ROCPRIM_400000_NS6detail17trampoline_kernelINS0_14default_configENS1_32segmented_reduce_config_selectorIN3c104HalfEEEZNS1_21segmented_reduce_implIS3_PKS6_PS6_PKlS6_N6hipcub16HIPCUB_304000_NS6detail27convert_result_type_wrapperISA_SB_N2at6native12_GLOBAL__N_110CustomProdEEEEE10hipError_tPvRmT0_T1_jT2_SS_T4_T3_P12ihipStream_tbEUlT_E_NS1_11comp_targetILNS1_3genE9ELNS1_11target_archE1100ELNS1_3gpuE3ELNS1_3repE0EEENS1_30default_config_static_selectorELNS0_4arch9wavefront6targetE1EEEvSR_
    .private_segment_fixed_size: 0
    .sgpr_count:     4
    .sgpr_spill_count: 0
    .symbol:         _ZN7rocprim17ROCPRIM_400000_NS6detail17trampoline_kernelINS0_14default_configENS1_32segmented_reduce_config_selectorIN3c104HalfEEEZNS1_21segmented_reduce_implIS3_PKS6_PS6_PKlS6_N6hipcub16HIPCUB_304000_NS6detail27convert_result_type_wrapperISA_SB_N2at6native12_GLOBAL__N_110CustomProdEEEEE10hipError_tPvRmT0_T1_jT2_SS_T4_T3_P12ihipStream_tbEUlT_E_NS1_11comp_targetILNS1_3genE9ELNS1_11target_archE1100ELNS1_3gpuE3ELNS1_3repE0EEENS1_30default_config_static_selectorELNS0_4arch9wavefront6targetE1EEEvSR_.kd
    .uniform_work_group_size: 1
    .uses_dynamic_stack: false
    .vgpr_count:     0
    .vgpr_spill_count: 0
    .wavefront_size: 64
  - .args:
      - .offset:         0
        .size:           48
        .value_kind:     by_value
    .group_segment_fixed_size: 0
    .kernarg_segment_align: 8
    .kernarg_segment_size: 48
    .language:       OpenCL C
    .language_version:
      - 2
      - 0
    .max_flat_workgroup_size: 256
    .name:           _ZN7rocprim17ROCPRIM_400000_NS6detail17trampoline_kernelINS0_14default_configENS1_32segmented_reduce_config_selectorIN3c104HalfEEEZNS1_21segmented_reduce_implIS3_PKS6_PS6_PKlS6_N6hipcub16HIPCUB_304000_NS6detail27convert_result_type_wrapperISA_SB_N2at6native12_GLOBAL__N_110CustomProdEEEEE10hipError_tPvRmT0_T1_jT2_SS_T4_T3_P12ihipStream_tbEUlT_E_NS1_11comp_targetILNS1_3genE8ELNS1_11target_archE1030ELNS1_3gpuE2ELNS1_3repE0EEENS1_30default_config_static_selectorELNS0_4arch9wavefront6targetE1EEEvSR_
    .private_segment_fixed_size: 0
    .sgpr_count:     4
    .sgpr_spill_count: 0
    .symbol:         _ZN7rocprim17ROCPRIM_400000_NS6detail17trampoline_kernelINS0_14default_configENS1_32segmented_reduce_config_selectorIN3c104HalfEEEZNS1_21segmented_reduce_implIS3_PKS6_PS6_PKlS6_N6hipcub16HIPCUB_304000_NS6detail27convert_result_type_wrapperISA_SB_N2at6native12_GLOBAL__N_110CustomProdEEEEE10hipError_tPvRmT0_T1_jT2_SS_T4_T3_P12ihipStream_tbEUlT_E_NS1_11comp_targetILNS1_3genE8ELNS1_11target_archE1030ELNS1_3gpuE2ELNS1_3repE0EEENS1_30default_config_static_selectorELNS0_4arch9wavefront6targetE1EEEvSR_.kd
    .uniform_work_group_size: 1
    .uses_dynamic_stack: false
    .vgpr_count:     0
    .vgpr_spill_count: 0
    .wavefront_size: 64
  - .args:
      - .offset:         0
        .size:           4
        .value_kind:     by_value
      - .address_space:  global
        .offset:         8
        .size:           8
        .value_kind:     global_buffer
      - .address_space:  global
        .offset:         16
        .size:           8
        .value_kind:     global_buffer
      - .address_space:  global
        .offset:         24
        .size:           8
        .value_kind:     global_buffer
      - .address_space:  global
        .offset:         32
        .size:           8
        .value_kind:     global_buffer
      - .offset:         40
        .size:           8
        .value_kind:     by_value
      - .offset:         48
        .size:           8
        .value_kind:     by_value
      - .offset:         56
        .size:           1
        .value_kind:     by_value
      - .offset:         58
        .size:           2
        .value_kind:     by_value
      - .offset:         64
        .size:           8
        .value_kind:     by_value
      - .offset:         72
        .size:           8
        .value_kind:     by_value
      - .offset:         80
        .size:           8
        .value_kind:     by_value
      - .offset:         88
        .size:           8
        .value_kind:     by_value
      - .offset:         96
        .size:           8
        .value_kind:     by_value
      - .offset:         104
        .size:           8
        .value_kind:     by_value
      - .offset:         112
        .size:           8
        .value_kind:     by_value
      - .offset:         120
        .size:           4
        .value_kind:     hidden_block_count_x
      - .offset:         124
        .size:           4
        .value_kind:     hidden_block_count_y
      - .offset:         128
        .size:           4
        .value_kind:     hidden_block_count_z
      - .offset:         132
        .size:           2
        .value_kind:     hidden_group_size_x
      - .offset:         134
        .size:           2
        .value_kind:     hidden_group_size_y
      - .offset:         136
        .size:           2
        .value_kind:     hidden_group_size_z
      - .offset:         138
        .size:           2
        .value_kind:     hidden_remainder_x
      - .offset:         140
        .size:           2
        .value_kind:     hidden_remainder_y
      - .offset:         142
        .size:           2
        .value_kind:     hidden_remainder_z
      - .offset:         160
        .size:           8
        .value_kind:     hidden_global_offset_x
      - .offset:         168
        .size:           8
        .value_kind:     hidden_global_offset_y
      - .offset:         176
        .size:           8
        .value_kind:     hidden_global_offset_z
      - .offset:         184
        .size:           2
        .value_kind:     hidden_grid_dims
    .group_segment_fixed_size: 0
    .kernarg_segment_align: 8
    .kernarg_segment_size: 376
    .language:       OpenCL C
    .language_version:
      - 2
      - 0
    .max_flat_workgroup_size: 1024
    .name:           _ZN2at6native12_GLOBAL__N_129segment_reduce_forward_kernelIN3c108BFloat16ElEEvNS0_13ReductionTypeEPT_PKS6_PKT0_SC_llbS6_lllllll
    .private_segment_fixed_size: 0
    .sgpr_count:     46
    .sgpr_spill_count: 0
    .symbol:         _ZN2at6native12_GLOBAL__N_129segment_reduce_forward_kernelIN3c108BFloat16ElEEvNS0_13ReductionTypeEPT_PKS6_PKT0_SC_llbS6_lllllll.kd
    .uniform_work_group_size: 1
    .uses_dynamic_stack: false
    .vgpr_count:     24
    .vgpr_spill_count: 0
    .wavefront_size: 64
  - .args:
      - .offset:         0
        .size:           48
        .value_kind:     by_value
    .group_segment_fixed_size: 0
    .kernarg_segment_align: 8
    .kernarg_segment_size: 48
    .language:       OpenCL C
    .language_version:
      - 2
      - 0
    .max_flat_workgroup_size: 256
    .name:           _ZN7rocprim17ROCPRIM_400000_NS6detail17trampoline_kernelINS0_14default_configENS1_32segmented_reduce_config_selectorIN3c108BFloat16EEEZNS1_21segmented_reduce_implIS3_PKS6_PS6_PKlS6_N6hipcub16HIPCUB_304000_NS6detail27convert_result_type_wrapperISA_SB_N2at6native12_GLOBAL__N_19CustomMaxEEEEE10hipError_tPvRmT0_T1_jT2_SS_T4_T3_P12ihipStream_tbEUlT_E_NS1_11comp_targetILNS1_3genE0ELNS1_11target_archE4294967295ELNS1_3gpuE0ELNS1_3repE0EEENS1_30default_config_static_selectorELNS0_4arch9wavefront6targetE1EEEvSR_
    .private_segment_fixed_size: 0
    .sgpr_count:     4
    .sgpr_spill_count: 0
    .symbol:         _ZN7rocprim17ROCPRIM_400000_NS6detail17trampoline_kernelINS0_14default_configENS1_32segmented_reduce_config_selectorIN3c108BFloat16EEEZNS1_21segmented_reduce_implIS3_PKS6_PS6_PKlS6_N6hipcub16HIPCUB_304000_NS6detail27convert_result_type_wrapperISA_SB_N2at6native12_GLOBAL__N_19CustomMaxEEEEE10hipError_tPvRmT0_T1_jT2_SS_T4_T3_P12ihipStream_tbEUlT_E_NS1_11comp_targetILNS1_3genE0ELNS1_11target_archE4294967295ELNS1_3gpuE0ELNS1_3repE0EEENS1_30default_config_static_selectorELNS0_4arch9wavefront6targetE1EEEvSR_.kd
    .uniform_work_group_size: 1
    .uses_dynamic_stack: false
    .vgpr_count:     0
    .vgpr_spill_count: 0
    .wavefront_size: 64
  - .args:
      - .offset:         0
        .size:           48
        .value_kind:     by_value
    .group_segment_fixed_size: 0
    .kernarg_segment_align: 8
    .kernarg_segment_size: 48
    .language:       OpenCL C
    .language_version:
      - 2
      - 0
    .max_flat_workgroup_size: 256
    .name:           _ZN7rocprim17ROCPRIM_400000_NS6detail17trampoline_kernelINS0_14default_configENS1_32segmented_reduce_config_selectorIN3c108BFloat16EEEZNS1_21segmented_reduce_implIS3_PKS6_PS6_PKlS6_N6hipcub16HIPCUB_304000_NS6detail27convert_result_type_wrapperISA_SB_N2at6native12_GLOBAL__N_19CustomMaxEEEEE10hipError_tPvRmT0_T1_jT2_SS_T4_T3_P12ihipStream_tbEUlT_E_NS1_11comp_targetILNS1_3genE5ELNS1_11target_archE942ELNS1_3gpuE9ELNS1_3repE0EEENS1_30default_config_static_selectorELNS0_4arch9wavefront6targetE1EEEvSR_
    .private_segment_fixed_size: 0
    .sgpr_count:     4
    .sgpr_spill_count: 0
    .symbol:         _ZN7rocprim17ROCPRIM_400000_NS6detail17trampoline_kernelINS0_14default_configENS1_32segmented_reduce_config_selectorIN3c108BFloat16EEEZNS1_21segmented_reduce_implIS3_PKS6_PS6_PKlS6_N6hipcub16HIPCUB_304000_NS6detail27convert_result_type_wrapperISA_SB_N2at6native12_GLOBAL__N_19CustomMaxEEEEE10hipError_tPvRmT0_T1_jT2_SS_T4_T3_P12ihipStream_tbEUlT_E_NS1_11comp_targetILNS1_3genE5ELNS1_11target_archE942ELNS1_3gpuE9ELNS1_3repE0EEENS1_30default_config_static_selectorELNS0_4arch9wavefront6targetE1EEEvSR_.kd
    .uniform_work_group_size: 1
    .uses_dynamic_stack: false
    .vgpr_count:     0
    .vgpr_spill_count: 0
    .wavefront_size: 64
  - .args:
      - .offset:         0
        .size:           48
        .value_kind:     by_value
    .group_segment_fixed_size: 0
    .kernarg_segment_align: 8
    .kernarg_segment_size: 48
    .language:       OpenCL C
    .language_version:
      - 2
      - 0
    .max_flat_workgroup_size: 256
    .name:           _ZN7rocprim17ROCPRIM_400000_NS6detail17trampoline_kernelINS0_14default_configENS1_32segmented_reduce_config_selectorIN3c108BFloat16EEEZNS1_21segmented_reduce_implIS3_PKS6_PS6_PKlS6_N6hipcub16HIPCUB_304000_NS6detail27convert_result_type_wrapperISA_SB_N2at6native12_GLOBAL__N_19CustomMaxEEEEE10hipError_tPvRmT0_T1_jT2_SS_T4_T3_P12ihipStream_tbEUlT_E_NS1_11comp_targetILNS1_3genE10ELNS1_11target_archE1201ELNS1_3gpuE5ELNS1_3repE0EEENS1_30default_config_static_selectorELNS0_4arch9wavefront6targetE1EEEvSR_
    .private_segment_fixed_size: 0
    .sgpr_count:     4
    .sgpr_spill_count: 0
    .symbol:         _ZN7rocprim17ROCPRIM_400000_NS6detail17trampoline_kernelINS0_14default_configENS1_32segmented_reduce_config_selectorIN3c108BFloat16EEEZNS1_21segmented_reduce_implIS3_PKS6_PS6_PKlS6_N6hipcub16HIPCUB_304000_NS6detail27convert_result_type_wrapperISA_SB_N2at6native12_GLOBAL__N_19CustomMaxEEEEE10hipError_tPvRmT0_T1_jT2_SS_T4_T3_P12ihipStream_tbEUlT_E_NS1_11comp_targetILNS1_3genE10ELNS1_11target_archE1201ELNS1_3gpuE5ELNS1_3repE0EEENS1_30default_config_static_selectorELNS0_4arch9wavefront6targetE1EEEvSR_.kd
    .uniform_work_group_size: 1
    .uses_dynamic_stack: false
    .vgpr_count:     0
    .vgpr_spill_count: 0
    .wavefront_size: 64
  - .args:
      - .offset:         0
        .size:           48
        .value_kind:     by_value
    .group_segment_fixed_size: 0
    .kernarg_segment_align: 8
    .kernarg_segment_size: 48
    .language:       OpenCL C
    .language_version:
      - 2
      - 0
    .max_flat_workgroup_size: 256
    .name:           _ZN7rocprim17ROCPRIM_400000_NS6detail17trampoline_kernelINS0_14default_configENS1_32segmented_reduce_config_selectorIN3c108BFloat16EEEZNS1_21segmented_reduce_implIS3_PKS6_PS6_PKlS6_N6hipcub16HIPCUB_304000_NS6detail27convert_result_type_wrapperISA_SB_N2at6native12_GLOBAL__N_19CustomMaxEEEEE10hipError_tPvRmT0_T1_jT2_SS_T4_T3_P12ihipStream_tbEUlT_E_NS1_11comp_targetILNS1_3genE4ELNS1_11target_archE910ELNS1_3gpuE8ELNS1_3repE0EEENS1_30default_config_static_selectorELNS0_4arch9wavefront6targetE1EEEvSR_
    .private_segment_fixed_size: 0
    .sgpr_count:     4
    .sgpr_spill_count: 0
    .symbol:         _ZN7rocprim17ROCPRIM_400000_NS6detail17trampoline_kernelINS0_14default_configENS1_32segmented_reduce_config_selectorIN3c108BFloat16EEEZNS1_21segmented_reduce_implIS3_PKS6_PS6_PKlS6_N6hipcub16HIPCUB_304000_NS6detail27convert_result_type_wrapperISA_SB_N2at6native12_GLOBAL__N_19CustomMaxEEEEE10hipError_tPvRmT0_T1_jT2_SS_T4_T3_P12ihipStream_tbEUlT_E_NS1_11comp_targetILNS1_3genE4ELNS1_11target_archE910ELNS1_3gpuE8ELNS1_3repE0EEENS1_30default_config_static_selectorELNS0_4arch9wavefront6targetE1EEEvSR_.kd
    .uniform_work_group_size: 1
    .uses_dynamic_stack: false
    .vgpr_count:     0
    .vgpr_spill_count: 0
    .wavefront_size: 64
  - .args:
      - .offset:         0
        .size:           48
        .value_kind:     by_value
    .group_segment_fixed_size: 0
    .kernarg_segment_align: 8
    .kernarg_segment_size: 48
    .language:       OpenCL C
    .language_version:
      - 2
      - 0
    .max_flat_workgroup_size: 256
    .name:           _ZN7rocprim17ROCPRIM_400000_NS6detail17trampoline_kernelINS0_14default_configENS1_32segmented_reduce_config_selectorIN3c108BFloat16EEEZNS1_21segmented_reduce_implIS3_PKS6_PS6_PKlS6_N6hipcub16HIPCUB_304000_NS6detail27convert_result_type_wrapperISA_SB_N2at6native12_GLOBAL__N_19CustomMaxEEEEE10hipError_tPvRmT0_T1_jT2_SS_T4_T3_P12ihipStream_tbEUlT_E_NS1_11comp_targetILNS1_3genE3ELNS1_11target_archE908ELNS1_3gpuE7ELNS1_3repE0EEENS1_30default_config_static_selectorELNS0_4arch9wavefront6targetE1EEEvSR_
    .private_segment_fixed_size: 0
    .sgpr_count:     4
    .sgpr_spill_count: 0
    .symbol:         _ZN7rocprim17ROCPRIM_400000_NS6detail17trampoline_kernelINS0_14default_configENS1_32segmented_reduce_config_selectorIN3c108BFloat16EEEZNS1_21segmented_reduce_implIS3_PKS6_PS6_PKlS6_N6hipcub16HIPCUB_304000_NS6detail27convert_result_type_wrapperISA_SB_N2at6native12_GLOBAL__N_19CustomMaxEEEEE10hipError_tPvRmT0_T1_jT2_SS_T4_T3_P12ihipStream_tbEUlT_E_NS1_11comp_targetILNS1_3genE3ELNS1_11target_archE908ELNS1_3gpuE7ELNS1_3repE0EEENS1_30default_config_static_selectorELNS0_4arch9wavefront6targetE1EEEvSR_.kd
    .uniform_work_group_size: 1
    .uses_dynamic_stack: false
    .vgpr_count:     0
    .vgpr_spill_count: 0
    .wavefront_size: 64
  - .args:
      - .offset:         0
        .size:           48
        .value_kind:     by_value
    .group_segment_fixed_size: 8
    .kernarg_segment_align: 8
    .kernarg_segment_size: 48
    .language:       OpenCL C
    .language_version:
      - 2
      - 0
    .max_flat_workgroup_size: 256
    .name:           _ZN7rocprim17ROCPRIM_400000_NS6detail17trampoline_kernelINS0_14default_configENS1_32segmented_reduce_config_selectorIN3c108BFloat16EEEZNS1_21segmented_reduce_implIS3_PKS6_PS6_PKlS6_N6hipcub16HIPCUB_304000_NS6detail27convert_result_type_wrapperISA_SB_N2at6native12_GLOBAL__N_19CustomMaxEEEEE10hipError_tPvRmT0_T1_jT2_SS_T4_T3_P12ihipStream_tbEUlT_E_NS1_11comp_targetILNS1_3genE2ELNS1_11target_archE906ELNS1_3gpuE6ELNS1_3repE0EEENS1_30default_config_static_selectorELNS0_4arch9wavefront6targetE1EEEvSR_
    .private_segment_fixed_size: 0
    .sgpr_count:     56
    .sgpr_spill_count: 0
    .symbol:         _ZN7rocprim17ROCPRIM_400000_NS6detail17trampoline_kernelINS0_14default_configENS1_32segmented_reduce_config_selectorIN3c108BFloat16EEEZNS1_21segmented_reduce_implIS3_PKS6_PS6_PKlS6_N6hipcub16HIPCUB_304000_NS6detail27convert_result_type_wrapperISA_SB_N2at6native12_GLOBAL__N_19CustomMaxEEEEE10hipError_tPvRmT0_T1_jT2_SS_T4_T3_P12ihipStream_tbEUlT_E_NS1_11comp_targetILNS1_3genE2ELNS1_11target_archE906ELNS1_3gpuE6ELNS1_3repE0EEENS1_30default_config_static_selectorELNS0_4arch9wavefront6targetE1EEEvSR_.kd
    .uniform_work_group_size: 1
    .uses_dynamic_stack: false
    .vgpr_count:     24
    .vgpr_spill_count: 0
    .wavefront_size: 64
  - .args:
      - .offset:         0
        .size:           48
        .value_kind:     by_value
    .group_segment_fixed_size: 0
    .kernarg_segment_align: 8
    .kernarg_segment_size: 48
    .language:       OpenCL C
    .language_version:
      - 2
      - 0
    .max_flat_workgroup_size: 256
    .name:           _ZN7rocprim17ROCPRIM_400000_NS6detail17trampoline_kernelINS0_14default_configENS1_32segmented_reduce_config_selectorIN3c108BFloat16EEEZNS1_21segmented_reduce_implIS3_PKS6_PS6_PKlS6_N6hipcub16HIPCUB_304000_NS6detail27convert_result_type_wrapperISA_SB_N2at6native12_GLOBAL__N_19CustomMaxEEEEE10hipError_tPvRmT0_T1_jT2_SS_T4_T3_P12ihipStream_tbEUlT_E_NS1_11comp_targetILNS1_3genE9ELNS1_11target_archE1100ELNS1_3gpuE3ELNS1_3repE0EEENS1_30default_config_static_selectorELNS0_4arch9wavefront6targetE1EEEvSR_
    .private_segment_fixed_size: 0
    .sgpr_count:     4
    .sgpr_spill_count: 0
    .symbol:         _ZN7rocprim17ROCPRIM_400000_NS6detail17trampoline_kernelINS0_14default_configENS1_32segmented_reduce_config_selectorIN3c108BFloat16EEEZNS1_21segmented_reduce_implIS3_PKS6_PS6_PKlS6_N6hipcub16HIPCUB_304000_NS6detail27convert_result_type_wrapperISA_SB_N2at6native12_GLOBAL__N_19CustomMaxEEEEE10hipError_tPvRmT0_T1_jT2_SS_T4_T3_P12ihipStream_tbEUlT_E_NS1_11comp_targetILNS1_3genE9ELNS1_11target_archE1100ELNS1_3gpuE3ELNS1_3repE0EEENS1_30default_config_static_selectorELNS0_4arch9wavefront6targetE1EEEvSR_.kd
    .uniform_work_group_size: 1
    .uses_dynamic_stack: false
    .vgpr_count:     0
    .vgpr_spill_count: 0
    .wavefront_size: 64
  - .args:
      - .offset:         0
        .size:           48
        .value_kind:     by_value
    .group_segment_fixed_size: 0
    .kernarg_segment_align: 8
    .kernarg_segment_size: 48
    .language:       OpenCL C
    .language_version:
      - 2
      - 0
    .max_flat_workgroup_size: 256
    .name:           _ZN7rocprim17ROCPRIM_400000_NS6detail17trampoline_kernelINS0_14default_configENS1_32segmented_reduce_config_selectorIN3c108BFloat16EEEZNS1_21segmented_reduce_implIS3_PKS6_PS6_PKlS6_N6hipcub16HIPCUB_304000_NS6detail27convert_result_type_wrapperISA_SB_N2at6native12_GLOBAL__N_19CustomMaxEEEEE10hipError_tPvRmT0_T1_jT2_SS_T4_T3_P12ihipStream_tbEUlT_E_NS1_11comp_targetILNS1_3genE8ELNS1_11target_archE1030ELNS1_3gpuE2ELNS1_3repE0EEENS1_30default_config_static_selectorELNS0_4arch9wavefront6targetE1EEEvSR_
    .private_segment_fixed_size: 0
    .sgpr_count:     4
    .sgpr_spill_count: 0
    .symbol:         _ZN7rocprim17ROCPRIM_400000_NS6detail17trampoline_kernelINS0_14default_configENS1_32segmented_reduce_config_selectorIN3c108BFloat16EEEZNS1_21segmented_reduce_implIS3_PKS6_PS6_PKlS6_N6hipcub16HIPCUB_304000_NS6detail27convert_result_type_wrapperISA_SB_N2at6native12_GLOBAL__N_19CustomMaxEEEEE10hipError_tPvRmT0_T1_jT2_SS_T4_T3_P12ihipStream_tbEUlT_E_NS1_11comp_targetILNS1_3genE8ELNS1_11target_archE1030ELNS1_3gpuE2ELNS1_3repE0EEENS1_30default_config_static_selectorELNS0_4arch9wavefront6targetE1EEEvSR_.kd
    .uniform_work_group_size: 1
    .uses_dynamic_stack: false
    .vgpr_count:     0
    .vgpr_spill_count: 0
    .wavefront_size: 64
  - .args:
      - .offset:         0
        .size:           48
        .value_kind:     by_value
    .group_segment_fixed_size: 0
    .kernarg_segment_align: 8
    .kernarg_segment_size: 48
    .language:       OpenCL C
    .language_version:
      - 2
      - 0
    .max_flat_workgroup_size: 256
    .name:           _ZN7rocprim17ROCPRIM_400000_NS6detail17trampoline_kernelINS0_14default_configENS1_32segmented_reduce_config_selectorIN3c108BFloat16EEEZNS1_21segmented_reduce_implIS3_PKS6_PS6_PKlS6_N6hipcub16HIPCUB_304000_NS6detail27convert_result_type_wrapperISA_SB_N2at6native12_GLOBAL__N_19CustomSumEEEEE10hipError_tPvRmT0_T1_jT2_SS_T4_T3_P12ihipStream_tbEUlT_E_NS1_11comp_targetILNS1_3genE0ELNS1_11target_archE4294967295ELNS1_3gpuE0ELNS1_3repE0EEENS1_30default_config_static_selectorELNS0_4arch9wavefront6targetE1EEEvSR_
    .private_segment_fixed_size: 0
    .sgpr_count:     4
    .sgpr_spill_count: 0
    .symbol:         _ZN7rocprim17ROCPRIM_400000_NS6detail17trampoline_kernelINS0_14default_configENS1_32segmented_reduce_config_selectorIN3c108BFloat16EEEZNS1_21segmented_reduce_implIS3_PKS6_PS6_PKlS6_N6hipcub16HIPCUB_304000_NS6detail27convert_result_type_wrapperISA_SB_N2at6native12_GLOBAL__N_19CustomSumEEEEE10hipError_tPvRmT0_T1_jT2_SS_T4_T3_P12ihipStream_tbEUlT_E_NS1_11comp_targetILNS1_3genE0ELNS1_11target_archE4294967295ELNS1_3gpuE0ELNS1_3repE0EEENS1_30default_config_static_selectorELNS0_4arch9wavefront6targetE1EEEvSR_.kd
    .uniform_work_group_size: 1
    .uses_dynamic_stack: false
    .vgpr_count:     0
    .vgpr_spill_count: 0
    .wavefront_size: 64
  - .args:
      - .offset:         0
        .size:           48
        .value_kind:     by_value
    .group_segment_fixed_size: 0
    .kernarg_segment_align: 8
    .kernarg_segment_size: 48
    .language:       OpenCL C
    .language_version:
      - 2
      - 0
    .max_flat_workgroup_size: 256
    .name:           _ZN7rocprim17ROCPRIM_400000_NS6detail17trampoline_kernelINS0_14default_configENS1_32segmented_reduce_config_selectorIN3c108BFloat16EEEZNS1_21segmented_reduce_implIS3_PKS6_PS6_PKlS6_N6hipcub16HIPCUB_304000_NS6detail27convert_result_type_wrapperISA_SB_N2at6native12_GLOBAL__N_19CustomSumEEEEE10hipError_tPvRmT0_T1_jT2_SS_T4_T3_P12ihipStream_tbEUlT_E_NS1_11comp_targetILNS1_3genE5ELNS1_11target_archE942ELNS1_3gpuE9ELNS1_3repE0EEENS1_30default_config_static_selectorELNS0_4arch9wavefront6targetE1EEEvSR_
    .private_segment_fixed_size: 0
    .sgpr_count:     4
    .sgpr_spill_count: 0
    .symbol:         _ZN7rocprim17ROCPRIM_400000_NS6detail17trampoline_kernelINS0_14default_configENS1_32segmented_reduce_config_selectorIN3c108BFloat16EEEZNS1_21segmented_reduce_implIS3_PKS6_PS6_PKlS6_N6hipcub16HIPCUB_304000_NS6detail27convert_result_type_wrapperISA_SB_N2at6native12_GLOBAL__N_19CustomSumEEEEE10hipError_tPvRmT0_T1_jT2_SS_T4_T3_P12ihipStream_tbEUlT_E_NS1_11comp_targetILNS1_3genE5ELNS1_11target_archE942ELNS1_3gpuE9ELNS1_3repE0EEENS1_30default_config_static_selectorELNS0_4arch9wavefront6targetE1EEEvSR_.kd
    .uniform_work_group_size: 1
    .uses_dynamic_stack: false
    .vgpr_count:     0
    .vgpr_spill_count: 0
    .wavefront_size: 64
  - .args:
      - .offset:         0
        .size:           48
        .value_kind:     by_value
    .group_segment_fixed_size: 0
    .kernarg_segment_align: 8
    .kernarg_segment_size: 48
    .language:       OpenCL C
    .language_version:
      - 2
      - 0
    .max_flat_workgroup_size: 256
    .name:           _ZN7rocprim17ROCPRIM_400000_NS6detail17trampoline_kernelINS0_14default_configENS1_32segmented_reduce_config_selectorIN3c108BFloat16EEEZNS1_21segmented_reduce_implIS3_PKS6_PS6_PKlS6_N6hipcub16HIPCUB_304000_NS6detail27convert_result_type_wrapperISA_SB_N2at6native12_GLOBAL__N_19CustomSumEEEEE10hipError_tPvRmT0_T1_jT2_SS_T4_T3_P12ihipStream_tbEUlT_E_NS1_11comp_targetILNS1_3genE10ELNS1_11target_archE1201ELNS1_3gpuE5ELNS1_3repE0EEENS1_30default_config_static_selectorELNS0_4arch9wavefront6targetE1EEEvSR_
    .private_segment_fixed_size: 0
    .sgpr_count:     4
    .sgpr_spill_count: 0
    .symbol:         _ZN7rocprim17ROCPRIM_400000_NS6detail17trampoline_kernelINS0_14default_configENS1_32segmented_reduce_config_selectorIN3c108BFloat16EEEZNS1_21segmented_reduce_implIS3_PKS6_PS6_PKlS6_N6hipcub16HIPCUB_304000_NS6detail27convert_result_type_wrapperISA_SB_N2at6native12_GLOBAL__N_19CustomSumEEEEE10hipError_tPvRmT0_T1_jT2_SS_T4_T3_P12ihipStream_tbEUlT_E_NS1_11comp_targetILNS1_3genE10ELNS1_11target_archE1201ELNS1_3gpuE5ELNS1_3repE0EEENS1_30default_config_static_selectorELNS0_4arch9wavefront6targetE1EEEvSR_.kd
    .uniform_work_group_size: 1
    .uses_dynamic_stack: false
    .vgpr_count:     0
    .vgpr_spill_count: 0
    .wavefront_size: 64
  - .args:
      - .offset:         0
        .size:           48
        .value_kind:     by_value
    .group_segment_fixed_size: 0
    .kernarg_segment_align: 8
    .kernarg_segment_size: 48
    .language:       OpenCL C
    .language_version:
      - 2
      - 0
    .max_flat_workgroup_size: 256
    .name:           _ZN7rocprim17ROCPRIM_400000_NS6detail17trampoline_kernelINS0_14default_configENS1_32segmented_reduce_config_selectorIN3c108BFloat16EEEZNS1_21segmented_reduce_implIS3_PKS6_PS6_PKlS6_N6hipcub16HIPCUB_304000_NS6detail27convert_result_type_wrapperISA_SB_N2at6native12_GLOBAL__N_19CustomSumEEEEE10hipError_tPvRmT0_T1_jT2_SS_T4_T3_P12ihipStream_tbEUlT_E_NS1_11comp_targetILNS1_3genE4ELNS1_11target_archE910ELNS1_3gpuE8ELNS1_3repE0EEENS1_30default_config_static_selectorELNS0_4arch9wavefront6targetE1EEEvSR_
    .private_segment_fixed_size: 0
    .sgpr_count:     4
    .sgpr_spill_count: 0
    .symbol:         _ZN7rocprim17ROCPRIM_400000_NS6detail17trampoline_kernelINS0_14default_configENS1_32segmented_reduce_config_selectorIN3c108BFloat16EEEZNS1_21segmented_reduce_implIS3_PKS6_PS6_PKlS6_N6hipcub16HIPCUB_304000_NS6detail27convert_result_type_wrapperISA_SB_N2at6native12_GLOBAL__N_19CustomSumEEEEE10hipError_tPvRmT0_T1_jT2_SS_T4_T3_P12ihipStream_tbEUlT_E_NS1_11comp_targetILNS1_3genE4ELNS1_11target_archE910ELNS1_3gpuE8ELNS1_3repE0EEENS1_30default_config_static_selectorELNS0_4arch9wavefront6targetE1EEEvSR_.kd
    .uniform_work_group_size: 1
    .uses_dynamic_stack: false
    .vgpr_count:     0
    .vgpr_spill_count: 0
    .wavefront_size: 64
  - .args:
      - .offset:         0
        .size:           48
        .value_kind:     by_value
    .group_segment_fixed_size: 0
    .kernarg_segment_align: 8
    .kernarg_segment_size: 48
    .language:       OpenCL C
    .language_version:
      - 2
      - 0
    .max_flat_workgroup_size: 256
    .name:           _ZN7rocprim17ROCPRIM_400000_NS6detail17trampoline_kernelINS0_14default_configENS1_32segmented_reduce_config_selectorIN3c108BFloat16EEEZNS1_21segmented_reduce_implIS3_PKS6_PS6_PKlS6_N6hipcub16HIPCUB_304000_NS6detail27convert_result_type_wrapperISA_SB_N2at6native12_GLOBAL__N_19CustomSumEEEEE10hipError_tPvRmT0_T1_jT2_SS_T4_T3_P12ihipStream_tbEUlT_E_NS1_11comp_targetILNS1_3genE3ELNS1_11target_archE908ELNS1_3gpuE7ELNS1_3repE0EEENS1_30default_config_static_selectorELNS0_4arch9wavefront6targetE1EEEvSR_
    .private_segment_fixed_size: 0
    .sgpr_count:     4
    .sgpr_spill_count: 0
    .symbol:         _ZN7rocprim17ROCPRIM_400000_NS6detail17trampoline_kernelINS0_14default_configENS1_32segmented_reduce_config_selectorIN3c108BFloat16EEEZNS1_21segmented_reduce_implIS3_PKS6_PS6_PKlS6_N6hipcub16HIPCUB_304000_NS6detail27convert_result_type_wrapperISA_SB_N2at6native12_GLOBAL__N_19CustomSumEEEEE10hipError_tPvRmT0_T1_jT2_SS_T4_T3_P12ihipStream_tbEUlT_E_NS1_11comp_targetILNS1_3genE3ELNS1_11target_archE908ELNS1_3gpuE7ELNS1_3repE0EEENS1_30default_config_static_selectorELNS0_4arch9wavefront6targetE1EEEvSR_.kd
    .uniform_work_group_size: 1
    .uses_dynamic_stack: false
    .vgpr_count:     0
    .vgpr_spill_count: 0
    .wavefront_size: 64
  - .args:
      - .offset:         0
        .size:           48
        .value_kind:     by_value
    .group_segment_fixed_size: 8
    .kernarg_segment_align: 8
    .kernarg_segment_size: 48
    .language:       OpenCL C
    .language_version:
      - 2
      - 0
    .max_flat_workgroup_size: 256
    .name:           _ZN7rocprim17ROCPRIM_400000_NS6detail17trampoline_kernelINS0_14default_configENS1_32segmented_reduce_config_selectorIN3c108BFloat16EEEZNS1_21segmented_reduce_implIS3_PKS6_PS6_PKlS6_N6hipcub16HIPCUB_304000_NS6detail27convert_result_type_wrapperISA_SB_N2at6native12_GLOBAL__N_19CustomSumEEEEE10hipError_tPvRmT0_T1_jT2_SS_T4_T3_P12ihipStream_tbEUlT_E_NS1_11comp_targetILNS1_3genE2ELNS1_11target_archE906ELNS1_3gpuE6ELNS1_3repE0EEENS1_30default_config_static_selectorELNS0_4arch9wavefront6targetE1EEEvSR_
    .private_segment_fixed_size: 0
    .sgpr_count:     54
    .sgpr_spill_count: 0
    .symbol:         _ZN7rocprim17ROCPRIM_400000_NS6detail17trampoline_kernelINS0_14default_configENS1_32segmented_reduce_config_selectorIN3c108BFloat16EEEZNS1_21segmented_reduce_implIS3_PKS6_PS6_PKlS6_N6hipcub16HIPCUB_304000_NS6detail27convert_result_type_wrapperISA_SB_N2at6native12_GLOBAL__N_19CustomSumEEEEE10hipError_tPvRmT0_T1_jT2_SS_T4_T3_P12ihipStream_tbEUlT_E_NS1_11comp_targetILNS1_3genE2ELNS1_11target_archE906ELNS1_3gpuE6ELNS1_3repE0EEENS1_30default_config_static_selectorELNS0_4arch9wavefront6targetE1EEEvSR_.kd
    .uniform_work_group_size: 1
    .uses_dynamic_stack: false
    .vgpr_count:     26
    .vgpr_spill_count: 0
    .wavefront_size: 64
  - .args:
      - .offset:         0
        .size:           48
        .value_kind:     by_value
    .group_segment_fixed_size: 0
    .kernarg_segment_align: 8
    .kernarg_segment_size: 48
    .language:       OpenCL C
    .language_version:
      - 2
      - 0
    .max_flat_workgroup_size: 256
    .name:           _ZN7rocprim17ROCPRIM_400000_NS6detail17trampoline_kernelINS0_14default_configENS1_32segmented_reduce_config_selectorIN3c108BFloat16EEEZNS1_21segmented_reduce_implIS3_PKS6_PS6_PKlS6_N6hipcub16HIPCUB_304000_NS6detail27convert_result_type_wrapperISA_SB_N2at6native12_GLOBAL__N_19CustomSumEEEEE10hipError_tPvRmT0_T1_jT2_SS_T4_T3_P12ihipStream_tbEUlT_E_NS1_11comp_targetILNS1_3genE9ELNS1_11target_archE1100ELNS1_3gpuE3ELNS1_3repE0EEENS1_30default_config_static_selectorELNS0_4arch9wavefront6targetE1EEEvSR_
    .private_segment_fixed_size: 0
    .sgpr_count:     4
    .sgpr_spill_count: 0
    .symbol:         _ZN7rocprim17ROCPRIM_400000_NS6detail17trampoline_kernelINS0_14default_configENS1_32segmented_reduce_config_selectorIN3c108BFloat16EEEZNS1_21segmented_reduce_implIS3_PKS6_PS6_PKlS6_N6hipcub16HIPCUB_304000_NS6detail27convert_result_type_wrapperISA_SB_N2at6native12_GLOBAL__N_19CustomSumEEEEE10hipError_tPvRmT0_T1_jT2_SS_T4_T3_P12ihipStream_tbEUlT_E_NS1_11comp_targetILNS1_3genE9ELNS1_11target_archE1100ELNS1_3gpuE3ELNS1_3repE0EEENS1_30default_config_static_selectorELNS0_4arch9wavefront6targetE1EEEvSR_.kd
    .uniform_work_group_size: 1
    .uses_dynamic_stack: false
    .vgpr_count:     0
    .vgpr_spill_count: 0
    .wavefront_size: 64
  - .args:
      - .offset:         0
        .size:           48
        .value_kind:     by_value
    .group_segment_fixed_size: 0
    .kernarg_segment_align: 8
    .kernarg_segment_size: 48
    .language:       OpenCL C
    .language_version:
      - 2
      - 0
    .max_flat_workgroup_size: 256
    .name:           _ZN7rocprim17ROCPRIM_400000_NS6detail17trampoline_kernelINS0_14default_configENS1_32segmented_reduce_config_selectorIN3c108BFloat16EEEZNS1_21segmented_reduce_implIS3_PKS6_PS6_PKlS6_N6hipcub16HIPCUB_304000_NS6detail27convert_result_type_wrapperISA_SB_N2at6native12_GLOBAL__N_19CustomSumEEEEE10hipError_tPvRmT0_T1_jT2_SS_T4_T3_P12ihipStream_tbEUlT_E_NS1_11comp_targetILNS1_3genE8ELNS1_11target_archE1030ELNS1_3gpuE2ELNS1_3repE0EEENS1_30default_config_static_selectorELNS0_4arch9wavefront6targetE1EEEvSR_
    .private_segment_fixed_size: 0
    .sgpr_count:     4
    .sgpr_spill_count: 0
    .symbol:         _ZN7rocprim17ROCPRIM_400000_NS6detail17trampoline_kernelINS0_14default_configENS1_32segmented_reduce_config_selectorIN3c108BFloat16EEEZNS1_21segmented_reduce_implIS3_PKS6_PS6_PKlS6_N6hipcub16HIPCUB_304000_NS6detail27convert_result_type_wrapperISA_SB_N2at6native12_GLOBAL__N_19CustomSumEEEEE10hipError_tPvRmT0_T1_jT2_SS_T4_T3_P12ihipStream_tbEUlT_E_NS1_11comp_targetILNS1_3genE8ELNS1_11target_archE1030ELNS1_3gpuE2ELNS1_3repE0EEENS1_30default_config_static_selectorELNS0_4arch9wavefront6targetE1EEEvSR_.kd
    .uniform_work_group_size: 1
    .uses_dynamic_stack: false
    .vgpr_count:     0
    .vgpr_spill_count: 0
    .wavefront_size: 64
  - .args:
      - .address_space:  global
        .offset:         0
        .size:           8
        .value_kind:     global_buffer
      - .address_space:  global
        .offset:         8
        .size:           8
        .value_kind:     global_buffer
      - .offset:         16
        .size:           8
        .value_kind:     by_value
      - .offset:         24
        .size:           1
        .value_kind:     by_value
      - .offset:         26
        .size:           2
        .value_kind:     by_value
      - .offset:         32
        .size:           4
        .value_kind:     hidden_block_count_x
      - .offset:         36
        .size:           4
        .value_kind:     hidden_block_count_y
      - .offset:         40
        .size:           4
        .value_kind:     hidden_block_count_z
      - .offset:         44
        .size:           2
        .value_kind:     hidden_group_size_x
      - .offset:         46
        .size:           2
        .value_kind:     hidden_group_size_y
      - .offset:         48
        .size:           2
        .value_kind:     hidden_group_size_z
      - .offset:         50
        .size:           2
        .value_kind:     hidden_remainder_x
      - .offset:         52
        .size:           2
        .value_kind:     hidden_remainder_y
      - .offset:         54
        .size:           2
        .value_kind:     hidden_remainder_z
      - .offset:         72
        .size:           8
        .value_kind:     hidden_global_offset_x
      - .offset:         80
        .size:           8
        .value_kind:     hidden_global_offset_y
      - .offset:         88
        .size:           8
        .value_kind:     hidden_global_offset_z
      - .offset:         96
        .size:           2
        .value_kind:     hidden_grid_dims
    .group_segment_fixed_size: 0
    .kernarg_segment_align: 8
    .kernarg_segment_size: 288
    .language:       OpenCL C
    .language_version:
      - 2
      - 0
    .max_flat_workgroup_size: 1024
    .name:           _ZN2at6native12_GLOBAL__N_119post_sum_div_kernelIN3c108BFloat16ElEEvPT_PKT0_lbS5_
    .private_segment_fixed_size: 0
    .sgpr_count:     32
    .sgpr_spill_count: 0
    .symbol:         _ZN2at6native12_GLOBAL__N_119post_sum_div_kernelIN3c108BFloat16ElEEvPT_PKT0_lbS5_.kd
    .uniform_work_group_size: 1
    .uses_dynamic_stack: false
    .vgpr_count:     15
    .vgpr_spill_count: 0
    .wavefront_size: 64
  - .args:
      - .offset:         0
        .size:           48
        .value_kind:     by_value
    .group_segment_fixed_size: 0
    .kernarg_segment_align: 8
    .kernarg_segment_size: 48
    .language:       OpenCL C
    .language_version:
      - 2
      - 0
    .max_flat_workgroup_size: 256
    .name:           _ZN7rocprim17ROCPRIM_400000_NS6detail17trampoline_kernelINS0_14default_configENS1_32segmented_reduce_config_selectorIN3c108BFloat16EEEZNS1_21segmented_reduce_implIS3_PKS6_PS6_PKlS6_N6hipcub16HIPCUB_304000_NS6detail27convert_result_type_wrapperISA_SB_N2at6native12_GLOBAL__N_19CustomMinEEEEE10hipError_tPvRmT0_T1_jT2_SS_T4_T3_P12ihipStream_tbEUlT_E_NS1_11comp_targetILNS1_3genE0ELNS1_11target_archE4294967295ELNS1_3gpuE0ELNS1_3repE0EEENS1_30default_config_static_selectorELNS0_4arch9wavefront6targetE1EEEvSR_
    .private_segment_fixed_size: 0
    .sgpr_count:     4
    .sgpr_spill_count: 0
    .symbol:         _ZN7rocprim17ROCPRIM_400000_NS6detail17trampoline_kernelINS0_14default_configENS1_32segmented_reduce_config_selectorIN3c108BFloat16EEEZNS1_21segmented_reduce_implIS3_PKS6_PS6_PKlS6_N6hipcub16HIPCUB_304000_NS6detail27convert_result_type_wrapperISA_SB_N2at6native12_GLOBAL__N_19CustomMinEEEEE10hipError_tPvRmT0_T1_jT2_SS_T4_T3_P12ihipStream_tbEUlT_E_NS1_11comp_targetILNS1_3genE0ELNS1_11target_archE4294967295ELNS1_3gpuE0ELNS1_3repE0EEENS1_30default_config_static_selectorELNS0_4arch9wavefront6targetE1EEEvSR_.kd
    .uniform_work_group_size: 1
    .uses_dynamic_stack: false
    .vgpr_count:     0
    .vgpr_spill_count: 0
    .wavefront_size: 64
  - .args:
      - .offset:         0
        .size:           48
        .value_kind:     by_value
    .group_segment_fixed_size: 0
    .kernarg_segment_align: 8
    .kernarg_segment_size: 48
    .language:       OpenCL C
    .language_version:
      - 2
      - 0
    .max_flat_workgroup_size: 256
    .name:           _ZN7rocprim17ROCPRIM_400000_NS6detail17trampoline_kernelINS0_14default_configENS1_32segmented_reduce_config_selectorIN3c108BFloat16EEEZNS1_21segmented_reduce_implIS3_PKS6_PS6_PKlS6_N6hipcub16HIPCUB_304000_NS6detail27convert_result_type_wrapperISA_SB_N2at6native12_GLOBAL__N_19CustomMinEEEEE10hipError_tPvRmT0_T1_jT2_SS_T4_T3_P12ihipStream_tbEUlT_E_NS1_11comp_targetILNS1_3genE5ELNS1_11target_archE942ELNS1_3gpuE9ELNS1_3repE0EEENS1_30default_config_static_selectorELNS0_4arch9wavefront6targetE1EEEvSR_
    .private_segment_fixed_size: 0
    .sgpr_count:     4
    .sgpr_spill_count: 0
    .symbol:         _ZN7rocprim17ROCPRIM_400000_NS6detail17trampoline_kernelINS0_14default_configENS1_32segmented_reduce_config_selectorIN3c108BFloat16EEEZNS1_21segmented_reduce_implIS3_PKS6_PS6_PKlS6_N6hipcub16HIPCUB_304000_NS6detail27convert_result_type_wrapperISA_SB_N2at6native12_GLOBAL__N_19CustomMinEEEEE10hipError_tPvRmT0_T1_jT2_SS_T4_T3_P12ihipStream_tbEUlT_E_NS1_11comp_targetILNS1_3genE5ELNS1_11target_archE942ELNS1_3gpuE9ELNS1_3repE0EEENS1_30default_config_static_selectorELNS0_4arch9wavefront6targetE1EEEvSR_.kd
    .uniform_work_group_size: 1
    .uses_dynamic_stack: false
    .vgpr_count:     0
    .vgpr_spill_count: 0
    .wavefront_size: 64
  - .args:
      - .offset:         0
        .size:           48
        .value_kind:     by_value
    .group_segment_fixed_size: 0
    .kernarg_segment_align: 8
    .kernarg_segment_size: 48
    .language:       OpenCL C
    .language_version:
      - 2
      - 0
    .max_flat_workgroup_size: 256
    .name:           _ZN7rocprim17ROCPRIM_400000_NS6detail17trampoline_kernelINS0_14default_configENS1_32segmented_reduce_config_selectorIN3c108BFloat16EEEZNS1_21segmented_reduce_implIS3_PKS6_PS6_PKlS6_N6hipcub16HIPCUB_304000_NS6detail27convert_result_type_wrapperISA_SB_N2at6native12_GLOBAL__N_19CustomMinEEEEE10hipError_tPvRmT0_T1_jT2_SS_T4_T3_P12ihipStream_tbEUlT_E_NS1_11comp_targetILNS1_3genE10ELNS1_11target_archE1201ELNS1_3gpuE5ELNS1_3repE0EEENS1_30default_config_static_selectorELNS0_4arch9wavefront6targetE1EEEvSR_
    .private_segment_fixed_size: 0
    .sgpr_count:     4
    .sgpr_spill_count: 0
    .symbol:         _ZN7rocprim17ROCPRIM_400000_NS6detail17trampoline_kernelINS0_14default_configENS1_32segmented_reduce_config_selectorIN3c108BFloat16EEEZNS1_21segmented_reduce_implIS3_PKS6_PS6_PKlS6_N6hipcub16HIPCUB_304000_NS6detail27convert_result_type_wrapperISA_SB_N2at6native12_GLOBAL__N_19CustomMinEEEEE10hipError_tPvRmT0_T1_jT2_SS_T4_T3_P12ihipStream_tbEUlT_E_NS1_11comp_targetILNS1_3genE10ELNS1_11target_archE1201ELNS1_3gpuE5ELNS1_3repE0EEENS1_30default_config_static_selectorELNS0_4arch9wavefront6targetE1EEEvSR_.kd
    .uniform_work_group_size: 1
    .uses_dynamic_stack: false
    .vgpr_count:     0
    .vgpr_spill_count: 0
    .wavefront_size: 64
  - .args:
      - .offset:         0
        .size:           48
        .value_kind:     by_value
    .group_segment_fixed_size: 0
    .kernarg_segment_align: 8
    .kernarg_segment_size: 48
    .language:       OpenCL C
    .language_version:
      - 2
      - 0
    .max_flat_workgroup_size: 256
    .name:           _ZN7rocprim17ROCPRIM_400000_NS6detail17trampoline_kernelINS0_14default_configENS1_32segmented_reduce_config_selectorIN3c108BFloat16EEEZNS1_21segmented_reduce_implIS3_PKS6_PS6_PKlS6_N6hipcub16HIPCUB_304000_NS6detail27convert_result_type_wrapperISA_SB_N2at6native12_GLOBAL__N_19CustomMinEEEEE10hipError_tPvRmT0_T1_jT2_SS_T4_T3_P12ihipStream_tbEUlT_E_NS1_11comp_targetILNS1_3genE4ELNS1_11target_archE910ELNS1_3gpuE8ELNS1_3repE0EEENS1_30default_config_static_selectorELNS0_4arch9wavefront6targetE1EEEvSR_
    .private_segment_fixed_size: 0
    .sgpr_count:     4
    .sgpr_spill_count: 0
    .symbol:         _ZN7rocprim17ROCPRIM_400000_NS6detail17trampoline_kernelINS0_14default_configENS1_32segmented_reduce_config_selectorIN3c108BFloat16EEEZNS1_21segmented_reduce_implIS3_PKS6_PS6_PKlS6_N6hipcub16HIPCUB_304000_NS6detail27convert_result_type_wrapperISA_SB_N2at6native12_GLOBAL__N_19CustomMinEEEEE10hipError_tPvRmT0_T1_jT2_SS_T4_T3_P12ihipStream_tbEUlT_E_NS1_11comp_targetILNS1_3genE4ELNS1_11target_archE910ELNS1_3gpuE8ELNS1_3repE0EEENS1_30default_config_static_selectorELNS0_4arch9wavefront6targetE1EEEvSR_.kd
    .uniform_work_group_size: 1
    .uses_dynamic_stack: false
    .vgpr_count:     0
    .vgpr_spill_count: 0
    .wavefront_size: 64
  - .args:
      - .offset:         0
        .size:           48
        .value_kind:     by_value
    .group_segment_fixed_size: 0
    .kernarg_segment_align: 8
    .kernarg_segment_size: 48
    .language:       OpenCL C
    .language_version:
      - 2
      - 0
    .max_flat_workgroup_size: 256
    .name:           _ZN7rocprim17ROCPRIM_400000_NS6detail17trampoline_kernelINS0_14default_configENS1_32segmented_reduce_config_selectorIN3c108BFloat16EEEZNS1_21segmented_reduce_implIS3_PKS6_PS6_PKlS6_N6hipcub16HIPCUB_304000_NS6detail27convert_result_type_wrapperISA_SB_N2at6native12_GLOBAL__N_19CustomMinEEEEE10hipError_tPvRmT0_T1_jT2_SS_T4_T3_P12ihipStream_tbEUlT_E_NS1_11comp_targetILNS1_3genE3ELNS1_11target_archE908ELNS1_3gpuE7ELNS1_3repE0EEENS1_30default_config_static_selectorELNS0_4arch9wavefront6targetE1EEEvSR_
    .private_segment_fixed_size: 0
    .sgpr_count:     4
    .sgpr_spill_count: 0
    .symbol:         _ZN7rocprim17ROCPRIM_400000_NS6detail17trampoline_kernelINS0_14default_configENS1_32segmented_reduce_config_selectorIN3c108BFloat16EEEZNS1_21segmented_reduce_implIS3_PKS6_PS6_PKlS6_N6hipcub16HIPCUB_304000_NS6detail27convert_result_type_wrapperISA_SB_N2at6native12_GLOBAL__N_19CustomMinEEEEE10hipError_tPvRmT0_T1_jT2_SS_T4_T3_P12ihipStream_tbEUlT_E_NS1_11comp_targetILNS1_3genE3ELNS1_11target_archE908ELNS1_3gpuE7ELNS1_3repE0EEENS1_30default_config_static_selectorELNS0_4arch9wavefront6targetE1EEEvSR_.kd
    .uniform_work_group_size: 1
    .uses_dynamic_stack: false
    .vgpr_count:     0
    .vgpr_spill_count: 0
    .wavefront_size: 64
  - .args:
      - .offset:         0
        .size:           48
        .value_kind:     by_value
    .group_segment_fixed_size: 8
    .kernarg_segment_align: 8
    .kernarg_segment_size: 48
    .language:       OpenCL C
    .language_version:
      - 2
      - 0
    .max_flat_workgroup_size: 256
    .name:           _ZN7rocprim17ROCPRIM_400000_NS6detail17trampoline_kernelINS0_14default_configENS1_32segmented_reduce_config_selectorIN3c108BFloat16EEEZNS1_21segmented_reduce_implIS3_PKS6_PS6_PKlS6_N6hipcub16HIPCUB_304000_NS6detail27convert_result_type_wrapperISA_SB_N2at6native12_GLOBAL__N_19CustomMinEEEEE10hipError_tPvRmT0_T1_jT2_SS_T4_T3_P12ihipStream_tbEUlT_E_NS1_11comp_targetILNS1_3genE2ELNS1_11target_archE906ELNS1_3gpuE6ELNS1_3repE0EEENS1_30default_config_static_selectorELNS0_4arch9wavefront6targetE1EEEvSR_
    .private_segment_fixed_size: 0
    .sgpr_count:     56
    .sgpr_spill_count: 0
    .symbol:         _ZN7rocprim17ROCPRIM_400000_NS6detail17trampoline_kernelINS0_14default_configENS1_32segmented_reduce_config_selectorIN3c108BFloat16EEEZNS1_21segmented_reduce_implIS3_PKS6_PS6_PKlS6_N6hipcub16HIPCUB_304000_NS6detail27convert_result_type_wrapperISA_SB_N2at6native12_GLOBAL__N_19CustomMinEEEEE10hipError_tPvRmT0_T1_jT2_SS_T4_T3_P12ihipStream_tbEUlT_E_NS1_11comp_targetILNS1_3genE2ELNS1_11target_archE906ELNS1_3gpuE6ELNS1_3repE0EEENS1_30default_config_static_selectorELNS0_4arch9wavefront6targetE1EEEvSR_.kd
    .uniform_work_group_size: 1
    .uses_dynamic_stack: false
    .vgpr_count:     24
    .vgpr_spill_count: 0
    .wavefront_size: 64
  - .args:
      - .offset:         0
        .size:           48
        .value_kind:     by_value
    .group_segment_fixed_size: 0
    .kernarg_segment_align: 8
    .kernarg_segment_size: 48
    .language:       OpenCL C
    .language_version:
      - 2
      - 0
    .max_flat_workgroup_size: 256
    .name:           _ZN7rocprim17ROCPRIM_400000_NS6detail17trampoline_kernelINS0_14default_configENS1_32segmented_reduce_config_selectorIN3c108BFloat16EEEZNS1_21segmented_reduce_implIS3_PKS6_PS6_PKlS6_N6hipcub16HIPCUB_304000_NS6detail27convert_result_type_wrapperISA_SB_N2at6native12_GLOBAL__N_19CustomMinEEEEE10hipError_tPvRmT0_T1_jT2_SS_T4_T3_P12ihipStream_tbEUlT_E_NS1_11comp_targetILNS1_3genE9ELNS1_11target_archE1100ELNS1_3gpuE3ELNS1_3repE0EEENS1_30default_config_static_selectorELNS0_4arch9wavefront6targetE1EEEvSR_
    .private_segment_fixed_size: 0
    .sgpr_count:     4
    .sgpr_spill_count: 0
    .symbol:         _ZN7rocprim17ROCPRIM_400000_NS6detail17trampoline_kernelINS0_14default_configENS1_32segmented_reduce_config_selectorIN3c108BFloat16EEEZNS1_21segmented_reduce_implIS3_PKS6_PS6_PKlS6_N6hipcub16HIPCUB_304000_NS6detail27convert_result_type_wrapperISA_SB_N2at6native12_GLOBAL__N_19CustomMinEEEEE10hipError_tPvRmT0_T1_jT2_SS_T4_T3_P12ihipStream_tbEUlT_E_NS1_11comp_targetILNS1_3genE9ELNS1_11target_archE1100ELNS1_3gpuE3ELNS1_3repE0EEENS1_30default_config_static_selectorELNS0_4arch9wavefront6targetE1EEEvSR_.kd
    .uniform_work_group_size: 1
    .uses_dynamic_stack: false
    .vgpr_count:     0
    .vgpr_spill_count: 0
    .wavefront_size: 64
  - .args:
      - .offset:         0
        .size:           48
        .value_kind:     by_value
    .group_segment_fixed_size: 0
    .kernarg_segment_align: 8
    .kernarg_segment_size: 48
    .language:       OpenCL C
    .language_version:
      - 2
      - 0
    .max_flat_workgroup_size: 256
    .name:           _ZN7rocprim17ROCPRIM_400000_NS6detail17trampoline_kernelINS0_14default_configENS1_32segmented_reduce_config_selectorIN3c108BFloat16EEEZNS1_21segmented_reduce_implIS3_PKS6_PS6_PKlS6_N6hipcub16HIPCUB_304000_NS6detail27convert_result_type_wrapperISA_SB_N2at6native12_GLOBAL__N_19CustomMinEEEEE10hipError_tPvRmT0_T1_jT2_SS_T4_T3_P12ihipStream_tbEUlT_E_NS1_11comp_targetILNS1_3genE8ELNS1_11target_archE1030ELNS1_3gpuE2ELNS1_3repE0EEENS1_30default_config_static_selectorELNS0_4arch9wavefront6targetE1EEEvSR_
    .private_segment_fixed_size: 0
    .sgpr_count:     4
    .sgpr_spill_count: 0
    .symbol:         _ZN7rocprim17ROCPRIM_400000_NS6detail17trampoline_kernelINS0_14default_configENS1_32segmented_reduce_config_selectorIN3c108BFloat16EEEZNS1_21segmented_reduce_implIS3_PKS6_PS6_PKlS6_N6hipcub16HIPCUB_304000_NS6detail27convert_result_type_wrapperISA_SB_N2at6native12_GLOBAL__N_19CustomMinEEEEE10hipError_tPvRmT0_T1_jT2_SS_T4_T3_P12ihipStream_tbEUlT_E_NS1_11comp_targetILNS1_3genE8ELNS1_11target_archE1030ELNS1_3gpuE2ELNS1_3repE0EEENS1_30default_config_static_selectorELNS0_4arch9wavefront6targetE1EEEvSR_.kd
    .uniform_work_group_size: 1
    .uses_dynamic_stack: false
    .vgpr_count:     0
    .vgpr_spill_count: 0
    .wavefront_size: 64
  - .args:
      - .offset:         0
        .size:           48
        .value_kind:     by_value
    .group_segment_fixed_size: 0
    .kernarg_segment_align: 8
    .kernarg_segment_size: 48
    .language:       OpenCL C
    .language_version:
      - 2
      - 0
    .max_flat_workgroup_size: 256
    .name:           _ZN7rocprim17ROCPRIM_400000_NS6detail17trampoline_kernelINS0_14default_configENS1_32segmented_reduce_config_selectorIN3c108BFloat16EEEZNS1_21segmented_reduce_implIS3_PKS6_PS6_PKlS6_N6hipcub16HIPCUB_304000_NS6detail27convert_result_type_wrapperISA_SB_N2at6native12_GLOBAL__N_110CustomProdEEEEE10hipError_tPvRmT0_T1_jT2_SS_T4_T3_P12ihipStream_tbEUlT_E_NS1_11comp_targetILNS1_3genE0ELNS1_11target_archE4294967295ELNS1_3gpuE0ELNS1_3repE0EEENS1_30default_config_static_selectorELNS0_4arch9wavefront6targetE1EEEvSR_
    .private_segment_fixed_size: 0
    .sgpr_count:     4
    .sgpr_spill_count: 0
    .symbol:         _ZN7rocprim17ROCPRIM_400000_NS6detail17trampoline_kernelINS0_14default_configENS1_32segmented_reduce_config_selectorIN3c108BFloat16EEEZNS1_21segmented_reduce_implIS3_PKS6_PS6_PKlS6_N6hipcub16HIPCUB_304000_NS6detail27convert_result_type_wrapperISA_SB_N2at6native12_GLOBAL__N_110CustomProdEEEEE10hipError_tPvRmT0_T1_jT2_SS_T4_T3_P12ihipStream_tbEUlT_E_NS1_11comp_targetILNS1_3genE0ELNS1_11target_archE4294967295ELNS1_3gpuE0ELNS1_3repE0EEENS1_30default_config_static_selectorELNS0_4arch9wavefront6targetE1EEEvSR_.kd
    .uniform_work_group_size: 1
    .uses_dynamic_stack: false
    .vgpr_count:     0
    .vgpr_spill_count: 0
    .wavefront_size: 64
  - .args:
      - .offset:         0
        .size:           48
        .value_kind:     by_value
    .group_segment_fixed_size: 0
    .kernarg_segment_align: 8
    .kernarg_segment_size: 48
    .language:       OpenCL C
    .language_version:
      - 2
      - 0
    .max_flat_workgroup_size: 256
    .name:           _ZN7rocprim17ROCPRIM_400000_NS6detail17trampoline_kernelINS0_14default_configENS1_32segmented_reduce_config_selectorIN3c108BFloat16EEEZNS1_21segmented_reduce_implIS3_PKS6_PS6_PKlS6_N6hipcub16HIPCUB_304000_NS6detail27convert_result_type_wrapperISA_SB_N2at6native12_GLOBAL__N_110CustomProdEEEEE10hipError_tPvRmT0_T1_jT2_SS_T4_T3_P12ihipStream_tbEUlT_E_NS1_11comp_targetILNS1_3genE5ELNS1_11target_archE942ELNS1_3gpuE9ELNS1_3repE0EEENS1_30default_config_static_selectorELNS0_4arch9wavefront6targetE1EEEvSR_
    .private_segment_fixed_size: 0
    .sgpr_count:     4
    .sgpr_spill_count: 0
    .symbol:         _ZN7rocprim17ROCPRIM_400000_NS6detail17trampoline_kernelINS0_14default_configENS1_32segmented_reduce_config_selectorIN3c108BFloat16EEEZNS1_21segmented_reduce_implIS3_PKS6_PS6_PKlS6_N6hipcub16HIPCUB_304000_NS6detail27convert_result_type_wrapperISA_SB_N2at6native12_GLOBAL__N_110CustomProdEEEEE10hipError_tPvRmT0_T1_jT2_SS_T4_T3_P12ihipStream_tbEUlT_E_NS1_11comp_targetILNS1_3genE5ELNS1_11target_archE942ELNS1_3gpuE9ELNS1_3repE0EEENS1_30default_config_static_selectorELNS0_4arch9wavefront6targetE1EEEvSR_.kd
    .uniform_work_group_size: 1
    .uses_dynamic_stack: false
    .vgpr_count:     0
    .vgpr_spill_count: 0
    .wavefront_size: 64
  - .args:
      - .offset:         0
        .size:           48
        .value_kind:     by_value
    .group_segment_fixed_size: 0
    .kernarg_segment_align: 8
    .kernarg_segment_size: 48
    .language:       OpenCL C
    .language_version:
      - 2
      - 0
    .max_flat_workgroup_size: 256
    .name:           _ZN7rocprim17ROCPRIM_400000_NS6detail17trampoline_kernelINS0_14default_configENS1_32segmented_reduce_config_selectorIN3c108BFloat16EEEZNS1_21segmented_reduce_implIS3_PKS6_PS6_PKlS6_N6hipcub16HIPCUB_304000_NS6detail27convert_result_type_wrapperISA_SB_N2at6native12_GLOBAL__N_110CustomProdEEEEE10hipError_tPvRmT0_T1_jT2_SS_T4_T3_P12ihipStream_tbEUlT_E_NS1_11comp_targetILNS1_3genE10ELNS1_11target_archE1201ELNS1_3gpuE5ELNS1_3repE0EEENS1_30default_config_static_selectorELNS0_4arch9wavefront6targetE1EEEvSR_
    .private_segment_fixed_size: 0
    .sgpr_count:     4
    .sgpr_spill_count: 0
    .symbol:         _ZN7rocprim17ROCPRIM_400000_NS6detail17trampoline_kernelINS0_14default_configENS1_32segmented_reduce_config_selectorIN3c108BFloat16EEEZNS1_21segmented_reduce_implIS3_PKS6_PS6_PKlS6_N6hipcub16HIPCUB_304000_NS6detail27convert_result_type_wrapperISA_SB_N2at6native12_GLOBAL__N_110CustomProdEEEEE10hipError_tPvRmT0_T1_jT2_SS_T4_T3_P12ihipStream_tbEUlT_E_NS1_11comp_targetILNS1_3genE10ELNS1_11target_archE1201ELNS1_3gpuE5ELNS1_3repE0EEENS1_30default_config_static_selectorELNS0_4arch9wavefront6targetE1EEEvSR_.kd
    .uniform_work_group_size: 1
    .uses_dynamic_stack: false
    .vgpr_count:     0
    .vgpr_spill_count: 0
    .wavefront_size: 64
  - .args:
      - .offset:         0
        .size:           48
        .value_kind:     by_value
    .group_segment_fixed_size: 0
    .kernarg_segment_align: 8
    .kernarg_segment_size: 48
    .language:       OpenCL C
    .language_version:
      - 2
      - 0
    .max_flat_workgroup_size: 256
    .name:           _ZN7rocprim17ROCPRIM_400000_NS6detail17trampoline_kernelINS0_14default_configENS1_32segmented_reduce_config_selectorIN3c108BFloat16EEEZNS1_21segmented_reduce_implIS3_PKS6_PS6_PKlS6_N6hipcub16HIPCUB_304000_NS6detail27convert_result_type_wrapperISA_SB_N2at6native12_GLOBAL__N_110CustomProdEEEEE10hipError_tPvRmT0_T1_jT2_SS_T4_T3_P12ihipStream_tbEUlT_E_NS1_11comp_targetILNS1_3genE4ELNS1_11target_archE910ELNS1_3gpuE8ELNS1_3repE0EEENS1_30default_config_static_selectorELNS0_4arch9wavefront6targetE1EEEvSR_
    .private_segment_fixed_size: 0
    .sgpr_count:     4
    .sgpr_spill_count: 0
    .symbol:         _ZN7rocprim17ROCPRIM_400000_NS6detail17trampoline_kernelINS0_14default_configENS1_32segmented_reduce_config_selectorIN3c108BFloat16EEEZNS1_21segmented_reduce_implIS3_PKS6_PS6_PKlS6_N6hipcub16HIPCUB_304000_NS6detail27convert_result_type_wrapperISA_SB_N2at6native12_GLOBAL__N_110CustomProdEEEEE10hipError_tPvRmT0_T1_jT2_SS_T4_T3_P12ihipStream_tbEUlT_E_NS1_11comp_targetILNS1_3genE4ELNS1_11target_archE910ELNS1_3gpuE8ELNS1_3repE0EEENS1_30default_config_static_selectorELNS0_4arch9wavefront6targetE1EEEvSR_.kd
    .uniform_work_group_size: 1
    .uses_dynamic_stack: false
    .vgpr_count:     0
    .vgpr_spill_count: 0
    .wavefront_size: 64
  - .args:
      - .offset:         0
        .size:           48
        .value_kind:     by_value
    .group_segment_fixed_size: 0
    .kernarg_segment_align: 8
    .kernarg_segment_size: 48
    .language:       OpenCL C
    .language_version:
      - 2
      - 0
    .max_flat_workgroup_size: 256
    .name:           _ZN7rocprim17ROCPRIM_400000_NS6detail17trampoline_kernelINS0_14default_configENS1_32segmented_reduce_config_selectorIN3c108BFloat16EEEZNS1_21segmented_reduce_implIS3_PKS6_PS6_PKlS6_N6hipcub16HIPCUB_304000_NS6detail27convert_result_type_wrapperISA_SB_N2at6native12_GLOBAL__N_110CustomProdEEEEE10hipError_tPvRmT0_T1_jT2_SS_T4_T3_P12ihipStream_tbEUlT_E_NS1_11comp_targetILNS1_3genE3ELNS1_11target_archE908ELNS1_3gpuE7ELNS1_3repE0EEENS1_30default_config_static_selectorELNS0_4arch9wavefront6targetE1EEEvSR_
    .private_segment_fixed_size: 0
    .sgpr_count:     4
    .sgpr_spill_count: 0
    .symbol:         _ZN7rocprim17ROCPRIM_400000_NS6detail17trampoline_kernelINS0_14default_configENS1_32segmented_reduce_config_selectorIN3c108BFloat16EEEZNS1_21segmented_reduce_implIS3_PKS6_PS6_PKlS6_N6hipcub16HIPCUB_304000_NS6detail27convert_result_type_wrapperISA_SB_N2at6native12_GLOBAL__N_110CustomProdEEEEE10hipError_tPvRmT0_T1_jT2_SS_T4_T3_P12ihipStream_tbEUlT_E_NS1_11comp_targetILNS1_3genE3ELNS1_11target_archE908ELNS1_3gpuE7ELNS1_3repE0EEENS1_30default_config_static_selectorELNS0_4arch9wavefront6targetE1EEEvSR_.kd
    .uniform_work_group_size: 1
    .uses_dynamic_stack: false
    .vgpr_count:     0
    .vgpr_spill_count: 0
    .wavefront_size: 64
  - .args:
      - .offset:         0
        .size:           48
        .value_kind:     by_value
    .group_segment_fixed_size: 8
    .kernarg_segment_align: 8
    .kernarg_segment_size: 48
    .language:       OpenCL C
    .language_version:
      - 2
      - 0
    .max_flat_workgroup_size: 256
    .name:           _ZN7rocprim17ROCPRIM_400000_NS6detail17trampoline_kernelINS0_14default_configENS1_32segmented_reduce_config_selectorIN3c108BFloat16EEEZNS1_21segmented_reduce_implIS3_PKS6_PS6_PKlS6_N6hipcub16HIPCUB_304000_NS6detail27convert_result_type_wrapperISA_SB_N2at6native12_GLOBAL__N_110CustomProdEEEEE10hipError_tPvRmT0_T1_jT2_SS_T4_T3_P12ihipStream_tbEUlT_E_NS1_11comp_targetILNS1_3genE2ELNS1_11target_archE906ELNS1_3gpuE6ELNS1_3repE0EEENS1_30default_config_static_selectorELNS0_4arch9wavefront6targetE1EEEvSR_
    .private_segment_fixed_size: 0
    .sgpr_count:     54
    .sgpr_spill_count: 0
    .symbol:         _ZN7rocprim17ROCPRIM_400000_NS6detail17trampoline_kernelINS0_14default_configENS1_32segmented_reduce_config_selectorIN3c108BFloat16EEEZNS1_21segmented_reduce_implIS3_PKS6_PS6_PKlS6_N6hipcub16HIPCUB_304000_NS6detail27convert_result_type_wrapperISA_SB_N2at6native12_GLOBAL__N_110CustomProdEEEEE10hipError_tPvRmT0_T1_jT2_SS_T4_T3_P12ihipStream_tbEUlT_E_NS1_11comp_targetILNS1_3genE2ELNS1_11target_archE906ELNS1_3gpuE6ELNS1_3repE0EEENS1_30default_config_static_selectorELNS0_4arch9wavefront6targetE1EEEvSR_.kd
    .uniform_work_group_size: 1
    .uses_dynamic_stack: false
    .vgpr_count:     26
    .vgpr_spill_count: 0
    .wavefront_size: 64
  - .args:
      - .offset:         0
        .size:           48
        .value_kind:     by_value
    .group_segment_fixed_size: 0
    .kernarg_segment_align: 8
    .kernarg_segment_size: 48
    .language:       OpenCL C
    .language_version:
      - 2
      - 0
    .max_flat_workgroup_size: 256
    .name:           _ZN7rocprim17ROCPRIM_400000_NS6detail17trampoline_kernelINS0_14default_configENS1_32segmented_reduce_config_selectorIN3c108BFloat16EEEZNS1_21segmented_reduce_implIS3_PKS6_PS6_PKlS6_N6hipcub16HIPCUB_304000_NS6detail27convert_result_type_wrapperISA_SB_N2at6native12_GLOBAL__N_110CustomProdEEEEE10hipError_tPvRmT0_T1_jT2_SS_T4_T3_P12ihipStream_tbEUlT_E_NS1_11comp_targetILNS1_3genE9ELNS1_11target_archE1100ELNS1_3gpuE3ELNS1_3repE0EEENS1_30default_config_static_selectorELNS0_4arch9wavefront6targetE1EEEvSR_
    .private_segment_fixed_size: 0
    .sgpr_count:     4
    .sgpr_spill_count: 0
    .symbol:         _ZN7rocprim17ROCPRIM_400000_NS6detail17trampoline_kernelINS0_14default_configENS1_32segmented_reduce_config_selectorIN3c108BFloat16EEEZNS1_21segmented_reduce_implIS3_PKS6_PS6_PKlS6_N6hipcub16HIPCUB_304000_NS6detail27convert_result_type_wrapperISA_SB_N2at6native12_GLOBAL__N_110CustomProdEEEEE10hipError_tPvRmT0_T1_jT2_SS_T4_T3_P12ihipStream_tbEUlT_E_NS1_11comp_targetILNS1_3genE9ELNS1_11target_archE1100ELNS1_3gpuE3ELNS1_3repE0EEENS1_30default_config_static_selectorELNS0_4arch9wavefront6targetE1EEEvSR_.kd
    .uniform_work_group_size: 1
    .uses_dynamic_stack: false
    .vgpr_count:     0
    .vgpr_spill_count: 0
    .wavefront_size: 64
  - .args:
      - .offset:         0
        .size:           48
        .value_kind:     by_value
    .group_segment_fixed_size: 0
    .kernarg_segment_align: 8
    .kernarg_segment_size: 48
    .language:       OpenCL C
    .language_version:
      - 2
      - 0
    .max_flat_workgroup_size: 256
    .name:           _ZN7rocprim17ROCPRIM_400000_NS6detail17trampoline_kernelINS0_14default_configENS1_32segmented_reduce_config_selectorIN3c108BFloat16EEEZNS1_21segmented_reduce_implIS3_PKS6_PS6_PKlS6_N6hipcub16HIPCUB_304000_NS6detail27convert_result_type_wrapperISA_SB_N2at6native12_GLOBAL__N_110CustomProdEEEEE10hipError_tPvRmT0_T1_jT2_SS_T4_T3_P12ihipStream_tbEUlT_E_NS1_11comp_targetILNS1_3genE8ELNS1_11target_archE1030ELNS1_3gpuE2ELNS1_3repE0EEENS1_30default_config_static_selectorELNS0_4arch9wavefront6targetE1EEEvSR_
    .private_segment_fixed_size: 0
    .sgpr_count:     4
    .sgpr_spill_count: 0
    .symbol:         _ZN7rocprim17ROCPRIM_400000_NS6detail17trampoline_kernelINS0_14default_configENS1_32segmented_reduce_config_selectorIN3c108BFloat16EEEZNS1_21segmented_reduce_implIS3_PKS6_PS6_PKlS6_N6hipcub16HIPCUB_304000_NS6detail27convert_result_type_wrapperISA_SB_N2at6native12_GLOBAL__N_110CustomProdEEEEE10hipError_tPvRmT0_T1_jT2_SS_T4_T3_P12ihipStream_tbEUlT_E_NS1_11comp_targetILNS1_3genE8ELNS1_11target_archE1030ELNS1_3gpuE2ELNS1_3repE0EEENS1_30default_config_static_selectorELNS0_4arch9wavefront6targetE1EEEvSR_.kd
    .uniform_work_group_size: 1
    .uses_dynamic_stack: false
    .vgpr_count:     0
    .vgpr_spill_count: 0
    .wavefront_size: 64
amdhsa.target:   amdgcn-amd-amdhsa--gfx906
amdhsa.version:
  - 1
  - 2
...

	.end_amdgpu_metadata
